;; amdgpu-corpus repo=ROCm/rocSPARSE kind=compiled arch=gfx1201 opt=O3
	.amdgcn_target "amdgcn-amd-amdhsa--gfx1201"
	.amdhsa_code_object_version 6
	.section	.text._ZN9rocsparseL18bsrxmvn_3x3_kernelILj256ELj4EfiifffEEvT3_20rocsparse_direction_NS_24const_host_device_scalarIT1_EES1_PKS1_PKT2_SA_S7_PKT4_PKT5_S5_PT6_21rocsparse_index_base_b,"axG",@progbits,_ZN9rocsparseL18bsrxmvn_3x3_kernelILj256ELj4EfiifffEEvT3_20rocsparse_direction_NS_24const_host_device_scalarIT1_EES1_PKS1_PKT2_SA_S7_PKT4_PKT5_S5_PT6_21rocsparse_index_base_b,comdat
	.globl	_ZN9rocsparseL18bsrxmvn_3x3_kernelILj256ELj4EfiifffEEvT3_20rocsparse_direction_NS_24const_host_device_scalarIT1_EES1_PKS1_PKT2_SA_S7_PKT4_PKT5_S5_PT6_21rocsparse_index_base_b ; -- Begin function _ZN9rocsparseL18bsrxmvn_3x3_kernelILj256ELj4EfiifffEEvT3_20rocsparse_direction_NS_24const_host_device_scalarIT1_EES1_PKS1_PKT2_SA_S7_PKT4_PKT5_S5_PT6_21rocsparse_index_base_b
	.p2align	8
	.type	_ZN9rocsparseL18bsrxmvn_3x3_kernelILj256ELj4EfiifffEEvT3_20rocsparse_direction_NS_24const_host_device_scalarIT1_EES1_PKS1_PKT2_SA_S7_PKT4_PKT5_S5_PT6_21rocsparse_index_base_b,@function
_ZN9rocsparseL18bsrxmvn_3x3_kernelILj256ELj4EfiifffEEvT3_20rocsparse_direction_NS_24const_host_device_scalarIT1_EES1_PKS1_PKT2_SA_S7_PKT4_PKT5_S5_PT6_21rocsparse_index_base_b: ; @_ZN9rocsparseL18bsrxmvn_3x3_kernelILj256ELj4EfiifffEEvT3_20rocsparse_direction_NS_24const_host_device_scalarIT1_EES1_PKS1_PKT2_SA_S7_PKT4_PKT5_S5_PT6_21rocsparse_index_base_b
; %bb.0:
	s_clause 0x2
	s_load_b64 s[16:17], s[0:1], 0x58
	s_load_b64 s[14:15], s[0:1], 0x8
	;; [unrolled: 1-line block ×3, first 2 shown]
	s_wait_kmcnt 0x0
	s_bitcmp1_b32 s17, 0
	s_cselect_b32 s2, -1, 0
	s_delay_alu instid0(SALU_CYCLE_1)
	s_and_b32 vcc_lo, exec_lo, s2
	s_xor_b32 s2, s2, -1
	s_cbranch_vccnz .LBB0_2
; %bb.1:
	s_load_b32 s14, s[14:15], 0x0
.LBB0_2:
	s_and_not1_b32 vcc_lo, exec_lo, s2
	s_cbranch_vccnz .LBB0_4
; %bb.3:
	s_load_b32 s12, s[12:13], 0x0
.LBB0_4:
	s_wait_kmcnt 0x0
	s_cmp_neq_f32 s14, 0
	s_mov_b32 s6, 0
	s_cselect_b32 s2, -1, 0
	s_cmp_neq_f32 s12, 1.0
	s_cselect_b32 s3, -1, 0
	s_delay_alu instid0(SALU_CYCLE_1) | instskip(NEXT) | instid1(SALU_CYCLE_1)
	s_or_b32 s2, s2, s3
	s_and_not1_b32 vcc_lo, exec_lo, s2
	s_cbranch_vccnz .LBB0_10
; %bb.5:
	s_clause 0x1
	s_load_b64 s[4:5], s[0:1], 0x18
	s_load_b64 s[2:3], s[0:1], 0x0
	v_lshrrev_b32_e32 v1, 2, v0
	s_delay_alu instid0(VALU_DEP_1)
	v_lshl_or_b32 v1, ttmp9, 6, v1
	s_wait_kmcnt 0x0
	s_cmp_lg_u64 s[4:5], 0
	s_cbranch_scc0 .LBB0_11
; %bb.6:
	s_load_b32 s6, s[0:1], 0x10
	s_mov_b32 s7, 0
                                        ; implicit-def: $vgpr2
	s_wait_kmcnt 0x0
	v_cmp_gt_i32_e32 vcc_lo, s6, v1
	s_mov_b32 s6, 0
	s_and_saveexec_b32 s8, vcc_lo
	s_delay_alu instid0(SALU_CYCLE_1)
	s_xor_b32 s8, exec_lo, s8
	s_cbranch_execz .LBB0_8
; %bb.7:
	v_ashrrev_i32_e32 v2, 31, v1
	s_mov_b32 s6, exec_lo
	s_delay_alu instid0(VALU_DEP_1) | instskip(NEXT) | instid1(VALU_DEP_1)
	v_lshlrev_b64_e32 v[2:3], 2, v[1:2]
	v_add_co_u32 v2, vcc_lo, s4, v2
	s_delay_alu instid0(VALU_DEP_1)
	v_add_co_ci_u32_e64 v3, null, s5, v3, vcc_lo
	global_load_b32 v2, v[2:3], off
	s_wait_loadcnt 0x0
	v_subrev_nc_u32_e32 v2, s16, v2
.LBB0_8:
	s_or_b32 exec_lo, exec_lo, s8
	s_delay_alu instid0(SALU_CYCLE_1)
	s_and_b32 vcc_lo, exec_lo, s7
	s_wait_alu 0xfffe
	s_cbranch_vccz .LBB0_12
.LBB0_9:
	v_cmp_gt_i32_e32 vcc_lo, s2, v1
	s_and_not1_b32 s2, s6, exec_lo
	s_and_b32 s4, vcc_lo, exec_lo
	s_wait_alu 0xfffe
	s_or_b32 s6, s2, s4
	s_wait_alu 0xfffe
	s_and_saveexec_b32 s2, s6
	s_cbranch_execnz .LBB0_13
.LBB0_10:
	s_endpgm
.LBB0_11:
                                        ; implicit-def: $vgpr2
	s_cbranch_execnz .LBB0_9
.LBB0_12:
	v_mov_b32_e32 v1, v2
	s_and_saveexec_b32 s2, s6
	s_cbranch_execz .LBB0_10
.LBB0_13:
	s_load_b256 s[4:11], s[0:1], 0x20
	s_delay_alu instid0(VALU_DEP_1) | instskip(SKIP_1) | instid1(VALU_DEP_2)
	v_ashrrev_i32_e32 v2, 31, v1
	v_and_b32_e32 v0, 3, v0
	v_lshlrev_b64_e32 v[2:3], 2, v[1:2]
	s_wait_kmcnt 0x0
	s_delay_alu instid0(VALU_DEP_1) | instskip(SKIP_1) | instid1(VALU_DEP_2)
	v_add_co_u32 v4, vcc_lo, s4, v2
	s_wait_alu 0xfffd
	v_add_co_ci_u32_e64 v5, null, s5, v3, vcc_lo
	v_add_co_u32 v2, vcc_lo, s6, v2
	s_wait_alu 0xfffd
	v_add_co_ci_u32_e64 v3, null, s7, v3, vcc_lo
	;; [unrolled: 3-line block ×3, first 2 shown]
	s_cmp_eq_u64 s[6:7], 0
	global_load_b32 v4, v[4:5], off
	s_cselect_b32 vcc_lo, -1, 0
	s_load_b64 s[4:5], s[0:1], 0x40
	v_dual_cndmask_b32 v3, v3, v7 :: v_dual_cndmask_b32 v2, v2, v6
	s_cmp_eq_u32 s3, 1
	global_load_b32 v3, v[2:3], off
	s_wait_loadcnt 0x1
	v_subrev_nc_u32_e32 v2, s16, v4
	s_delay_alu instid0(VALU_DEP_1) | instskip(SKIP_2) | instid1(VALU_DEP_2)
	v_add_nc_u32_e32 v2, v2, v0
	s_wait_loadcnt 0x0
	v_subrev_nc_u32_e32 v13, s16, v3
	v_mad_co_i64_i32 v[4:5], null, v2, 36, s[10:11]
	s_delay_alu instid0(VALU_DEP_2)
	v_cmp_lt_i32_e64 s2, v2, v13
	s_cbranch_scc1 .LBB0_19
; %bb.14:
	v_dual_mov_b32 v10, 0 :: v_dual_mov_b32 v11, 0
	v_mov_b32_e32 v12, 0
	s_and_saveexec_b32 s3, s2
	s_cbranch_execz .LBB0_18
; %bb.15:
	v_dual_mov_b32 v10, 0 :: v_dual_mov_b32 v7, v5
	v_dual_mov_b32 v6, v4 :: v_dual_mov_b32 v11, 0
	v_mov_b32_e32 v8, v2
	v_mov_b32_e32 v12, 0
	s_mov_b32 s6, 0
.LBB0_16:                               ; =>This Inner Loop Header: Depth=1
	s_delay_alu instid0(VALU_DEP_2) | instskip(NEXT) | instid1(VALU_DEP_1)
	v_ashrrev_i32_e32 v9, 31, v8
	v_lshlrev_b64_e32 v[14:15], 2, v[8:9]
	v_add_nc_u32_e32 v8, 4, v8
	s_delay_alu instid0(VALU_DEP_2) | instskip(SKIP_1) | instid1(VALU_DEP_3)
	v_add_co_u32 v14, vcc_lo, s8, v14
	s_wait_alu 0xfffd
	v_add_co_ci_u32_e64 v15, null, s9, v15, vcc_lo
	global_load_b32 v3, v[14:15], off
	global_load_b128 v[14:17], v[6:7], off offset:16
	s_wait_loadcnt 0x1
	v_subrev_nc_u32_e32 v3, s16, v3
	s_delay_alu instid0(VALU_DEP_1) | instskip(NEXT) | instid1(VALU_DEP_1)
	v_lshl_add_u32 v18, v3, 1, v3
	v_ashrrev_i32_e32 v19, 31, v18
	s_delay_alu instid0(VALU_DEP_1) | instskip(SKIP_1) | instid1(VALU_DEP_1)
	v_lshlrev_b64_e32 v[18:19], 2, v[18:19]
	s_wait_kmcnt 0x0
	v_add_co_u32 v22, vcc_lo, s4, v18
	s_wait_alu 0xfffd
	s_delay_alu instid0(VALU_DEP_2)
	v_add_co_ci_u32_e64 v23, null, s5, v19, vcc_lo
	global_load_b128 v[18:21], v[6:7], off
	global_load_b96 v[22:24], v[22:23], off
	global_load_b32 v3, v[6:7], off offset:32
	v_add_co_u32 v6, vcc_lo, 0x90, v6
	s_wait_alu 0xfffd
	v_add_co_ci_u32_e64 v7, null, 0, v7, vcc_lo
	v_cmp_ge_i32_e32 vcc_lo, v8, v13
	s_wait_alu 0xfffe
	s_or_b32 s6, vcc_lo, s6
	s_wait_loadcnt 0x1
	v_fmac_f32_e32 v11, v21, v22
	s_delay_alu instid0(VALU_DEP_1) | instskip(SKIP_1) | instid1(VALU_DEP_2)
	v_dual_fmac_f32 v10, v16, v22 :: v_dual_fmac_f32 v11, v14, v23
	v_fmac_f32_e32 v12, v18, v22
	v_dual_fmac_f32 v10, v17, v23 :: v_dual_fmac_f32 v11, v15, v24
	s_delay_alu instid0(VALU_DEP_2) | instskip(SKIP_1) | instid1(VALU_DEP_2)
	v_fmac_f32_e32 v12, v19, v23
	s_wait_loadcnt 0x0
	v_fmac_f32_e32 v10, v3, v24
	s_delay_alu instid0(VALU_DEP_2)
	v_fmac_f32_e32 v12, v20, v24
	s_wait_alu 0xfffe
	s_and_not1_b32 exec_lo, exec_lo, s6
	s_cbranch_execnz .LBB0_16
; %bb.17:
	s_or_b32 exec_lo, exec_lo, s6
.LBB0_18:
	s_wait_alu 0xfffe
	s_or_b32 exec_lo, exec_lo, s3
	s_cbranch_execz .LBB0_20
	s_branch .LBB0_25
.LBB0_19:
                                        ; implicit-def: $vgpr10
                                        ; implicit-def: $vgpr11
                                        ; implicit-def: $vgpr12
.LBB0_20:
	v_dual_mov_b32 v10, 0 :: v_dual_mov_b32 v11, 0
	v_mov_b32_e32 v12, 0
	s_and_saveexec_b32 s3, s2
	s_cbranch_execz .LBB0_24
; %bb.21:
	v_dual_mov_b32 v10, 0 :: v_dual_mov_b32 v11, 0
	v_mov_b32_e32 v12, 0
	s_mov_b32 s2, 0
.LBB0_22:                               ; =>This Inner Loop Header: Depth=1
	v_ashrrev_i32_e32 v3, 31, v2
	s_delay_alu instid0(VALU_DEP_1) | instskip(SKIP_1) | instid1(VALU_DEP_2)
	v_lshlrev_b64_e32 v[6:7], 2, v[2:3]
	v_add_nc_u32_e32 v2, 4, v2
	v_add_co_u32 v6, vcc_lo, s8, v6
	s_wait_alu 0xfffd
	s_delay_alu instid0(VALU_DEP_3) | instskip(SKIP_4) | instid1(VALU_DEP_1)
	v_add_co_ci_u32_e64 v7, null, s9, v7, vcc_lo
	global_load_b32 v3, v[6:7], off
	global_load_b128 v[6:9], v[4:5], off offset:16
	s_wait_loadcnt 0x1
	v_subrev_nc_u32_e32 v3, s16, v3
	v_lshl_add_u32 v14, v3, 1, v3
	s_delay_alu instid0(VALU_DEP_1) | instskip(NEXT) | instid1(VALU_DEP_1)
	v_ashrrev_i32_e32 v15, 31, v14
	v_lshlrev_b64_e32 v[14:15], 2, v[14:15]
	s_wait_kmcnt 0x0
	s_delay_alu instid0(VALU_DEP_1) | instskip(SKIP_1) | instid1(VALU_DEP_2)
	v_add_co_u32 v18, vcc_lo, s4, v14
	s_wait_alu 0xfffd
	v_add_co_ci_u32_e64 v19, null, s5, v15, vcc_lo
	global_load_b128 v[14:17], v[4:5], off
	global_load_b96 v[18:20], v[18:19], off
	global_load_b32 v3, v[4:5], off offset:32
	v_add_co_u32 v4, vcc_lo, 0x90, v4
	s_wait_alu 0xfffd
	v_add_co_ci_u32_e64 v5, null, 0, v5, vcc_lo
	v_cmp_ge_i32_e32 vcc_lo, v2, v13
	s_wait_alu 0xfffe
	s_or_b32 s2, vcc_lo, s2
	s_wait_loadcnt 0x1
	v_fmac_f32_e32 v11, v15, v18
	s_delay_alu instid0(VALU_DEP_1) | instskip(SKIP_1) | instid1(VALU_DEP_2)
	v_dual_fmac_f32 v10, v16, v18 :: v_dual_fmac_f32 v11, v6, v19
	v_fmac_f32_e32 v12, v14, v18
	v_dual_fmac_f32 v10, v7, v19 :: v_dual_fmac_f32 v11, v9, v20
	s_delay_alu instid0(VALU_DEP_2) | instskip(SKIP_1) | instid1(VALU_DEP_2)
	v_fmac_f32_e32 v12, v17, v19
	s_wait_loadcnt 0x0
	v_fmac_f32_e32 v10, v3, v20
	s_delay_alu instid0(VALU_DEP_2)
	v_fmac_f32_e32 v12, v8, v20
	s_wait_alu 0xfffe
	s_and_not1_b32 exec_lo, exec_lo, s2
	s_cbranch_execnz .LBB0_22
; %bb.23:
	s_or_b32 exec_lo, exec_lo, s2
.LBB0_24:
	s_wait_alu 0xfffe
	s_or_b32 exec_lo, exec_lo, s3
.LBB0_25:
	v_mbcnt_lo_u32_b32 v2, -1, 0
	s_mov_b32 s2, -1
	s_delay_alu instid0(VALU_DEP_1) | instskip(NEXT) | instid1(VALU_DEP_1)
	v_xor_b32_e32 v3, 2, v2
	v_cmp_gt_i32_e32 vcc_lo, 32, v3
	s_wait_alu 0xfffd
	v_cndmask_b32_e32 v3, v2, v3, vcc_lo
	s_delay_alu instid0(VALU_DEP_1) | instskip(SKIP_4) | instid1(VALU_DEP_1)
	v_lshlrev_b32_e32 v3, 2, v3
	ds_bpermute_b32 v4, v3, v12
	ds_bpermute_b32 v5, v3, v11
	ds_bpermute_b32 v6, v3, v10
	v_xor_b32_e32 v3, 1, v2
	v_cmp_gt_i32_e32 vcc_lo, 32, v3
	s_wait_alu 0xfffd
	v_cndmask_b32_e32 v2, v2, v3, vcc_lo
	v_cmp_eq_u32_e32 vcc_lo, 3, v0
	s_wait_dscnt 0x1
	v_add_f32_e32 v3, v11, v5
	s_delay_alu instid0(VALU_DEP_3)
	v_dual_add_f32 v2, v12, v4 :: v_dual_lshlrev_b32 v7, 2, v2
	s_wait_dscnt 0x0
	v_add_f32_e32 v4, v10, v6
	ds_bpermute_b32 v6, v7, v3
	ds_bpermute_b32 v5, v7, v2
	;; [unrolled: 1-line block ×3, first 2 shown]
	s_and_b32 exec_lo, exec_lo, vcc_lo
	s_cbranch_execz .LBB0_10
; %bb.26:
	s_load_b64 s[0:1], s[0:1], 0x50
	s_wait_dscnt 0x1
	v_add_f32_e32 v0, v2, v5
	v_add_f32_e32 v2, v3, v6
	s_wait_dscnt 0x0
	v_add_f32_e32 v4, v4, v7
	v_lshl_add_u32 v3, v1, 1, v1
	s_cmp_eq_f32 s12, 0
	v_dual_mul_f32 v1, s14, v2 :: v_dual_mul_f32 v0, s14, v0
	s_delay_alu instid0(VALU_DEP_3) | instskip(NEXT) | instid1(VALU_DEP_3)
	v_mul_f32_e32 v2, s14, v4
	v_ashrrev_i32_e32 v4, 31, v3
	s_cbranch_scc0 .LBB0_28
; %bb.27:
	s_delay_alu instid0(VALU_DEP_1) | instskip(SKIP_2) | instid1(VALU_DEP_1)
	v_lshlrev_b64_e32 v[5:6], 2, v[3:4]
	s_mov_b32 s2, 0
	s_wait_kmcnt 0x0
	v_add_co_u32 v5, vcc_lo, s0, v5
	s_wait_alu 0xfffd
	s_delay_alu instid0(VALU_DEP_2)
	v_add_co_ci_u32_e64 v6, null, s1, v6, vcc_lo
	global_store_b96 v[5:6], v[0:2], off
.LBB0_28:
	s_wait_alu 0xfffe
	s_and_not1_b32 vcc_lo, exec_lo, s2
	s_wait_alu 0xfffe
	s_cbranch_vccnz .LBB0_10
; %bb.29:
	v_lshlrev_b64_e32 v[3:4], 2, v[3:4]
	s_wait_kmcnt 0x0
	s_delay_alu instid0(VALU_DEP_1) | instskip(SKIP_1) | instid1(VALU_DEP_2)
	v_add_co_u32 v6, vcc_lo, s0, v3
	s_wait_alu 0xfffd
	v_add_co_ci_u32_e64 v7, null, s1, v4, vcc_lo
	global_load_b96 v[3:5], v[6:7], off
	s_wait_loadcnt 0x0
	v_dual_fmac_f32 v0, s12, v3 :: v_dual_fmac_f32 v1, s12, v4
	v_fmac_f32_e32 v2, s12, v5
	global_store_b96 v[6:7], v[0:2], off
	s_endpgm
	.section	.rodata,"a",@progbits
	.p2align	6, 0x0
	.amdhsa_kernel _ZN9rocsparseL18bsrxmvn_3x3_kernelILj256ELj4EfiifffEEvT3_20rocsparse_direction_NS_24const_host_device_scalarIT1_EES1_PKS1_PKT2_SA_S7_PKT4_PKT5_S5_PT6_21rocsparse_index_base_b
		.amdhsa_group_segment_fixed_size 0
		.amdhsa_private_segment_fixed_size 0
		.amdhsa_kernarg_size 96
		.amdhsa_user_sgpr_count 2
		.amdhsa_user_sgpr_dispatch_ptr 0
		.amdhsa_user_sgpr_queue_ptr 0
		.amdhsa_user_sgpr_kernarg_segment_ptr 1
		.amdhsa_user_sgpr_dispatch_id 0
		.amdhsa_user_sgpr_private_segment_size 0
		.amdhsa_wavefront_size32 1
		.amdhsa_uses_dynamic_stack 0
		.amdhsa_enable_private_segment 0
		.amdhsa_system_sgpr_workgroup_id_x 1
		.amdhsa_system_sgpr_workgroup_id_y 0
		.amdhsa_system_sgpr_workgroup_id_z 0
		.amdhsa_system_sgpr_workgroup_info 0
		.amdhsa_system_vgpr_workitem_id 0
		.amdhsa_next_free_vgpr 25
		.amdhsa_next_free_sgpr 18
		.amdhsa_reserve_vcc 1
		.amdhsa_float_round_mode_32 0
		.amdhsa_float_round_mode_16_64 0
		.amdhsa_float_denorm_mode_32 3
		.amdhsa_float_denorm_mode_16_64 3
		.amdhsa_fp16_overflow 0
		.amdhsa_workgroup_processor_mode 1
		.amdhsa_memory_ordered 1
		.amdhsa_forward_progress 1
		.amdhsa_inst_pref_size 12
		.amdhsa_round_robin_scheduling 0
		.amdhsa_exception_fp_ieee_invalid_op 0
		.amdhsa_exception_fp_denorm_src 0
		.amdhsa_exception_fp_ieee_div_zero 0
		.amdhsa_exception_fp_ieee_overflow 0
		.amdhsa_exception_fp_ieee_underflow 0
		.amdhsa_exception_fp_ieee_inexact 0
		.amdhsa_exception_int_div_zero 0
	.end_amdhsa_kernel
	.section	.text._ZN9rocsparseL18bsrxmvn_3x3_kernelILj256ELj4EfiifffEEvT3_20rocsparse_direction_NS_24const_host_device_scalarIT1_EES1_PKS1_PKT2_SA_S7_PKT4_PKT5_S5_PT6_21rocsparse_index_base_b,"axG",@progbits,_ZN9rocsparseL18bsrxmvn_3x3_kernelILj256ELj4EfiifffEEvT3_20rocsparse_direction_NS_24const_host_device_scalarIT1_EES1_PKS1_PKT2_SA_S7_PKT4_PKT5_S5_PT6_21rocsparse_index_base_b,comdat
.Lfunc_end0:
	.size	_ZN9rocsparseL18bsrxmvn_3x3_kernelILj256ELj4EfiifffEEvT3_20rocsparse_direction_NS_24const_host_device_scalarIT1_EES1_PKS1_PKT2_SA_S7_PKT4_PKT5_S5_PT6_21rocsparse_index_base_b, .Lfunc_end0-_ZN9rocsparseL18bsrxmvn_3x3_kernelILj256ELj4EfiifffEEvT3_20rocsparse_direction_NS_24const_host_device_scalarIT1_EES1_PKS1_PKT2_SA_S7_PKT4_PKT5_S5_PT6_21rocsparse_index_base_b
                                        ; -- End function
	.set _ZN9rocsparseL18bsrxmvn_3x3_kernelILj256ELj4EfiifffEEvT3_20rocsparse_direction_NS_24const_host_device_scalarIT1_EES1_PKS1_PKT2_SA_S7_PKT4_PKT5_S5_PT6_21rocsparse_index_base_b.num_vgpr, 25
	.set _ZN9rocsparseL18bsrxmvn_3x3_kernelILj256ELj4EfiifffEEvT3_20rocsparse_direction_NS_24const_host_device_scalarIT1_EES1_PKS1_PKT2_SA_S7_PKT4_PKT5_S5_PT6_21rocsparse_index_base_b.num_agpr, 0
	.set _ZN9rocsparseL18bsrxmvn_3x3_kernelILj256ELj4EfiifffEEvT3_20rocsparse_direction_NS_24const_host_device_scalarIT1_EES1_PKS1_PKT2_SA_S7_PKT4_PKT5_S5_PT6_21rocsparse_index_base_b.numbered_sgpr, 18
	.set _ZN9rocsparseL18bsrxmvn_3x3_kernelILj256ELj4EfiifffEEvT3_20rocsparse_direction_NS_24const_host_device_scalarIT1_EES1_PKS1_PKT2_SA_S7_PKT4_PKT5_S5_PT6_21rocsparse_index_base_b.num_named_barrier, 0
	.set _ZN9rocsparseL18bsrxmvn_3x3_kernelILj256ELj4EfiifffEEvT3_20rocsparse_direction_NS_24const_host_device_scalarIT1_EES1_PKS1_PKT2_SA_S7_PKT4_PKT5_S5_PT6_21rocsparse_index_base_b.private_seg_size, 0
	.set _ZN9rocsparseL18bsrxmvn_3x3_kernelILj256ELj4EfiifffEEvT3_20rocsparse_direction_NS_24const_host_device_scalarIT1_EES1_PKS1_PKT2_SA_S7_PKT4_PKT5_S5_PT6_21rocsparse_index_base_b.uses_vcc, 1
	.set _ZN9rocsparseL18bsrxmvn_3x3_kernelILj256ELj4EfiifffEEvT3_20rocsparse_direction_NS_24const_host_device_scalarIT1_EES1_PKS1_PKT2_SA_S7_PKT4_PKT5_S5_PT6_21rocsparse_index_base_b.uses_flat_scratch, 0
	.set _ZN9rocsparseL18bsrxmvn_3x3_kernelILj256ELj4EfiifffEEvT3_20rocsparse_direction_NS_24const_host_device_scalarIT1_EES1_PKS1_PKT2_SA_S7_PKT4_PKT5_S5_PT6_21rocsparse_index_base_b.has_dyn_sized_stack, 0
	.set _ZN9rocsparseL18bsrxmvn_3x3_kernelILj256ELj4EfiifffEEvT3_20rocsparse_direction_NS_24const_host_device_scalarIT1_EES1_PKS1_PKT2_SA_S7_PKT4_PKT5_S5_PT6_21rocsparse_index_base_b.has_recursion, 0
	.set _ZN9rocsparseL18bsrxmvn_3x3_kernelILj256ELj4EfiifffEEvT3_20rocsparse_direction_NS_24const_host_device_scalarIT1_EES1_PKS1_PKT2_SA_S7_PKT4_PKT5_S5_PT6_21rocsparse_index_base_b.has_indirect_call, 0
	.section	.AMDGPU.csdata,"",@progbits
; Kernel info:
; codeLenInByte = 1520
; TotalNumSgprs: 20
; NumVgprs: 25
; ScratchSize: 0
; MemoryBound: 0
; FloatMode: 240
; IeeeMode: 1
; LDSByteSize: 0 bytes/workgroup (compile time only)
; SGPRBlocks: 0
; VGPRBlocks: 3
; NumSGPRsForWavesPerEU: 20
; NumVGPRsForWavesPerEU: 25
; Occupancy: 16
; WaveLimiterHint : 1
; COMPUTE_PGM_RSRC2:SCRATCH_EN: 0
; COMPUTE_PGM_RSRC2:USER_SGPR: 2
; COMPUTE_PGM_RSRC2:TRAP_HANDLER: 0
; COMPUTE_PGM_RSRC2:TGID_X_EN: 1
; COMPUTE_PGM_RSRC2:TGID_Y_EN: 0
; COMPUTE_PGM_RSRC2:TGID_Z_EN: 0
; COMPUTE_PGM_RSRC2:TIDIG_COMP_CNT: 0
	.section	.text._ZN9rocsparseL18bsrxmvn_3x3_kernelILj256ELj8EfiifffEEvT3_20rocsparse_direction_NS_24const_host_device_scalarIT1_EES1_PKS1_PKT2_SA_S7_PKT4_PKT5_S5_PT6_21rocsparse_index_base_b,"axG",@progbits,_ZN9rocsparseL18bsrxmvn_3x3_kernelILj256ELj8EfiifffEEvT3_20rocsparse_direction_NS_24const_host_device_scalarIT1_EES1_PKS1_PKT2_SA_S7_PKT4_PKT5_S5_PT6_21rocsparse_index_base_b,comdat
	.globl	_ZN9rocsparseL18bsrxmvn_3x3_kernelILj256ELj8EfiifffEEvT3_20rocsparse_direction_NS_24const_host_device_scalarIT1_EES1_PKS1_PKT2_SA_S7_PKT4_PKT5_S5_PT6_21rocsparse_index_base_b ; -- Begin function _ZN9rocsparseL18bsrxmvn_3x3_kernelILj256ELj8EfiifffEEvT3_20rocsparse_direction_NS_24const_host_device_scalarIT1_EES1_PKS1_PKT2_SA_S7_PKT4_PKT5_S5_PT6_21rocsparse_index_base_b
	.p2align	8
	.type	_ZN9rocsparseL18bsrxmvn_3x3_kernelILj256ELj8EfiifffEEvT3_20rocsparse_direction_NS_24const_host_device_scalarIT1_EES1_PKS1_PKT2_SA_S7_PKT4_PKT5_S5_PT6_21rocsparse_index_base_b,@function
_ZN9rocsparseL18bsrxmvn_3x3_kernelILj256ELj8EfiifffEEvT3_20rocsparse_direction_NS_24const_host_device_scalarIT1_EES1_PKS1_PKT2_SA_S7_PKT4_PKT5_S5_PT6_21rocsparse_index_base_b: ; @_ZN9rocsparseL18bsrxmvn_3x3_kernelILj256ELj8EfiifffEEvT3_20rocsparse_direction_NS_24const_host_device_scalarIT1_EES1_PKS1_PKT2_SA_S7_PKT4_PKT5_S5_PT6_21rocsparse_index_base_b
; %bb.0:
	s_clause 0x2
	s_load_b64 s[16:17], s[0:1], 0x58
	s_load_b64 s[14:15], s[0:1], 0x8
	;; [unrolled: 1-line block ×3, first 2 shown]
	s_wait_kmcnt 0x0
	s_bitcmp1_b32 s17, 0
	s_cselect_b32 s2, -1, 0
	s_delay_alu instid0(SALU_CYCLE_1)
	s_and_b32 vcc_lo, exec_lo, s2
	s_xor_b32 s2, s2, -1
	s_cbranch_vccnz .LBB1_2
; %bb.1:
	s_load_b32 s14, s[14:15], 0x0
.LBB1_2:
	s_and_not1_b32 vcc_lo, exec_lo, s2
	s_cbranch_vccnz .LBB1_4
; %bb.3:
	s_load_b32 s12, s[12:13], 0x0
.LBB1_4:
	s_wait_kmcnt 0x0
	s_cmp_neq_f32 s14, 0
	s_mov_b32 s6, 0
	s_cselect_b32 s2, -1, 0
	s_cmp_neq_f32 s12, 1.0
	s_cselect_b32 s3, -1, 0
	s_delay_alu instid0(SALU_CYCLE_1) | instskip(NEXT) | instid1(SALU_CYCLE_1)
	s_or_b32 s2, s2, s3
	s_and_not1_b32 vcc_lo, exec_lo, s2
	s_cbranch_vccnz .LBB1_10
; %bb.5:
	s_clause 0x1
	s_load_b64 s[4:5], s[0:1], 0x18
	s_load_b64 s[2:3], s[0:1], 0x0
	v_lshrrev_b32_e32 v1, 3, v0
	s_delay_alu instid0(VALU_DEP_1)
	v_lshl_or_b32 v1, ttmp9, 5, v1
	s_wait_kmcnt 0x0
	s_cmp_lg_u64 s[4:5], 0
	s_cbranch_scc0 .LBB1_11
; %bb.6:
	s_load_b32 s6, s[0:1], 0x10
	s_mov_b32 s7, 0
                                        ; implicit-def: $vgpr2
	s_wait_kmcnt 0x0
	v_cmp_gt_i32_e32 vcc_lo, s6, v1
	s_mov_b32 s6, 0
	s_and_saveexec_b32 s8, vcc_lo
	s_delay_alu instid0(SALU_CYCLE_1)
	s_xor_b32 s8, exec_lo, s8
	s_cbranch_execz .LBB1_8
; %bb.7:
	v_ashrrev_i32_e32 v2, 31, v1
	s_mov_b32 s6, exec_lo
	s_delay_alu instid0(VALU_DEP_1) | instskip(NEXT) | instid1(VALU_DEP_1)
	v_lshlrev_b64_e32 v[2:3], 2, v[1:2]
	v_add_co_u32 v2, vcc_lo, s4, v2
	s_delay_alu instid0(VALU_DEP_1)
	v_add_co_ci_u32_e64 v3, null, s5, v3, vcc_lo
	global_load_b32 v2, v[2:3], off
	s_wait_loadcnt 0x0
	v_subrev_nc_u32_e32 v2, s16, v2
.LBB1_8:
	s_or_b32 exec_lo, exec_lo, s8
	s_delay_alu instid0(SALU_CYCLE_1)
	s_and_b32 vcc_lo, exec_lo, s7
	s_wait_alu 0xfffe
	s_cbranch_vccz .LBB1_12
.LBB1_9:
	v_cmp_gt_i32_e32 vcc_lo, s2, v1
	s_and_not1_b32 s2, s6, exec_lo
	s_and_b32 s4, vcc_lo, exec_lo
	s_wait_alu 0xfffe
	s_or_b32 s6, s2, s4
	s_wait_alu 0xfffe
	s_and_saveexec_b32 s2, s6
	s_cbranch_execnz .LBB1_13
.LBB1_10:
	s_endpgm
.LBB1_11:
                                        ; implicit-def: $vgpr2
	s_cbranch_execnz .LBB1_9
.LBB1_12:
	v_mov_b32_e32 v1, v2
	s_and_saveexec_b32 s2, s6
	s_cbranch_execz .LBB1_10
.LBB1_13:
	s_load_b256 s[4:11], s[0:1], 0x20
	s_delay_alu instid0(VALU_DEP_1) | instskip(SKIP_1) | instid1(VALU_DEP_2)
	v_ashrrev_i32_e32 v2, 31, v1
	v_and_b32_e32 v0, 7, v0
	v_lshlrev_b64_e32 v[2:3], 2, v[1:2]
	s_wait_kmcnt 0x0
	s_delay_alu instid0(VALU_DEP_1) | instskip(SKIP_1) | instid1(VALU_DEP_2)
	v_add_co_u32 v4, vcc_lo, s4, v2
	s_wait_alu 0xfffd
	v_add_co_ci_u32_e64 v5, null, s5, v3, vcc_lo
	v_add_co_u32 v2, vcc_lo, s6, v2
	s_wait_alu 0xfffd
	v_add_co_ci_u32_e64 v3, null, s7, v3, vcc_lo
	;; [unrolled: 3-line block ×3, first 2 shown]
	s_cmp_eq_u64 s[6:7], 0
	global_load_b32 v4, v[4:5], off
	s_cselect_b32 vcc_lo, -1, 0
	s_load_b64 s[4:5], s[0:1], 0x40
	v_dual_cndmask_b32 v3, v3, v7 :: v_dual_cndmask_b32 v2, v2, v6
	s_cmp_eq_u32 s3, 1
	global_load_b32 v3, v[2:3], off
	s_wait_loadcnt 0x1
	v_subrev_nc_u32_e32 v2, s16, v4
	s_delay_alu instid0(VALU_DEP_1) | instskip(SKIP_2) | instid1(VALU_DEP_2)
	v_add_nc_u32_e32 v2, v2, v0
	s_wait_loadcnt 0x0
	v_subrev_nc_u32_e32 v13, s16, v3
	v_mad_co_i64_i32 v[4:5], null, v2, 36, s[10:11]
	s_delay_alu instid0(VALU_DEP_2)
	v_cmp_lt_i32_e64 s2, v2, v13
	s_cbranch_scc1 .LBB1_19
; %bb.14:
	v_dual_mov_b32 v10, 0 :: v_dual_mov_b32 v11, 0
	v_mov_b32_e32 v12, 0
	s_and_saveexec_b32 s3, s2
	s_cbranch_execz .LBB1_18
; %bb.15:
	v_dual_mov_b32 v10, 0 :: v_dual_mov_b32 v7, v5
	v_dual_mov_b32 v6, v4 :: v_dual_mov_b32 v11, 0
	v_mov_b32_e32 v8, v2
	v_mov_b32_e32 v12, 0
	s_mov_b32 s6, 0
.LBB1_16:                               ; =>This Inner Loop Header: Depth=1
	s_delay_alu instid0(VALU_DEP_2) | instskip(NEXT) | instid1(VALU_DEP_1)
	v_ashrrev_i32_e32 v9, 31, v8
	v_lshlrev_b64_e32 v[14:15], 2, v[8:9]
	v_add_nc_u32_e32 v8, 8, v8
	s_delay_alu instid0(VALU_DEP_2) | instskip(SKIP_1) | instid1(VALU_DEP_3)
	v_add_co_u32 v14, vcc_lo, s8, v14
	s_wait_alu 0xfffd
	v_add_co_ci_u32_e64 v15, null, s9, v15, vcc_lo
	global_load_b32 v3, v[14:15], off
	global_load_b128 v[14:17], v[6:7], off offset:16
	s_wait_loadcnt 0x1
	v_subrev_nc_u32_e32 v3, s16, v3
	s_delay_alu instid0(VALU_DEP_1) | instskip(NEXT) | instid1(VALU_DEP_1)
	v_lshl_add_u32 v18, v3, 1, v3
	v_ashrrev_i32_e32 v19, 31, v18
	s_delay_alu instid0(VALU_DEP_1) | instskip(SKIP_1) | instid1(VALU_DEP_1)
	v_lshlrev_b64_e32 v[18:19], 2, v[18:19]
	s_wait_kmcnt 0x0
	v_add_co_u32 v22, vcc_lo, s4, v18
	s_wait_alu 0xfffd
	s_delay_alu instid0(VALU_DEP_2)
	v_add_co_ci_u32_e64 v23, null, s5, v19, vcc_lo
	global_load_b128 v[18:21], v[6:7], off
	global_load_b96 v[22:24], v[22:23], off
	global_load_b32 v3, v[6:7], off offset:32
	v_add_co_u32 v6, vcc_lo, 0x120, v6
	s_wait_alu 0xfffd
	v_add_co_ci_u32_e64 v7, null, 0, v7, vcc_lo
	v_cmp_ge_i32_e32 vcc_lo, v8, v13
	s_wait_alu 0xfffe
	s_or_b32 s6, vcc_lo, s6
	s_wait_loadcnt 0x1
	v_fmac_f32_e32 v11, v21, v22
	s_delay_alu instid0(VALU_DEP_1) | instskip(SKIP_1) | instid1(VALU_DEP_2)
	v_dual_fmac_f32 v10, v16, v22 :: v_dual_fmac_f32 v11, v14, v23
	v_fmac_f32_e32 v12, v18, v22
	v_dual_fmac_f32 v10, v17, v23 :: v_dual_fmac_f32 v11, v15, v24
	s_delay_alu instid0(VALU_DEP_2) | instskip(SKIP_1) | instid1(VALU_DEP_2)
	v_fmac_f32_e32 v12, v19, v23
	s_wait_loadcnt 0x0
	v_fmac_f32_e32 v10, v3, v24
	s_delay_alu instid0(VALU_DEP_2)
	v_fmac_f32_e32 v12, v20, v24
	s_wait_alu 0xfffe
	s_and_not1_b32 exec_lo, exec_lo, s6
	s_cbranch_execnz .LBB1_16
; %bb.17:
	s_or_b32 exec_lo, exec_lo, s6
.LBB1_18:
	s_wait_alu 0xfffe
	s_or_b32 exec_lo, exec_lo, s3
	s_cbranch_execz .LBB1_20
	s_branch .LBB1_25
.LBB1_19:
                                        ; implicit-def: $vgpr10
                                        ; implicit-def: $vgpr11
                                        ; implicit-def: $vgpr12
.LBB1_20:
	v_dual_mov_b32 v10, 0 :: v_dual_mov_b32 v11, 0
	v_mov_b32_e32 v12, 0
	s_and_saveexec_b32 s3, s2
	s_cbranch_execz .LBB1_24
; %bb.21:
	v_dual_mov_b32 v10, 0 :: v_dual_mov_b32 v11, 0
	v_mov_b32_e32 v12, 0
	s_mov_b32 s2, 0
.LBB1_22:                               ; =>This Inner Loop Header: Depth=1
	v_ashrrev_i32_e32 v3, 31, v2
	s_delay_alu instid0(VALU_DEP_1) | instskip(SKIP_1) | instid1(VALU_DEP_2)
	v_lshlrev_b64_e32 v[6:7], 2, v[2:3]
	v_add_nc_u32_e32 v2, 8, v2
	v_add_co_u32 v6, vcc_lo, s8, v6
	s_wait_alu 0xfffd
	s_delay_alu instid0(VALU_DEP_3) | instskip(SKIP_4) | instid1(VALU_DEP_1)
	v_add_co_ci_u32_e64 v7, null, s9, v7, vcc_lo
	global_load_b32 v3, v[6:7], off
	global_load_b128 v[6:9], v[4:5], off offset:16
	s_wait_loadcnt 0x1
	v_subrev_nc_u32_e32 v3, s16, v3
	v_lshl_add_u32 v14, v3, 1, v3
	s_delay_alu instid0(VALU_DEP_1) | instskip(NEXT) | instid1(VALU_DEP_1)
	v_ashrrev_i32_e32 v15, 31, v14
	v_lshlrev_b64_e32 v[14:15], 2, v[14:15]
	s_wait_kmcnt 0x0
	s_delay_alu instid0(VALU_DEP_1) | instskip(SKIP_1) | instid1(VALU_DEP_2)
	v_add_co_u32 v18, vcc_lo, s4, v14
	s_wait_alu 0xfffd
	v_add_co_ci_u32_e64 v19, null, s5, v15, vcc_lo
	global_load_b128 v[14:17], v[4:5], off
	global_load_b96 v[18:20], v[18:19], off
	global_load_b32 v3, v[4:5], off offset:32
	v_add_co_u32 v4, vcc_lo, 0x120, v4
	s_wait_alu 0xfffd
	v_add_co_ci_u32_e64 v5, null, 0, v5, vcc_lo
	v_cmp_ge_i32_e32 vcc_lo, v2, v13
	s_wait_alu 0xfffe
	s_or_b32 s2, vcc_lo, s2
	s_wait_loadcnt 0x1
	v_fmac_f32_e32 v11, v15, v18
	s_delay_alu instid0(VALU_DEP_1) | instskip(SKIP_1) | instid1(VALU_DEP_2)
	v_dual_fmac_f32 v10, v16, v18 :: v_dual_fmac_f32 v11, v6, v19
	v_fmac_f32_e32 v12, v14, v18
	v_dual_fmac_f32 v10, v7, v19 :: v_dual_fmac_f32 v11, v9, v20
	s_delay_alu instid0(VALU_DEP_2) | instskip(SKIP_1) | instid1(VALU_DEP_2)
	v_fmac_f32_e32 v12, v17, v19
	s_wait_loadcnt 0x0
	v_fmac_f32_e32 v10, v3, v20
	s_delay_alu instid0(VALU_DEP_2)
	v_fmac_f32_e32 v12, v8, v20
	s_wait_alu 0xfffe
	s_and_not1_b32 exec_lo, exec_lo, s2
	s_cbranch_execnz .LBB1_22
; %bb.23:
	s_or_b32 exec_lo, exec_lo, s2
.LBB1_24:
	s_wait_alu 0xfffe
	s_or_b32 exec_lo, exec_lo, s3
.LBB1_25:
	v_mbcnt_lo_u32_b32 v2, -1, 0
	s_mov_b32 s2, -1
	s_delay_alu instid0(VALU_DEP_1) | instskip(SKIP_2) | instid1(VALU_DEP_3)
	v_xor_b32_e32 v3, 4, v2
	v_xor_b32_e32 v6, 2, v2
	;; [unrolled: 1-line block ×3, first 2 shown]
	v_cmp_gt_i32_e32 vcc_lo, 32, v3
	s_wait_alu 0xfffd
	v_cndmask_b32_e32 v3, v2, v3, vcc_lo
	v_cmp_gt_i32_e32 vcc_lo, 32, v6
	s_wait_alu 0xfffd
	v_cndmask_b32_e32 v6, v2, v6, vcc_lo
	v_cmp_gt_i32_e32 vcc_lo, 32, v9
	s_delay_alu instid0(VALU_DEP_2)
	v_lshlrev_b32_e32 v6, 2, v6
	v_lshlrev_b32_e32 v3, 2, v3
	ds_bpermute_b32 v4, v3, v12
	s_wait_dscnt 0x0
	v_add_f32_e32 v4, v12, v4
	ds_bpermute_b32 v5, v3, v11
	ds_bpermute_b32 v3, v3, v10
	s_wait_dscnt 0x1
	v_add_f32_e32 v5, v11, v5
	s_wait_dscnt 0x0
	v_add_f32_e32 v7, v10, v3
	ds_bpermute_b32 v3, v6, v4
	ds_bpermute_b32 v8, v6, v5
	;; [unrolled: 1-line block ×3, first 2 shown]
	s_wait_alu 0xfffd
	v_cndmask_b32_e32 v2, v2, v9, vcc_lo
	v_cmp_eq_u32_e32 vcc_lo, 7, v0
	s_wait_dscnt 0x2
	s_delay_alu instid0(VALU_DEP_2)
	v_dual_add_f32 v2, v4, v3 :: v_dual_lshlrev_b32 v9, 2, v2
	s_wait_dscnt 0x0
	v_dual_add_f32 v3, v5, v8 :: v_dual_add_f32 v4, v7, v6
	ds_bpermute_b32 v5, v9, v2
	ds_bpermute_b32 v6, v9, v3
	ds_bpermute_b32 v7, v9, v4
	s_and_b32 exec_lo, exec_lo, vcc_lo
	s_cbranch_execz .LBB1_10
; %bb.26:
	s_load_b64 s[0:1], s[0:1], 0x50
	s_wait_dscnt 0x2
	v_add_f32_e32 v0, v2, v5
	s_wait_dscnt 0x1
	v_add_f32_e32 v2, v3, v6
	;; [unrolled: 2-line block ×3, first 2 shown]
	v_lshl_add_u32 v3, v1, 1, v1
	s_cmp_eq_f32 s12, 0
	v_dual_mul_f32 v1, s14, v2 :: v_dual_mul_f32 v0, s14, v0
	s_delay_alu instid0(VALU_DEP_3) | instskip(NEXT) | instid1(VALU_DEP_3)
	v_mul_f32_e32 v2, s14, v4
	v_ashrrev_i32_e32 v4, 31, v3
	s_cbranch_scc0 .LBB1_28
; %bb.27:
	s_delay_alu instid0(VALU_DEP_1) | instskip(SKIP_2) | instid1(VALU_DEP_1)
	v_lshlrev_b64_e32 v[5:6], 2, v[3:4]
	s_mov_b32 s2, 0
	s_wait_kmcnt 0x0
	v_add_co_u32 v5, vcc_lo, s0, v5
	s_wait_alu 0xfffd
	s_delay_alu instid0(VALU_DEP_2)
	v_add_co_ci_u32_e64 v6, null, s1, v6, vcc_lo
	global_store_b96 v[5:6], v[0:2], off
.LBB1_28:
	s_wait_alu 0xfffe
	s_and_not1_b32 vcc_lo, exec_lo, s2
	s_wait_alu 0xfffe
	s_cbranch_vccnz .LBB1_10
; %bb.29:
	v_lshlrev_b64_e32 v[3:4], 2, v[3:4]
	s_wait_kmcnt 0x0
	s_delay_alu instid0(VALU_DEP_1) | instskip(SKIP_1) | instid1(VALU_DEP_2)
	v_add_co_u32 v6, vcc_lo, s0, v3
	s_wait_alu 0xfffd
	v_add_co_ci_u32_e64 v7, null, s1, v4, vcc_lo
	global_load_b96 v[3:5], v[6:7], off
	s_wait_loadcnt 0x0
	v_dual_fmac_f32 v0, s12, v3 :: v_dual_fmac_f32 v1, s12, v4
	v_fmac_f32_e32 v2, s12, v5
	global_store_b96 v[6:7], v[0:2], off
	s_endpgm
	.section	.rodata,"a",@progbits
	.p2align	6, 0x0
	.amdhsa_kernel _ZN9rocsparseL18bsrxmvn_3x3_kernelILj256ELj8EfiifffEEvT3_20rocsparse_direction_NS_24const_host_device_scalarIT1_EES1_PKS1_PKT2_SA_S7_PKT4_PKT5_S5_PT6_21rocsparse_index_base_b
		.amdhsa_group_segment_fixed_size 0
		.amdhsa_private_segment_fixed_size 0
		.amdhsa_kernarg_size 96
		.amdhsa_user_sgpr_count 2
		.amdhsa_user_sgpr_dispatch_ptr 0
		.amdhsa_user_sgpr_queue_ptr 0
		.amdhsa_user_sgpr_kernarg_segment_ptr 1
		.amdhsa_user_sgpr_dispatch_id 0
		.amdhsa_user_sgpr_private_segment_size 0
		.amdhsa_wavefront_size32 1
		.amdhsa_uses_dynamic_stack 0
		.amdhsa_enable_private_segment 0
		.amdhsa_system_sgpr_workgroup_id_x 1
		.amdhsa_system_sgpr_workgroup_id_y 0
		.amdhsa_system_sgpr_workgroup_id_z 0
		.amdhsa_system_sgpr_workgroup_info 0
		.amdhsa_system_vgpr_workitem_id 0
		.amdhsa_next_free_vgpr 25
		.amdhsa_next_free_sgpr 18
		.amdhsa_reserve_vcc 1
		.amdhsa_float_round_mode_32 0
		.amdhsa_float_round_mode_16_64 0
		.amdhsa_float_denorm_mode_32 3
		.amdhsa_float_denorm_mode_16_64 3
		.amdhsa_fp16_overflow 0
		.amdhsa_workgroup_processor_mode 1
		.amdhsa_memory_ordered 1
		.amdhsa_forward_progress 1
		.amdhsa_inst_pref_size 13
		.amdhsa_round_robin_scheduling 0
		.amdhsa_exception_fp_ieee_invalid_op 0
		.amdhsa_exception_fp_denorm_src 0
		.amdhsa_exception_fp_ieee_div_zero 0
		.amdhsa_exception_fp_ieee_overflow 0
		.amdhsa_exception_fp_ieee_underflow 0
		.amdhsa_exception_fp_ieee_inexact 0
		.amdhsa_exception_int_div_zero 0
	.end_amdhsa_kernel
	.section	.text._ZN9rocsparseL18bsrxmvn_3x3_kernelILj256ELj8EfiifffEEvT3_20rocsparse_direction_NS_24const_host_device_scalarIT1_EES1_PKS1_PKT2_SA_S7_PKT4_PKT5_S5_PT6_21rocsparse_index_base_b,"axG",@progbits,_ZN9rocsparseL18bsrxmvn_3x3_kernelILj256ELj8EfiifffEEvT3_20rocsparse_direction_NS_24const_host_device_scalarIT1_EES1_PKS1_PKT2_SA_S7_PKT4_PKT5_S5_PT6_21rocsparse_index_base_b,comdat
.Lfunc_end1:
	.size	_ZN9rocsparseL18bsrxmvn_3x3_kernelILj256ELj8EfiifffEEvT3_20rocsparse_direction_NS_24const_host_device_scalarIT1_EES1_PKS1_PKT2_SA_S7_PKT4_PKT5_S5_PT6_21rocsparse_index_base_b, .Lfunc_end1-_ZN9rocsparseL18bsrxmvn_3x3_kernelILj256ELj8EfiifffEEvT3_20rocsparse_direction_NS_24const_host_device_scalarIT1_EES1_PKS1_PKT2_SA_S7_PKT4_PKT5_S5_PT6_21rocsparse_index_base_b
                                        ; -- End function
	.set _ZN9rocsparseL18bsrxmvn_3x3_kernelILj256ELj8EfiifffEEvT3_20rocsparse_direction_NS_24const_host_device_scalarIT1_EES1_PKS1_PKT2_SA_S7_PKT4_PKT5_S5_PT6_21rocsparse_index_base_b.num_vgpr, 25
	.set _ZN9rocsparseL18bsrxmvn_3x3_kernelILj256ELj8EfiifffEEvT3_20rocsparse_direction_NS_24const_host_device_scalarIT1_EES1_PKS1_PKT2_SA_S7_PKT4_PKT5_S5_PT6_21rocsparse_index_base_b.num_agpr, 0
	.set _ZN9rocsparseL18bsrxmvn_3x3_kernelILj256ELj8EfiifffEEvT3_20rocsparse_direction_NS_24const_host_device_scalarIT1_EES1_PKS1_PKT2_SA_S7_PKT4_PKT5_S5_PT6_21rocsparse_index_base_b.numbered_sgpr, 18
	.set _ZN9rocsparseL18bsrxmvn_3x3_kernelILj256ELj8EfiifffEEvT3_20rocsparse_direction_NS_24const_host_device_scalarIT1_EES1_PKS1_PKT2_SA_S7_PKT4_PKT5_S5_PT6_21rocsparse_index_base_b.num_named_barrier, 0
	.set _ZN9rocsparseL18bsrxmvn_3x3_kernelILj256ELj8EfiifffEEvT3_20rocsparse_direction_NS_24const_host_device_scalarIT1_EES1_PKS1_PKT2_SA_S7_PKT4_PKT5_S5_PT6_21rocsparse_index_base_b.private_seg_size, 0
	.set _ZN9rocsparseL18bsrxmvn_3x3_kernelILj256ELj8EfiifffEEvT3_20rocsparse_direction_NS_24const_host_device_scalarIT1_EES1_PKS1_PKT2_SA_S7_PKT4_PKT5_S5_PT6_21rocsparse_index_base_b.uses_vcc, 1
	.set _ZN9rocsparseL18bsrxmvn_3x3_kernelILj256ELj8EfiifffEEvT3_20rocsparse_direction_NS_24const_host_device_scalarIT1_EES1_PKS1_PKT2_SA_S7_PKT4_PKT5_S5_PT6_21rocsparse_index_base_b.uses_flat_scratch, 0
	.set _ZN9rocsparseL18bsrxmvn_3x3_kernelILj256ELj8EfiifffEEvT3_20rocsparse_direction_NS_24const_host_device_scalarIT1_EES1_PKS1_PKT2_SA_S7_PKT4_PKT5_S5_PT6_21rocsparse_index_base_b.has_dyn_sized_stack, 0
	.set _ZN9rocsparseL18bsrxmvn_3x3_kernelILj256ELj8EfiifffEEvT3_20rocsparse_direction_NS_24const_host_device_scalarIT1_EES1_PKS1_PKT2_SA_S7_PKT4_PKT5_S5_PT6_21rocsparse_index_base_b.has_recursion, 0
	.set _ZN9rocsparseL18bsrxmvn_3x3_kernelILj256ELj8EfiifffEEvT3_20rocsparse_direction_NS_24const_host_device_scalarIT1_EES1_PKS1_PKT2_SA_S7_PKT4_PKT5_S5_PT6_21rocsparse_index_base_b.has_indirect_call, 0
	.section	.AMDGPU.csdata,"",@progbits
; Kernel info:
; codeLenInByte = 1592
; TotalNumSgprs: 20
; NumVgprs: 25
; ScratchSize: 0
; MemoryBound: 0
; FloatMode: 240
; IeeeMode: 1
; LDSByteSize: 0 bytes/workgroup (compile time only)
; SGPRBlocks: 0
; VGPRBlocks: 3
; NumSGPRsForWavesPerEU: 20
; NumVGPRsForWavesPerEU: 25
; Occupancy: 16
; WaveLimiterHint : 1
; COMPUTE_PGM_RSRC2:SCRATCH_EN: 0
; COMPUTE_PGM_RSRC2:USER_SGPR: 2
; COMPUTE_PGM_RSRC2:TRAP_HANDLER: 0
; COMPUTE_PGM_RSRC2:TGID_X_EN: 1
; COMPUTE_PGM_RSRC2:TGID_Y_EN: 0
; COMPUTE_PGM_RSRC2:TGID_Z_EN: 0
; COMPUTE_PGM_RSRC2:TIDIG_COMP_CNT: 0
	.section	.text._ZN9rocsparseL18bsrxmvn_3x3_kernelILj256ELj16EfiifffEEvT3_20rocsparse_direction_NS_24const_host_device_scalarIT1_EES1_PKS1_PKT2_SA_S7_PKT4_PKT5_S5_PT6_21rocsparse_index_base_b,"axG",@progbits,_ZN9rocsparseL18bsrxmvn_3x3_kernelILj256ELj16EfiifffEEvT3_20rocsparse_direction_NS_24const_host_device_scalarIT1_EES1_PKS1_PKT2_SA_S7_PKT4_PKT5_S5_PT6_21rocsparse_index_base_b,comdat
	.globl	_ZN9rocsparseL18bsrxmvn_3x3_kernelILj256ELj16EfiifffEEvT3_20rocsparse_direction_NS_24const_host_device_scalarIT1_EES1_PKS1_PKT2_SA_S7_PKT4_PKT5_S5_PT6_21rocsparse_index_base_b ; -- Begin function _ZN9rocsparseL18bsrxmvn_3x3_kernelILj256ELj16EfiifffEEvT3_20rocsparse_direction_NS_24const_host_device_scalarIT1_EES1_PKS1_PKT2_SA_S7_PKT4_PKT5_S5_PT6_21rocsparse_index_base_b
	.p2align	8
	.type	_ZN9rocsparseL18bsrxmvn_3x3_kernelILj256ELj16EfiifffEEvT3_20rocsparse_direction_NS_24const_host_device_scalarIT1_EES1_PKS1_PKT2_SA_S7_PKT4_PKT5_S5_PT6_21rocsparse_index_base_b,@function
_ZN9rocsparseL18bsrxmvn_3x3_kernelILj256ELj16EfiifffEEvT3_20rocsparse_direction_NS_24const_host_device_scalarIT1_EES1_PKS1_PKT2_SA_S7_PKT4_PKT5_S5_PT6_21rocsparse_index_base_b: ; @_ZN9rocsparseL18bsrxmvn_3x3_kernelILj256ELj16EfiifffEEvT3_20rocsparse_direction_NS_24const_host_device_scalarIT1_EES1_PKS1_PKT2_SA_S7_PKT4_PKT5_S5_PT6_21rocsparse_index_base_b
; %bb.0:
	s_clause 0x2
	s_load_b64 s[16:17], s[0:1], 0x58
	s_load_b64 s[14:15], s[0:1], 0x8
	;; [unrolled: 1-line block ×3, first 2 shown]
	s_wait_kmcnt 0x0
	s_bitcmp1_b32 s17, 0
	s_cselect_b32 s2, -1, 0
	s_delay_alu instid0(SALU_CYCLE_1)
	s_and_b32 vcc_lo, exec_lo, s2
	s_xor_b32 s2, s2, -1
	s_cbranch_vccnz .LBB2_2
; %bb.1:
	s_load_b32 s14, s[14:15], 0x0
.LBB2_2:
	s_and_not1_b32 vcc_lo, exec_lo, s2
	s_cbranch_vccnz .LBB2_4
; %bb.3:
	s_load_b32 s12, s[12:13], 0x0
.LBB2_4:
	s_wait_kmcnt 0x0
	s_cmp_neq_f32 s14, 0
	s_mov_b32 s6, 0
	s_cselect_b32 s2, -1, 0
	s_cmp_neq_f32 s12, 1.0
	s_cselect_b32 s3, -1, 0
	s_delay_alu instid0(SALU_CYCLE_1) | instskip(NEXT) | instid1(SALU_CYCLE_1)
	s_or_b32 s2, s2, s3
	s_and_not1_b32 vcc_lo, exec_lo, s2
	s_cbranch_vccnz .LBB2_10
; %bb.5:
	s_clause 0x1
	s_load_b64 s[4:5], s[0:1], 0x18
	s_load_b64 s[2:3], s[0:1], 0x0
	v_lshrrev_b32_e32 v1, 4, v0
	s_delay_alu instid0(VALU_DEP_1)
	v_lshl_or_b32 v1, ttmp9, 4, v1
	s_wait_kmcnt 0x0
	s_cmp_lg_u64 s[4:5], 0
	s_cbranch_scc0 .LBB2_11
; %bb.6:
	s_load_b32 s6, s[0:1], 0x10
	s_mov_b32 s7, 0
                                        ; implicit-def: $vgpr2
	s_wait_kmcnt 0x0
	v_cmp_gt_i32_e32 vcc_lo, s6, v1
	s_mov_b32 s6, 0
	s_and_saveexec_b32 s8, vcc_lo
	s_delay_alu instid0(SALU_CYCLE_1)
	s_xor_b32 s8, exec_lo, s8
	s_cbranch_execz .LBB2_8
; %bb.7:
	v_ashrrev_i32_e32 v2, 31, v1
	s_mov_b32 s6, exec_lo
	s_delay_alu instid0(VALU_DEP_1) | instskip(NEXT) | instid1(VALU_DEP_1)
	v_lshlrev_b64_e32 v[2:3], 2, v[1:2]
	v_add_co_u32 v2, vcc_lo, s4, v2
	s_delay_alu instid0(VALU_DEP_1)
	v_add_co_ci_u32_e64 v3, null, s5, v3, vcc_lo
	global_load_b32 v2, v[2:3], off
	s_wait_loadcnt 0x0
	v_subrev_nc_u32_e32 v2, s16, v2
.LBB2_8:
	s_or_b32 exec_lo, exec_lo, s8
	s_delay_alu instid0(SALU_CYCLE_1)
	s_and_b32 vcc_lo, exec_lo, s7
	s_wait_alu 0xfffe
	s_cbranch_vccz .LBB2_12
.LBB2_9:
	v_cmp_gt_i32_e32 vcc_lo, s2, v1
	s_and_not1_b32 s2, s6, exec_lo
	s_and_b32 s4, vcc_lo, exec_lo
	s_wait_alu 0xfffe
	s_or_b32 s6, s2, s4
	s_wait_alu 0xfffe
	s_and_saveexec_b32 s2, s6
	s_cbranch_execnz .LBB2_13
.LBB2_10:
	s_endpgm
.LBB2_11:
                                        ; implicit-def: $vgpr2
	s_cbranch_execnz .LBB2_9
.LBB2_12:
	v_mov_b32_e32 v1, v2
	s_and_saveexec_b32 s2, s6
	s_cbranch_execz .LBB2_10
.LBB2_13:
	s_load_b256 s[4:11], s[0:1], 0x20
	s_delay_alu instid0(VALU_DEP_1) | instskip(SKIP_1) | instid1(VALU_DEP_2)
	v_ashrrev_i32_e32 v2, 31, v1
	v_and_b32_e32 v0, 15, v0
	v_lshlrev_b64_e32 v[2:3], 2, v[1:2]
	s_wait_kmcnt 0x0
	s_delay_alu instid0(VALU_DEP_1) | instskip(SKIP_1) | instid1(VALU_DEP_2)
	v_add_co_u32 v4, vcc_lo, s4, v2
	s_wait_alu 0xfffd
	v_add_co_ci_u32_e64 v5, null, s5, v3, vcc_lo
	v_add_co_u32 v2, vcc_lo, s6, v2
	s_wait_alu 0xfffd
	v_add_co_ci_u32_e64 v3, null, s7, v3, vcc_lo
	v_add_co_u32 v6, vcc_lo, v4, 4
	s_wait_alu 0xfffd
	v_add_co_ci_u32_e64 v7, null, 0, v5, vcc_lo
	s_cmp_eq_u64 s[6:7], 0
	global_load_b32 v4, v[4:5], off
	s_cselect_b32 vcc_lo, -1, 0
	s_load_b64 s[4:5], s[0:1], 0x40
	v_dual_cndmask_b32 v3, v3, v7 :: v_dual_cndmask_b32 v2, v2, v6
	s_cmp_eq_u32 s3, 1
	global_load_b32 v3, v[2:3], off
	s_wait_loadcnt 0x1
	v_subrev_nc_u32_e32 v2, s16, v4
	s_delay_alu instid0(VALU_DEP_1) | instskip(SKIP_2) | instid1(VALU_DEP_2)
	v_add_nc_u32_e32 v2, v2, v0
	s_wait_loadcnt 0x0
	v_subrev_nc_u32_e32 v13, s16, v3
	v_mad_co_i64_i32 v[4:5], null, v2, 36, s[10:11]
	s_delay_alu instid0(VALU_DEP_2)
	v_cmp_lt_i32_e64 s2, v2, v13
	s_cbranch_scc1 .LBB2_19
; %bb.14:
	v_dual_mov_b32 v10, 0 :: v_dual_mov_b32 v11, 0
	v_mov_b32_e32 v12, 0
	s_and_saveexec_b32 s3, s2
	s_cbranch_execz .LBB2_18
; %bb.15:
	v_dual_mov_b32 v10, 0 :: v_dual_mov_b32 v7, v5
	v_dual_mov_b32 v6, v4 :: v_dual_mov_b32 v11, 0
	v_mov_b32_e32 v8, v2
	v_mov_b32_e32 v12, 0
	s_mov_b32 s6, 0
.LBB2_16:                               ; =>This Inner Loop Header: Depth=1
	s_delay_alu instid0(VALU_DEP_2) | instskip(NEXT) | instid1(VALU_DEP_1)
	v_ashrrev_i32_e32 v9, 31, v8
	v_lshlrev_b64_e32 v[14:15], 2, v[8:9]
	v_add_nc_u32_e32 v8, 16, v8
	s_delay_alu instid0(VALU_DEP_2) | instskip(SKIP_1) | instid1(VALU_DEP_3)
	v_add_co_u32 v14, vcc_lo, s8, v14
	s_wait_alu 0xfffd
	v_add_co_ci_u32_e64 v15, null, s9, v15, vcc_lo
	global_load_b32 v3, v[14:15], off
	global_load_b128 v[14:17], v[6:7], off offset:16
	s_wait_loadcnt 0x1
	v_subrev_nc_u32_e32 v3, s16, v3
	s_delay_alu instid0(VALU_DEP_1) | instskip(NEXT) | instid1(VALU_DEP_1)
	v_lshl_add_u32 v18, v3, 1, v3
	v_ashrrev_i32_e32 v19, 31, v18
	s_delay_alu instid0(VALU_DEP_1) | instskip(SKIP_1) | instid1(VALU_DEP_1)
	v_lshlrev_b64_e32 v[18:19], 2, v[18:19]
	s_wait_kmcnt 0x0
	v_add_co_u32 v22, vcc_lo, s4, v18
	s_wait_alu 0xfffd
	s_delay_alu instid0(VALU_DEP_2)
	v_add_co_ci_u32_e64 v23, null, s5, v19, vcc_lo
	global_load_b128 v[18:21], v[6:7], off
	global_load_b96 v[22:24], v[22:23], off
	global_load_b32 v3, v[6:7], off offset:32
	v_add_co_u32 v6, vcc_lo, 0x240, v6
	s_wait_alu 0xfffd
	v_add_co_ci_u32_e64 v7, null, 0, v7, vcc_lo
	v_cmp_ge_i32_e32 vcc_lo, v8, v13
	s_wait_alu 0xfffe
	s_or_b32 s6, vcc_lo, s6
	s_wait_loadcnt 0x1
	v_fmac_f32_e32 v11, v21, v22
	s_delay_alu instid0(VALU_DEP_1) | instskip(SKIP_1) | instid1(VALU_DEP_2)
	v_dual_fmac_f32 v10, v16, v22 :: v_dual_fmac_f32 v11, v14, v23
	v_fmac_f32_e32 v12, v18, v22
	v_dual_fmac_f32 v10, v17, v23 :: v_dual_fmac_f32 v11, v15, v24
	s_delay_alu instid0(VALU_DEP_2) | instskip(SKIP_1) | instid1(VALU_DEP_2)
	v_fmac_f32_e32 v12, v19, v23
	s_wait_loadcnt 0x0
	v_fmac_f32_e32 v10, v3, v24
	s_delay_alu instid0(VALU_DEP_2)
	v_fmac_f32_e32 v12, v20, v24
	s_wait_alu 0xfffe
	s_and_not1_b32 exec_lo, exec_lo, s6
	s_cbranch_execnz .LBB2_16
; %bb.17:
	s_or_b32 exec_lo, exec_lo, s6
.LBB2_18:
	s_wait_alu 0xfffe
	s_or_b32 exec_lo, exec_lo, s3
	s_cbranch_execz .LBB2_20
	s_branch .LBB2_25
.LBB2_19:
                                        ; implicit-def: $vgpr10
                                        ; implicit-def: $vgpr11
                                        ; implicit-def: $vgpr12
.LBB2_20:
	v_dual_mov_b32 v10, 0 :: v_dual_mov_b32 v11, 0
	v_mov_b32_e32 v12, 0
	s_and_saveexec_b32 s3, s2
	s_cbranch_execz .LBB2_24
; %bb.21:
	v_dual_mov_b32 v10, 0 :: v_dual_mov_b32 v11, 0
	v_mov_b32_e32 v12, 0
	s_mov_b32 s2, 0
.LBB2_22:                               ; =>This Inner Loop Header: Depth=1
	v_ashrrev_i32_e32 v3, 31, v2
	s_delay_alu instid0(VALU_DEP_1) | instskip(SKIP_1) | instid1(VALU_DEP_2)
	v_lshlrev_b64_e32 v[6:7], 2, v[2:3]
	v_add_nc_u32_e32 v2, 16, v2
	v_add_co_u32 v6, vcc_lo, s8, v6
	s_wait_alu 0xfffd
	s_delay_alu instid0(VALU_DEP_3) | instskip(SKIP_4) | instid1(VALU_DEP_1)
	v_add_co_ci_u32_e64 v7, null, s9, v7, vcc_lo
	global_load_b32 v3, v[6:7], off
	global_load_b128 v[6:9], v[4:5], off offset:16
	s_wait_loadcnt 0x1
	v_subrev_nc_u32_e32 v3, s16, v3
	v_lshl_add_u32 v14, v3, 1, v3
	s_delay_alu instid0(VALU_DEP_1) | instskip(NEXT) | instid1(VALU_DEP_1)
	v_ashrrev_i32_e32 v15, 31, v14
	v_lshlrev_b64_e32 v[14:15], 2, v[14:15]
	s_wait_kmcnt 0x0
	s_delay_alu instid0(VALU_DEP_1) | instskip(SKIP_1) | instid1(VALU_DEP_2)
	v_add_co_u32 v18, vcc_lo, s4, v14
	s_wait_alu 0xfffd
	v_add_co_ci_u32_e64 v19, null, s5, v15, vcc_lo
	global_load_b128 v[14:17], v[4:5], off
	global_load_b96 v[18:20], v[18:19], off
	global_load_b32 v3, v[4:5], off offset:32
	v_add_co_u32 v4, vcc_lo, 0x240, v4
	s_wait_alu 0xfffd
	v_add_co_ci_u32_e64 v5, null, 0, v5, vcc_lo
	v_cmp_ge_i32_e32 vcc_lo, v2, v13
	s_wait_alu 0xfffe
	s_or_b32 s2, vcc_lo, s2
	s_wait_loadcnt 0x1
	v_fmac_f32_e32 v11, v15, v18
	s_delay_alu instid0(VALU_DEP_1) | instskip(SKIP_1) | instid1(VALU_DEP_2)
	v_dual_fmac_f32 v10, v16, v18 :: v_dual_fmac_f32 v11, v6, v19
	v_fmac_f32_e32 v12, v14, v18
	v_dual_fmac_f32 v10, v7, v19 :: v_dual_fmac_f32 v11, v9, v20
	s_delay_alu instid0(VALU_DEP_2) | instskip(SKIP_1) | instid1(VALU_DEP_2)
	v_fmac_f32_e32 v12, v17, v19
	s_wait_loadcnt 0x0
	v_fmac_f32_e32 v10, v3, v20
	s_delay_alu instid0(VALU_DEP_2)
	v_fmac_f32_e32 v12, v8, v20
	s_wait_alu 0xfffe
	s_and_not1_b32 exec_lo, exec_lo, s2
	s_cbranch_execnz .LBB2_22
; %bb.23:
	s_or_b32 exec_lo, exec_lo, s2
.LBB2_24:
	s_wait_alu 0xfffe
	s_or_b32 exec_lo, exec_lo, s3
.LBB2_25:
	v_mbcnt_lo_u32_b32 v2, -1, 0
	s_mov_b32 s2, -1
	s_delay_alu instid0(VALU_DEP_1) | instskip(SKIP_2) | instid1(VALU_DEP_3)
	v_xor_b32_e32 v3, 8, v2
	v_xor_b32_e32 v6, 4, v2
	;; [unrolled: 1-line block ×3, first 2 shown]
	v_cmp_gt_i32_e32 vcc_lo, 32, v3
	s_wait_alu 0xfffd
	v_cndmask_b32_e32 v3, v2, v3, vcc_lo
	v_cmp_gt_i32_e32 vcc_lo, 32, v6
	s_wait_alu 0xfffd
	v_cndmask_b32_e32 v6, v2, v6, vcc_lo
	v_cmp_gt_i32_e32 vcc_lo, 32, v9
	s_delay_alu instid0(VALU_DEP_2)
	v_lshlrev_b32_e32 v6, 2, v6
	v_lshlrev_b32_e32 v3, 2, v3
	ds_bpermute_b32 v4, v3, v12
	s_wait_dscnt 0x0
	v_add_f32_e32 v4, v12, v4
	ds_bpermute_b32 v5, v3, v11
	ds_bpermute_b32 v3, v3, v10
	;; [unrolled: 1-line block ×3, first 2 shown]
	s_wait_alu 0xfffd
	v_cndmask_b32_e32 v9, v2, v9, vcc_lo
	s_wait_dscnt 0x2
	v_add_f32_e32 v5, v11, v5
	s_wait_dscnt 0x1
	v_add_f32_e32 v3, v10, v3
	;; [unrolled: 2-line block ×3, first 2 shown]
	ds_bpermute_b32 v8, v6, v5
	ds_bpermute_b32 v6, v6, v3
	v_lshlrev_b32_e32 v9, 2, v9
	s_wait_dscnt 0x0
	v_dual_add_f32 v5, v5, v8 :: v_dual_add_f32 v6, v3, v6
	ds_bpermute_b32 v3, v9, v4
	ds_bpermute_b32 v7, v9, v5
	;; [unrolled: 1-line block ×3, first 2 shown]
	v_xor_b32_e32 v9, 1, v2
	s_delay_alu instid0(VALU_DEP_1) | instskip(SKIP_4) | instid1(VALU_DEP_2)
	v_cmp_gt_i32_e32 vcc_lo, 32, v9
	s_wait_alu 0xfffd
	v_cndmask_b32_e32 v2, v2, v9, vcc_lo
	v_cmp_eq_u32_e32 vcc_lo, 15, v0
	s_wait_dscnt 0x2
	v_dual_add_f32 v2, v4, v3 :: v_dual_lshlrev_b32 v9, 2, v2
	s_wait_dscnt 0x0
	v_dual_add_f32 v3, v5, v7 :: v_dual_add_f32 v4, v6, v8
	ds_bpermute_b32 v5, v9, v2
	ds_bpermute_b32 v6, v9, v3
	;; [unrolled: 1-line block ×3, first 2 shown]
	s_and_b32 exec_lo, exec_lo, vcc_lo
	s_cbranch_execz .LBB2_10
; %bb.26:
	s_load_b64 s[0:1], s[0:1], 0x50
	s_wait_dscnt 0x2
	v_add_f32_e32 v0, v2, v5
	s_wait_dscnt 0x1
	v_add_f32_e32 v2, v3, v6
	;; [unrolled: 2-line block ×3, first 2 shown]
	v_lshl_add_u32 v3, v1, 1, v1
	s_cmp_eq_f32 s12, 0
	v_dual_mul_f32 v1, s14, v2 :: v_dual_mul_f32 v0, s14, v0
	s_delay_alu instid0(VALU_DEP_3) | instskip(NEXT) | instid1(VALU_DEP_3)
	v_mul_f32_e32 v2, s14, v4
	v_ashrrev_i32_e32 v4, 31, v3
	s_cbranch_scc0 .LBB2_28
; %bb.27:
	s_delay_alu instid0(VALU_DEP_1) | instskip(SKIP_2) | instid1(VALU_DEP_1)
	v_lshlrev_b64_e32 v[5:6], 2, v[3:4]
	s_mov_b32 s2, 0
	s_wait_kmcnt 0x0
	v_add_co_u32 v5, vcc_lo, s0, v5
	s_wait_alu 0xfffd
	s_delay_alu instid0(VALU_DEP_2)
	v_add_co_ci_u32_e64 v6, null, s1, v6, vcc_lo
	global_store_b96 v[5:6], v[0:2], off
.LBB2_28:
	s_wait_alu 0xfffe
	s_and_not1_b32 vcc_lo, exec_lo, s2
	s_wait_alu 0xfffe
	s_cbranch_vccnz .LBB2_10
; %bb.29:
	v_lshlrev_b64_e32 v[3:4], 2, v[3:4]
	s_wait_kmcnt 0x0
	s_delay_alu instid0(VALU_DEP_1) | instskip(SKIP_1) | instid1(VALU_DEP_2)
	v_add_co_u32 v6, vcc_lo, s0, v3
	s_wait_alu 0xfffd
	v_add_co_ci_u32_e64 v7, null, s1, v4, vcc_lo
	global_load_b96 v[3:5], v[6:7], off
	s_wait_loadcnt 0x0
	v_dual_fmac_f32 v0, s12, v3 :: v_dual_fmac_f32 v1, s12, v4
	v_fmac_f32_e32 v2, s12, v5
	global_store_b96 v[6:7], v[0:2], off
	s_endpgm
	.section	.rodata,"a",@progbits
	.p2align	6, 0x0
	.amdhsa_kernel _ZN9rocsparseL18bsrxmvn_3x3_kernelILj256ELj16EfiifffEEvT3_20rocsparse_direction_NS_24const_host_device_scalarIT1_EES1_PKS1_PKT2_SA_S7_PKT4_PKT5_S5_PT6_21rocsparse_index_base_b
		.amdhsa_group_segment_fixed_size 0
		.amdhsa_private_segment_fixed_size 0
		.amdhsa_kernarg_size 96
		.amdhsa_user_sgpr_count 2
		.amdhsa_user_sgpr_dispatch_ptr 0
		.amdhsa_user_sgpr_queue_ptr 0
		.amdhsa_user_sgpr_kernarg_segment_ptr 1
		.amdhsa_user_sgpr_dispatch_id 0
		.amdhsa_user_sgpr_private_segment_size 0
		.amdhsa_wavefront_size32 1
		.amdhsa_uses_dynamic_stack 0
		.amdhsa_enable_private_segment 0
		.amdhsa_system_sgpr_workgroup_id_x 1
		.amdhsa_system_sgpr_workgroup_id_y 0
		.amdhsa_system_sgpr_workgroup_id_z 0
		.amdhsa_system_sgpr_workgroup_info 0
		.amdhsa_system_vgpr_workitem_id 0
		.amdhsa_next_free_vgpr 25
		.amdhsa_next_free_sgpr 18
		.amdhsa_reserve_vcc 1
		.amdhsa_float_round_mode_32 0
		.amdhsa_float_round_mode_16_64 0
		.amdhsa_float_denorm_mode_32 3
		.amdhsa_float_denorm_mode_16_64 3
		.amdhsa_fp16_overflow 0
		.amdhsa_workgroup_processor_mode 1
		.amdhsa_memory_ordered 1
		.amdhsa_forward_progress 1
		.amdhsa_inst_pref_size 13
		.amdhsa_round_robin_scheduling 0
		.amdhsa_exception_fp_ieee_invalid_op 0
		.amdhsa_exception_fp_denorm_src 0
		.amdhsa_exception_fp_ieee_div_zero 0
		.amdhsa_exception_fp_ieee_overflow 0
		.amdhsa_exception_fp_ieee_underflow 0
		.amdhsa_exception_fp_ieee_inexact 0
		.amdhsa_exception_int_div_zero 0
	.end_amdhsa_kernel
	.section	.text._ZN9rocsparseL18bsrxmvn_3x3_kernelILj256ELj16EfiifffEEvT3_20rocsparse_direction_NS_24const_host_device_scalarIT1_EES1_PKS1_PKT2_SA_S7_PKT4_PKT5_S5_PT6_21rocsparse_index_base_b,"axG",@progbits,_ZN9rocsparseL18bsrxmvn_3x3_kernelILj256ELj16EfiifffEEvT3_20rocsparse_direction_NS_24const_host_device_scalarIT1_EES1_PKS1_PKT2_SA_S7_PKT4_PKT5_S5_PT6_21rocsparse_index_base_b,comdat
.Lfunc_end2:
	.size	_ZN9rocsparseL18bsrxmvn_3x3_kernelILj256ELj16EfiifffEEvT3_20rocsparse_direction_NS_24const_host_device_scalarIT1_EES1_PKS1_PKT2_SA_S7_PKT4_PKT5_S5_PT6_21rocsparse_index_base_b, .Lfunc_end2-_ZN9rocsparseL18bsrxmvn_3x3_kernelILj256ELj16EfiifffEEvT3_20rocsparse_direction_NS_24const_host_device_scalarIT1_EES1_PKS1_PKT2_SA_S7_PKT4_PKT5_S5_PT6_21rocsparse_index_base_b
                                        ; -- End function
	.set _ZN9rocsparseL18bsrxmvn_3x3_kernelILj256ELj16EfiifffEEvT3_20rocsparse_direction_NS_24const_host_device_scalarIT1_EES1_PKS1_PKT2_SA_S7_PKT4_PKT5_S5_PT6_21rocsparse_index_base_b.num_vgpr, 25
	.set _ZN9rocsparseL18bsrxmvn_3x3_kernelILj256ELj16EfiifffEEvT3_20rocsparse_direction_NS_24const_host_device_scalarIT1_EES1_PKS1_PKT2_SA_S7_PKT4_PKT5_S5_PT6_21rocsparse_index_base_b.num_agpr, 0
	.set _ZN9rocsparseL18bsrxmvn_3x3_kernelILj256ELj16EfiifffEEvT3_20rocsparse_direction_NS_24const_host_device_scalarIT1_EES1_PKS1_PKT2_SA_S7_PKT4_PKT5_S5_PT6_21rocsparse_index_base_b.numbered_sgpr, 18
	.set _ZN9rocsparseL18bsrxmvn_3x3_kernelILj256ELj16EfiifffEEvT3_20rocsparse_direction_NS_24const_host_device_scalarIT1_EES1_PKS1_PKT2_SA_S7_PKT4_PKT5_S5_PT6_21rocsparse_index_base_b.num_named_barrier, 0
	.set _ZN9rocsparseL18bsrxmvn_3x3_kernelILj256ELj16EfiifffEEvT3_20rocsparse_direction_NS_24const_host_device_scalarIT1_EES1_PKS1_PKT2_SA_S7_PKT4_PKT5_S5_PT6_21rocsparse_index_base_b.private_seg_size, 0
	.set _ZN9rocsparseL18bsrxmvn_3x3_kernelILj256ELj16EfiifffEEvT3_20rocsparse_direction_NS_24const_host_device_scalarIT1_EES1_PKS1_PKT2_SA_S7_PKT4_PKT5_S5_PT6_21rocsparse_index_base_b.uses_vcc, 1
	.set _ZN9rocsparseL18bsrxmvn_3x3_kernelILj256ELj16EfiifffEEvT3_20rocsparse_direction_NS_24const_host_device_scalarIT1_EES1_PKS1_PKT2_SA_S7_PKT4_PKT5_S5_PT6_21rocsparse_index_base_b.uses_flat_scratch, 0
	.set _ZN9rocsparseL18bsrxmvn_3x3_kernelILj256ELj16EfiifffEEvT3_20rocsparse_direction_NS_24const_host_device_scalarIT1_EES1_PKS1_PKT2_SA_S7_PKT4_PKT5_S5_PT6_21rocsparse_index_base_b.has_dyn_sized_stack, 0
	.set _ZN9rocsparseL18bsrxmvn_3x3_kernelILj256ELj16EfiifffEEvT3_20rocsparse_direction_NS_24const_host_device_scalarIT1_EES1_PKS1_PKT2_SA_S7_PKT4_PKT5_S5_PT6_21rocsparse_index_base_b.has_recursion, 0
	.set _ZN9rocsparseL18bsrxmvn_3x3_kernelILj256ELj16EfiifffEEvT3_20rocsparse_direction_NS_24const_host_device_scalarIT1_EES1_PKS1_PKT2_SA_S7_PKT4_PKT5_S5_PT6_21rocsparse_index_base_b.has_indirect_call, 0
	.section	.AMDGPU.csdata,"",@progbits
; Kernel info:
; codeLenInByte = 1656
; TotalNumSgprs: 20
; NumVgprs: 25
; ScratchSize: 0
; MemoryBound: 0
; FloatMode: 240
; IeeeMode: 1
; LDSByteSize: 0 bytes/workgroup (compile time only)
; SGPRBlocks: 0
; VGPRBlocks: 3
; NumSGPRsForWavesPerEU: 20
; NumVGPRsForWavesPerEU: 25
; Occupancy: 16
; WaveLimiterHint : 1
; COMPUTE_PGM_RSRC2:SCRATCH_EN: 0
; COMPUTE_PGM_RSRC2:USER_SGPR: 2
; COMPUTE_PGM_RSRC2:TRAP_HANDLER: 0
; COMPUTE_PGM_RSRC2:TGID_X_EN: 1
; COMPUTE_PGM_RSRC2:TGID_Y_EN: 0
; COMPUTE_PGM_RSRC2:TGID_Z_EN: 0
; COMPUTE_PGM_RSRC2:TIDIG_COMP_CNT: 0
	.section	.text._ZN9rocsparseL18bsrxmvn_3x3_kernelILj256ELj32EfiifffEEvT3_20rocsparse_direction_NS_24const_host_device_scalarIT1_EES1_PKS1_PKT2_SA_S7_PKT4_PKT5_S5_PT6_21rocsparse_index_base_b,"axG",@progbits,_ZN9rocsparseL18bsrxmvn_3x3_kernelILj256ELj32EfiifffEEvT3_20rocsparse_direction_NS_24const_host_device_scalarIT1_EES1_PKS1_PKT2_SA_S7_PKT4_PKT5_S5_PT6_21rocsparse_index_base_b,comdat
	.globl	_ZN9rocsparseL18bsrxmvn_3x3_kernelILj256ELj32EfiifffEEvT3_20rocsparse_direction_NS_24const_host_device_scalarIT1_EES1_PKS1_PKT2_SA_S7_PKT4_PKT5_S5_PT6_21rocsparse_index_base_b ; -- Begin function _ZN9rocsparseL18bsrxmvn_3x3_kernelILj256ELj32EfiifffEEvT3_20rocsparse_direction_NS_24const_host_device_scalarIT1_EES1_PKS1_PKT2_SA_S7_PKT4_PKT5_S5_PT6_21rocsparse_index_base_b
	.p2align	8
	.type	_ZN9rocsparseL18bsrxmvn_3x3_kernelILj256ELj32EfiifffEEvT3_20rocsparse_direction_NS_24const_host_device_scalarIT1_EES1_PKS1_PKT2_SA_S7_PKT4_PKT5_S5_PT6_21rocsparse_index_base_b,@function
_ZN9rocsparseL18bsrxmvn_3x3_kernelILj256ELj32EfiifffEEvT3_20rocsparse_direction_NS_24const_host_device_scalarIT1_EES1_PKS1_PKT2_SA_S7_PKT4_PKT5_S5_PT6_21rocsparse_index_base_b: ; @_ZN9rocsparseL18bsrxmvn_3x3_kernelILj256ELj32EfiifffEEvT3_20rocsparse_direction_NS_24const_host_device_scalarIT1_EES1_PKS1_PKT2_SA_S7_PKT4_PKT5_S5_PT6_21rocsparse_index_base_b
; %bb.0:
	s_clause 0x2
	s_load_b64 s[16:17], s[0:1], 0x58
	s_load_b64 s[14:15], s[0:1], 0x8
	;; [unrolled: 1-line block ×3, first 2 shown]
	s_wait_kmcnt 0x0
	s_bitcmp1_b32 s17, 0
	s_cselect_b32 s2, -1, 0
	s_delay_alu instid0(SALU_CYCLE_1)
	s_and_b32 vcc_lo, exec_lo, s2
	s_xor_b32 s2, s2, -1
	s_cbranch_vccnz .LBB3_2
; %bb.1:
	s_load_b32 s14, s[14:15], 0x0
.LBB3_2:
	s_and_not1_b32 vcc_lo, exec_lo, s2
	s_cbranch_vccnz .LBB3_4
; %bb.3:
	s_load_b32 s12, s[12:13], 0x0
.LBB3_4:
	s_wait_kmcnt 0x0
	s_cmp_neq_f32 s14, 0
	s_mov_b32 s6, 0
	s_cselect_b32 s2, -1, 0
	s_cmp_neq_f32 s12, 1.0
	s_cselect_b32 s3, -1, 0
	s_delay_alu instid0(SALU_CYCLE_1) | instskip(NEXT) | instid1(SALU_CYCLE_1)
	s_or_b32 s2, s2, s3
	s_and_not1_b32 vcc_lo, exec_lo, s2
	s_cbranch_vccnz .LBB3_10
; %bb.5:
	s_clause 0x1
	s_load_b64 s[4:5], s[0:1], 0x18
	s_load_b64 s[2:3], s[0:1], 0x0
	v_lshrrev_b32_e32 v1, 5, v0
	s_delay_alu instid0(VALU_DEP_1)
	v_lshl_or_b32 v1, ttmp9, 3, v1
	s_wait_kmcnt 0x0
	s_cmp_lg_u64 s[4:5], 0
	s_cbranch_scc0 .LBB3_11
; %bb.6:
	s_load_b32 s6, s[0:1], 0x10
	s_mov_b32 s7, 0
                                        ; implicit-def: $vgpr2
	s_wait_kmcnt 0x0
	v_cmp_gt_i32_e32 vcc_lo, s6, v1
	s_mov_b32 s6, 0
	s_and_saveexec_b32 s8, vcc_lo
	s_delay_alu instid0(SALU_CYCLE_1)
	s_xor_b32 s8, exec_lo, s8
	s_cbranch_execz .LBB3_8
; %bb.7:
	v_ashrrev_i32_e32 v2, 31, v1
	s_mov_b32 s6, exec_lo
	s_delay_alu instid0(VALU_DEP_1) | instskip(NEXT) | instid1(VALU_DEP_1)
	v_lshlrev_b64_e32 v[2:3], 2, v[1:2]
	v_add_co_u32 v2, vcc_lo, s4, v2
	s_delay_alu instid0(VALU_DEP_1)
	v_add_co_ci_u32_e64 v3, null, s5, v3, vcc_lo
	global_load_b32 v2, v[2:3], off
	s_wait_loadcnt 0x0
	v_subrev_nc_u32_e32 v2, s16, v2
.LBB3_8:
	s_or_b32 exec_lo, exec_lo, s8
	s_delay_alu instid0(SALU_CYCLE_1)
	s_and_b32 vcc_lo, exec_lo, s7
	s_wait_alu 0xfffe
	s_cbranch_vccz .LBB3_12
.LBB3_9:
	v_cmp_gt_i32_e32 vcc_lo, s2, v1
	s_and_not1_b32 s2, s6, exec_lo
	s_and_b32 s4, vcc_lo, exec_lo
	s_wait_alu 0xfffe
	s_or_b32 s6, s2, s4
	s_wait_alu 0xfffe
	s_and_saveexec_b32 s2, s6
	s_cbranch_execnz .LBB3_13
.LBB3_10:
	s_endpgm
.LBB3_11:
                                        ; implicit-def: $vgpr2
	s_cbranch_execnz .LBB3_9
.LBB3_12:
	v_mov_b32_e32 v1, v2
	s_and_saveexec_b32 s2, s6
	s_cbranch_execz .LBB3_10
.LBB3_13:
	s_load_b256 s[4:11], s[0:1], 0x20
	s_delay_alu instid0(VALU_DEP_1) | instskip(SKIP_1) | instid1(VALU_DEP_2)
	v_ashrrev_i32_e32 v2, 31, v1
	v_and_b32_e32 v0, 31, v0
	v_lshlrev_b64_e32 v[2:3], 2, v[1:2]
	s_wait_kmcnt 0x0
	s_delay_alu instid0(VALU_DEP_1) | instskip(SKIP_1) | instid1(VALU_DEP_2)
	v_add_co_u32 v4, vcc_lo, s4, v2
	s_wait_alu 0xfffd
	v_add_co_ci_u32_e64 v5, null, s5, v3, vcc_lo
	v_add_co_u32 v2, vcc_lo, s6, v2
	s_wait_alu 0xfffd
	v_add_co_ci_u32_e64 v3, null, s7, v3, vcc_lo
	;; [unrolled: 3-line block ×3, first 2 shown]
	s_cmp_eq_u64 s[6:7], 0
	global_load_b32 v4, v[4:5], off
	s_cselect_b32 vcc_lo, -1, 0
	s_load_b64 s[4:5], s[0:1], 0x40
	v_dual_cndmask_b32 v3, v3, v7 :: v_dual_cndmask_b32 v2, v2, v6
	s_cmp_eq_u32 s3, 1
	global_load_b32 v3, v[2:3], off
	s_wait_loadcnt 0x1
	v_subrev_nc_u32_e32 v2, s16, v4
	s_delay_alu instid0(VALU_DEP_1) | instskip(SKIP_2) | instid1(VALU_DEP_2)
	v_add_nc_u32_e32 v2, v2, v0
	s_wait_loadcnt 0x0
	v_subrev_nc_u32_e32 v13, s16, v3
	v_mad_co_i64_i32 v[4:5], null, v2, 36, s[10:11]
	s_delay_alu instid0(VALU_DEP_2)
	v_cmp_lt_i32_e64 s2, v2, v13
	s_cbranch_scc1 .LBB3_19
; %bb.14:
	v_dual_mov_b32 v10, 0 :: v_dual_mov_b32 v11, 0
	v_mov_b32_e32 v12, 0
	s_and_saveexec_b32 s3, s2
	s_cbranch_execz .LBB3_18
; %bb.15:
	v_dual_mov_b32 v10, 0 :: v_dual_mov_b32 v7, v5
	v_dual_mov_b32 v6, v4 :: v_dual_mov_b32 v11, 0
	v_mov_b32_e32 v8, v2
	v_mov_b32_e32 v12, 0
	s_mov_b32 s6, 0
.LBB3_16:                               ; =>This Inner Loop Header: Depth=1
	s_delay_alu instid0(VALU_DEP_2) | instskip(NEXT) | instid1(VALU_DEP_1)
	v_ashrrev_i32_e32 v9, 31, v8
	v_lshlrev_b64_e32 v[14:15], 2, v[8:9]
	v_add_nc_u32_e32 v8, 32, v8
	s_delay_alu instid0(VALU_DEP_2) | instskip(SKIP_1) | instid1(VALU_DEP_3)
	v_add_co_u32 v14, vcc_lo, s8, v14
	s_wait_alu 0xfffd
	v_add_co_ci_u32_e64 v15, null, s9, v15, vcc_lo
	global_load_b32 v3, v[14:15], off
	global_load_b128 v[14:17], v[6:7], off offset:16
	s_wait_loadcnt 0x1
	v_subrev_nc_u32_e32 v3, s16, v3
	s_delay_alu instid0(VALU_DEP_1) | instskip(NEXT) | instid1(VALU_DEP_1)
	v_lshl_add_u32 v18, v3, 1, v3
	v_ashrrev_i32_e32 v19, 31, v18
	s_delay_alu instid0(VALU_DEP_1) | instskip(SKIP_1) | instid1(VALU_DEP_1)
	v_lshlrev_b64_e32 v[18:19], 2, v[18:19]
	s_wait_kmcnt 0x0
	v_add_co_u32 v22, vcc_lo, s4, v18
	s_wait_alu 0xfffd
	s_delay_alu instid0(VALU_DEP_2)
	v_add_co_ci_u32_e64 v23, null, s5, v19, vcc_lo
	global_load_b128 v[18:21], v[6:7], off
	global_load_b96 v[22:24], v[22:23], off
	global_load_b32 v3, v[6:7], off offset:32
	v_add_co_u32 v6, vcc_lo, 0x480, v6
	s_wait_alu 0xfffd
	v_add_co_ci_u32_e64 v7, null, 0, v7, vcc_lo
	v_cmp_ge_i32_e32 vcc_lo, v8, v13
	s_wait_alu 0xfffe
	s_or_b32 s6, vcc_lo, s6
	s_wait_loadcnt 0x1
	v_fmac_f32_e32 v11, v21, v22
	s_delay_alu instid0(VALU_DEP_1) | instskip(SKIP_1) | instid1(VALU_DEP_2)
	v_dual_fmac_f32 v10, v16, v22 :: v_dual_fmac_f32 v11, v14, v23
	v_fmac_f32_e32 v12, v18, v22
	v_dual_fmac_f32 v10, v17, v23 :: v_dual_fmac_f32 v11, v15, v24
	s_delay_alu instid0(VALU_DEP_2) | instskip(SKIP_1) | instid1(VALU_DEP_2)
	v_fmac_f32_e32 v12, v19, v23
	s_wait_loadcnt 0x0
	v_fmac_f32_e32 v10, v3, v24
	s_delay_alu instid0(VALU_DEP_2)
	v_fmac_f32_e32 v12, v20, v24
	s_wait_alu 0xfffe
	s_and_not1_b32 exec_lo, exec_lo, s6
	s_cbranch_execnz .LBB3_16
; %bb.17:
	s_or_b32 exec_lo, exec_lo, s6
.LBB3_18:
	s_wait_alu 0xfffe
	s_or_b32 exec_lo, exec_lo, s3
	s_cbranch_execz .LBB3_20
	s_branch .LBB3_25
.LBB3_19:
                                        ; implicit-def: $vgpr10
                                        ; implicit-def: $vgpr11
                                        ; implicit-def: $vgpr12
.LBB3_20:
	v_dual_mov_b32 v10, 0 :: v_dual_mov_b32 v11, 0
	v_mov_b32_e32 v12, 0
	s_and_saveexec_b32 s3, s2
	s_cbranch_execz .LBB3_24
; %bb.21:
	v_dual_mov_b32 v10, 0 :: v_dual_mov_b32 v11, 0
	v_mov_b32_e32 v12, 0
	s_mov_b32 s2, 0
.LBB3_22:                               ; =>This Inner Loop Header: Depth=1
	v_ashrrev_i32_e32 v3, 31, v2
	s_delay_alu instid0(VALU_DEP_1) | instskip(SKIP_1) | instid1(VALU_DEP_2)
	v_lshlrev_b64_e32 v[6:7], 2, v[2:3]
	v_add_nc_u32_e32 v2, 32, v2
	v_add_co_u32 v6, vcc_lo, s8, v6
	s_wait_alu 0xfffd
	s_delay_alu instid0(VALU_DEP_3) | instskip(SKIP_4) | instid1(VALU_DEP_1)
	v_add_co_ci_u32_e64 v7, null, s9, v7, vcc_lo
	global_load_b32 v3, v[6:7], off
	global_load_b128 v[6:9], v[4:5], off offset:16
	s_wait_loadcnt 0x1
	v_subrev_nc_u32_e32 v3, s16, v3
	v_lshl_add_u32 v14, v3, 1, v3
	s_delay_alu instid0(VALU_DEP_1) | instskip(NEXT) | instid1(VALU_DEP_1)
	v_ashrrev_i32_e32 v15, 31, v14
	v_lshlrev_b64_e32 v[14:15], 2, v[14:15]
	s_wait_kmcnt 0x0
	s_delay_alu instid0(VALU_DEP_1) | instskip(SKIP_1) | instid1(VALU_DEP_2)
	v_add_co_u32 v18, vcc_lo, s4, v14
	s_wait_alu 0xfffd
	v_add_co_ci_u32_e64 v19, null, s5, v15, vcc_lo
	global_load_b128 v[14:17], v[4:5], off
	global_load_b96 v[18:20], v[18:19], off
	global_load_b32 v3, v[4:5], off offset:32
	v_add_co_u32 v4, vcc_lo, 0x480, v4
	s_wait_alu 0xfffd
	v_add_co_ci_u32_e64 v5, null, 0, v5, vcc_lo
	v_cmp_ge_i32_e32 vcc_lo, v2, v13
	s_wait_alu 0xfffe
	s_or_b32 s2, vcc_lo, s2
	s_wait_loadcnt 0x1
	v_fmac_f32_e32 v11, v15, v18
	s_delay_alu instid0(VALU_DEP_1) | instskip(SKIP_1) | instid1(VALU_DEP_2)
	v_dual_fmac_f32 v10, v16, v18 :: v_dual_fmac_f32 v11, v6, v19
	v_fmac_f32_e32 v12, v14, v18
	v_dual_fmac_f32 v10, v7, v19 :: v_dual_fmac_f32 v11, v9, v20
	s_delay_alu instid0(VALU_DEP_2) | instskip(SKIP_1) | instid1(VALU_DEP_2)
	v_fmac_f32_e32 v12, v17, v19
	s_wait_loadcnt 0x0
	v_fmac_f32_e32 v10, v3, v20
	s_delay_alu instid0(VALU_DEP_2)
	v_fmac_f32_e32 v12, v8, v20
	s_wait_alu 0xfffe
	s_and_not1_b32 exec_lo, exec_lo, s2
	s_cbranch_execnz .LBB3_22
; %bb.23:
	s_or_b32 exec_lo, exec_lo, s2
.LBB3_24:
	s_wait_alu 0xfffe
	s_or_b32 exec_lo, exec_lo, s3
.LBB3_25:
	v_mbcnt_lo_u32_b32 v2, -1, 0
	s_mov_b32 s2, -1
	s_delay_alu instid0(VALU_DEP_1) | instskip(SKIP_2) | instid1(VALU_DEP_3)
	v_xor_b32_e32 v3, 16, v2
	v_xor_b32_e32 v6, 8, v2
	;; [unrolled: 1-line block ×3, first 2 shown]
	v_cmp_gt_i32_e32 vcc_lo, 32, v3
	s_wait_alu 0xfffd
	v_cndmask_b32_e32 v3, v2, v3, vcc_lo
	v_cmp_gt_i32_e32 vcc_lo, 32, v6
	s_wait_alu 0xfffd
	v_cndmask_b32_e32 v6, v2, v6, vcc_lo
	v_cmp_gt_i32_e32 vcc_lo, 32, v9
	s_delay_alu instid0(VALU_DEP_2)
	v_lshlrev_b32_e32 v6, 2, v6
	v_lshlrev_b32_e32 v3, 2, v3
	ds_bpermute_b32 v4, v3, v12
	s_wait_dscnt 0x0
	v_add_f32_e32 v4, v12, v4
	ds_bpermute_b32 v5, v3, v11
	ds_bpermute_b32 v3, v3, v10
	;; [unrolled: 1-line block ×3, first 2 shown]
	s_wait_alu 0xfffd
	v_cndmask_b32_e32 v9, v2, v9, vcc_lo
	s_wait_dscnt 0x0
	v_dual_add_f32 v5, v11, v5 :: v_dual_add_f32 v4, v4, v7
	v_add_f32_e32 v3, v10, v3
	ds_bpermute_b32 v8, v6, v5
	ds_bpermute_b32 v6, v6, v3
	s_wait_dscnt 0x1
	v_add_f32_e32 v5, v5, v8
	s_wait_dscnt 0x0
	v_add_f32_e32 v3, v3, v6
	v_lshlrev_b32_e32 v9, 2, v9
	ds_bpermute_b32 v6, v9, v4
	ds_bpermute_b32 v8, v9, v3
	s_wait_dscnt 0x1
	v_add_f32_e32 v4, v4, v6
	s_wait_dscnt 0x0
	v_add_f32_e32 v6, v3, v8
	ds_bpermute_b32 v7, v9, v5
	v_xor_b32_e32 v9, 2, v2
	s_delay_alu instid0(VALU_DEP_1) | instskip(SKIP_2) | instid1(VALU_DEP_1)
	v_cmp_gt_i32_e32 vcc_lo, 32, v9
	s_wait_alu 0xfffd
	v_cndmask_b32_e32 v9, v2, v9, vcc_lo
	v_lshlrev_b32_e32 v9, 2, v9
	s_wait_dscnt 0x0
	v_add_f32_e32 v5, v5, v7
	ds_bpermute_b32 v3, v9, v4
	ds_bpermute_b32 v8, v9, v6
	;; [unrolled: 1-line block ×3, first 2 shown]
	v_xor_b32_e32 v9, 1, v2
	s_delay_alu instid0(VALU_DEP_1) | instskip(SKIP_4) | instid1(VALU_DEP_2)
	v_cmp_gt_i32_e32 vcc_lo, 32, v9
	s_wait_alu 0xfffd
	v_cndmask_b32_e32 v2, v2, v9, vcc_lo
	v_cmp_eq_u32_e32 vcc_lo, 31, v0
	s_wait_dscnt 0x2
	v_dual_add_f32 v2, v4, v3 :: v_dual_lshlrev_b32 v9, 2, v2
	s_wait_dscnt 0x0
	v_dual_add_f32 v4, v6, v8 :: v_dual_add_f32 v3, v5, v7
	ds_bpermute_b32 v5, v9, v2
	ds_bpermute_b32 v7, v9, v4
	;; [unrolled: 1-line block ×3, first 2 shown]
	s_and_b32 exec_lo, exec_lo, vcc_lo
	s_cbranch_execz .LBB3_10
; %bb.26:
	s_load_b64 s[0:1], s[0:1], 0x50
	s_wait_dscnt 0x2
	v_add_f32_e32 v0, v2, v5
	s_wait_dscnt 0x0
	v_add_f32_e32 v2, v3, v6
	v_add_f32_e32 v4, v4, v7
	v_lshl_add_u32 v3, v1, 1, v1
	s_cmp_eq_f32 s12, 0
	s_delay_alu instid0(VALU_DEP_3) | instskip(NEXT) | instid1(VALU_DEP_3)
	v_dual_mul_f32 v1, s14, v2 :: v_dual_mul_f32 v0, s14, v0
	v_mul_f32_e32 v2, s14, v4
	s_delay_alu instid0(VALU_DEP_3)
	v_ashrrev_i32_e32 v4, 31, v3
	s_cbranch_scc0 .LBB3_28
; %bb.27:
	s_delay_alu instid0(VALU_DEP_1) | instskip(SKIP_2) | instid1(VALU_DEP_1)
	v_lshlrev_b64_e32 v[5:6], 2, v[3:4]
	s_mov_b32 s2, 0
	s_wait_kmcnt 0x0
	v_add_co_u32 v5, vcc_lo, s0, v5
	s_wait_alu 0xfffd
	s_delay_alu instid0(VALU_DEP_2)
	v_add_co_ci_u32_e64 v6, null, s1, v6, vcc_lo
	global_store_b96 v[5:6], v[0:2], off
.LBB3_28:
	s_wait_alu 0xfffe
	s_and_not1_b32 vcc_lo, exec_lo, s2
	s_wait_alu 0xfffe
	s_cbranch_vccnz .LBB3_10
; %bb.29:
	v_lshlrev_b64_e32 v[3:4], 2, v[3:4]
	s_wait_kmcnt 0x0
	s_delay_alu instid0(VALU_DEP_1) | instskip(SKIP_1) | instid1(VALU_DEP_2)
	v_add_co_u32 v6, vcc_lo, s0, v3
	s_wait_alu 0xfffd
	v_add_co_ci_u32_e64 v7, null, s1, v4, vcc_lo
	global_load_b96 v[3:5], v[6:7], off
	s_wait_loadcnt 0x0
	v_dual_fmac_f32 v0, s12, v3 :: v_dual_fmac_f32 v1, s12, v4
	v_fmac_f32_e32 v2, s12, v5
	global_store_b96 v[6:7], v[0:2], off
	s_endpgm
	.section	.rodata,"a",@progbits
	.p2align	6, 0x0
	.amdhsa_kernel _ZN9rocsparseL18bsrxmvn_3x3_kernelILj256ELj32EfiifffEEvT3_20rocsparse_direction_NS_24const_host_device_scalarIT1_EES1_PKS1_PKT2_SA_S7_PKT4_PKT5_S5_PT6_21rocsparse_index_base_b
		.amdhsa_group_segment_fixed_size 0
		.amdhsa_private_segment_fixed_size 0
		.amdhsa_kernarg_size 96
		.amdhsa_user_sgpr_count 2
		.amdhsa_user_sgpr_dispatch_ptr 0
		.amdhsa_user_sgpr_queue_ptr 0
		.amdhsa_user_sgpr_kernarg_segment_ptr 1
		.amdhsa_user_sgpr_dispatch_id 0
		.amdhsa_user_sgpr_private_segment_size 0
		.amdhsa_wavefront_size32 1
		.amdhsa_uses_dynamic_stack 0
		.amdhsa_enable_private_segment 0
		.amdhsa_system_sgpr_workgroup_id_x 1
		.amdhsa_system_sgpr_workgroup_id_y 0
		.amdhsa_system_sgpr_workgroup_id_z 0
		.amdhsa_system_sgpr_workgroup_info 0
		.amdhsa_system_vgpr_workitem_id 0
		.amdhsa_next_free_vgpr 25
		.amdhsa_next_free_sgpr 18
		.amdhsa_reserve_vcc 1
		.amdhsa_float_round_mode_32 0
		.amdhsa_float_round_mode_16_64 0
		.amdhsa_float_denorm_mode_32 3
		.amdhsa_float_denorm_mode_16_64 3
		.amdhsa_fp16_overflow 0
		.amdhsa_workgroup_processor_mode 1
		.amdhsa_memory_ordered 1
		.amdhsa_forward_progress 1
		.amdhsa_inst_pref_size 14
		.amdhsa_round_robin_scheduling 0
		.amdhsa_exception_fp_ieee_invalid_op 0
		.amdhsa_exception_fp_denorm_src 0
		.amdhsa_exception_fp_ieee_div_zero 0
		.amdhsa_exception_fp_ieee_overflow 0
		.amdhsa_exception_fp_ieee_underflow 0
		.amdhsa_exception_fp_ieee_inexact 0
		.amdhsa_exception_int_div_zero 0
	.end_amdhsa_kernel
	.section	.text._ZN9rocsparseL18bsrxmvn_3x3_kernelILj256ELj32EfiifffEEvT3_20rocsparse_direction_NS_24const_host_device_scalarIT1_EES1_PKS1_PKT2_SA_S7_PKT4_PKT5_S5_PT6_21rocsparse_index_base_b,"axG",@progbits,_ZN9rocsparseL18bsrxmvn_3x3_kernelILj256ELj32EfiifffEEvT3_20rocsparse_direction_NS_24const_host_device_scalarIT1_EES1_PKS1_PKT2_SA_S7_PKT4_PKT5_S5_PT6_21rocsparse_index_base_b,comdat
.Lfunc_end3:
	.size	_ZN9rocsparseL18bsrxmvn_3x3_kernelILj256ELj32EfiifffEEvT3_20rocsparse_direction_NS_24const_host_device_scalarIT1_EES1_PKS1_PKT2_SA_S7_PKT4_PKT5_S5_PT6_21rocsparse_index_base_b, .Lfunc_end3-_ZN9rocsparseL18bsrxmvn_3x3_kernelILj256ELj32EfiifffEEvT3_20rocsparse_direction_NS_24const_host_device_scalarIT1_EES1_PKS1_PKT2_SA_S7_PKT4_PKT5_S5_PT6_21rocsparse_index_base_b
                                        ; -- End function
	.set _ZN9rocsparseL18bsrxmvn_3x3_kernelILj256ELj32EfiifffEEvT3_20rocsparse_direction_NS_24const_host_device_scalarIT1_EES1_PKS1_PKT2_SA_S7_PKT4_PKT5_S5_PT6_21rocsparse_index_base_b.num_vgpr, 25
	.set _ZN9rocsparseL18bsrxmvn_3x3_kernelILj256ELj32EfiifffEEvT3_20rocsparse_direction_NS_24const_host_device_scalarIT1_EES1_PKS1_PKT2_SA_S7_PKT4_PKT5_S5_PT6_21rocsparse_index_base_b.num_agpr, 0
	.set _ZN9rocsparseL18bsrxmvn_3x3_kernelILj256ELj32EfiifffEEvT3_20rocsparse_direction_NS_24const_host_device_scalarIT1_EES1_PKS1_PKT2_SA_S7_PKT4_PKT5_S5_PT6_21rocsparse_index_base_b.numbered_sgpr, 18
	.set _ZN9rocsparseL18bsrxmvn_3x3_kernelILj256ELj32EfiifffEEvT3_20rocsparse_direction_NS_24const_host_device_scalarIT1_EES1_PKS1_PKT2_SA_S7_PKT4_PKT5_S5_PT6_21rocsparse_index_base_b.num_named_barrier, 0
	.set _ZN9rocsparseL18bsrxmvn_3x3_kernelILj256ELj32EfiifffEEvT3_20rocsparse_direction_NS_24const_host_device_scalarIT1_EES1_PKS1_PKT2_SA_S7_PKT4_PKT5_S5_PT6_21rocsparse_index_base_b.private_seg_size, 0
	.set _ZN9rocsparseL18bsrxmvn_3x3_kernelILj256ELj32EfiifffEEvT3_20rocsparse_direction_NS_24const_host_device_scalarIT1_EES1_PKS1_PKT2_SA_S7_PKT4_PKT5_S5_PT6_21rocsparse_index_base_b.uses_vcc, 1
	.set _ZN9rocsparseL18bsrxmvn_3x3_kernelILj256ELj32EfiifffEEvT3_20rocsparse_direction_NS_24const_host_device_scalarIT1_EES1_PKS1_PKT2_SA_S7_PKT4_PKT5_S5_PT6_21rocsparse_index_base_b.uses_flat_scratch, 0
	.set _ZN9rocsparseL18bsrxmvn_3x3_kernelILj256ELj32EfiifffEEvT3_20rocsparse_direction_NS_24const_host_device_scalarIT1_EES1_PKS1_PKT2_SA_S7_PKT4_PKT5_S5_PT6_21rocsparse_index_base_b.has_dyn_sized_stack, 0
	.set _ZN9rocsparseL18bsrxmvn_3x3_kernelILj256ELj32EfiifffEEvT3_20rocsparse_direction_NS_24const_host_device_scalarIT1_EES1_PKS1_PKT2_SA_S7_PKT4_PKT5_S5_PT6_21rocsparse_index_base_b.has_recursion, 0
	.set _ZN9rocsparseL18bsrxmvn_3x3_kernelILj256ELj32EfiifffEEvT3_20rocsparse_direction_NS_24const_host_device_scalarIT1_EES1_PKS1_PKT2_SA_S7_PKT4_PKT5_S5_PT6_21rocsparse_index_base_b.has_indirect_call, 0
	.section	.AMDGPU.csdata,"",@progbits
; Kernel info:
; codeLenInByte = 1724
; TotalNumSgprs: 20
; NumVgprs: 25
; ScratchSize: 0
; MemoryBound: 0
; FloatMode: 240
; IeeeMode: 1
; LDSByteSize: 0 bytes/workgroup (compile time only)
; SGPRBlocks: 0
; VGPRBlocks: 3
; NumSGPRsForWavesPerEU: 20
; NumVGPRsForWavesPerEU: 25
; Occupancy: 16
; WaveLimiterHint : 1
; COMPUTE_PGM_RSRC2:SCRATCH_EN: 0
; COMPUTE_PGM_RSRC2:USER_SGPR: 2
; COMPUTE_PGM_RSRC2:TRAP_HANDLER: 0
; COMPUTE_PGM_RSRC2:TGID_X_EN: 1
; COMPUTE_PGM_RSRC2:TGID_Y_EN: 0
; COMPUTE_PGM_RSRC2:TGID_Z_EN: 0
; COMPUTE_PGM_RSRC2:TIDIG_COMP_CNT: 0
	.section	.text._ZN9rocsparseL18bsrxmvn_3x3_kernelILj256ELj64EfiifffEEvT3_20rocsparse_direction_NS_24const_host_device_scalarIT1_EES1_PKS1_PKT2_SA_S7_PKT4_PKT5_S5_PT6_21rocsparse_index_base_b,"axG",@progbits,_ZN9rocsparseL18bsrxmvn_3x3_kernelILj256ELj64EfiifffEEvT3_20rocsparse_direction_NS_24const_host_device_scalarIT1_EES1_PKS1_PKT2_SA_S7_PKT4_PKT5_S5_PT6_21rocsparse_index_base_b,comdat
	.globl	_ZN9rocsparseL18bsrxmvn_3x3_kernelILj256ELj64EfiifffEEvT3_20rocsparse_direction_NS_24const_host_device_scalarIT1_EES1_PKS1_PKT2_SA_S7_PKT4_PKT5_S5_PT6_21rocsparse_index_base_b ; -- Begin function _ZN9rocsparseL18bsrxmvn_3x3_kernelILj256ELj64EfiifffEEvT3_20rocsparse_direction_NS_24const_host_device_scalarIT1_EES1_PKS1_PKT2_SA_S7_PKT4_PKT5_S5_PT6_21rocsparse_index_base_b
	.p2align	8
	.type	_ZN9rocsparseL18bsrxmvn_3x3_kernelILj256ELj64EfiifffEEvT3_20rocsparse_direction_NS_24const_host_device_scalarIT1_EES1_PKS1_PKT2_SA_S7_PKT4_PKT5_S5_PT6_21rocsparse_index_base_b,@function
_ZN9rocsparseL18bsrxmvn_3x3_kernelILj256ELj64EfiifffEEvT3_20rocsparse_direction_NS_24const_host_device_scalarIT1_EES1_PKS1_PKT2_SA_S7_PKT4_PKT5_S5_PT6_21rocsparse_index_base_b: ; @_ZN9rocsparseL18bsrxmvn_3x3_kernelILj256ELj64EfiifffEEvT3_20rocsparse_direction_NS_24const_host_device_scalarIT1_EES1_PKS1_PKT2_SA_S7_PKT4_PKT5_S5_PT6_21rocsparse_index_base_b
; %bb.0:
	s_clause 0x2
	s_load_b64 s[16:17], s[0:1], 0x58
	s_load_b64 s[14:15], s[0:1], 0x8
	;; [unrolled: 1-line block ×3, first 2 shown]
	s_wait_kmcnt 0x0
	s_bitcmp1_b32 s17, 0
	s_cselect_b32 s2, -1, 0
	s_delay_alu instid0(SALU_CYCLE_1)
	s_and_b32 vcc_lo, exec_lo, s2
	s_xor_b32 s2, s2, -1
	s_cbranch_vccnz .LBB4_2
; %bb.1:
	s_load_b32 s14, s[14:15], 0x0
.LBB4_2:
	s_and_not1_b32 vcc_lo, exec_lo, s2
	s_cbranch_vccnz .LBB4_4
; %bb.3:
	s_load_b32 s12, s[12:13], 0x0
.LBB4_4:
	s_wait_kmcnt 0x0
	s_cmp_neq_f32 s14, 0
	s_mov_b32 s6, 0
	s_cselect_b32 s2, -1, 0
	s_cmp_neq_f32 s12, 1.0
	s_cselect_b32 s3, -1, 0
	s_delay_alu instid0(SALU_CYCLE_1) | instskip(NEXT) | instid1(SALU_CYCLE_1)
	s_or_b32 s2, s2, s3
	s_and_not1_b32 vcc_lo, exec_lo, s2
	s_cbranch_vccnz .LBB4_10
; %bb.5:
	s_clause 0x1
	s_load_b64 s[4:5], s[0:1], 0x18
	s_load_b64 s[2:3], s[0:1], 0x0
	v_lshrrev_b32_e32 v1, 6, v0
	s_delay_alu instid0(VALU_DEP_1)
	v_lshl_or_b32 v1, ttmp9, 2, v1
	s_wait_kmcnt 0x0
	s_cmp_lg_u64 s[4:5], 0
	s_cbranch_scc0 .LBB4_11
; %bb.6:
	s_load_b32 s6, s[0:1], 0x10
	s_mov_b32 s7, 0
                                        ; implicit-def: $vgpr2
	s_wait_kmcnt 0x0
	v_cmp_gt_i32_e32 vcc_lo, s6, v1
	s_mov_b32 s6, 0
	s_and_saveexec_b32 s8, vcc_lo
	s_delay_alu instid0(SALU_CYCLE_1)
	s_xor_b32 s8, exec_lo, s8
	s_cbranch_execz .LBB4_8
; %bb.7:
	v_ashrrev_i32_e32 v2, 31, v1
	s_mov_b32 s6, exec_lo
	s_delay_alu instid0(VALU_DEP_1) | instskip(NEXT) | instid1(VALU_DEP_1)
	v_lshlrev_b64_e32 v[2:3], 2, v[1:2]
	v_add_co_u32 v2, vcc_lo, s4, v2
	s_delay_alu instid0(VALU_DEP_1)
	v_add_co_ci_u32_e64 v3, null, s5, v3, vcc_lo
	global_load_b32 v2, v[2:3], off
	s_wait_loadcnt 0x0
	v_subrev_nc_u32_e32 v2, s16, v2
.LBB4_8:
	s_or_b32 exec_lo, exec_lo, s8
	s_delay_alu instid0(SALU_CYCLE_1)
	s_and_b32 vcc_lo, exec_lo, s7
	s_wait_alu 0xfffe
	s_cbranch_vccz .LBB4_12
.LBB4_9:
	v_cmp_gt_i32_e32 vcc_lo, s2, v1
	s_and_not1_b32 s2, s6, exec_lo
	s_and_b32 s4, vcc_lo, exec_lo
	s_wait_alu 0xfffe
	s_or_b32 s6, s2, s4
	s_wait_alu 0xfffe
	s_and_saveexec_b32 s2, s6
	s_cbranch_execnz .LBB4_13
.LBB4_10:
	s_endpgm
.LBB4_11:
                                        ; implicit-def: $vgpr2
	s_cbranch_execnz .LBB4_9
.LBB4_12:
	v_mov_b32_e32 v1, v2
	s_and_saveexec_b32 s2, s6
	s_cbranch_execz .LBB4_10
.LBB4_13:
	s_load_b256 s[4:11], s[0:1], 0x20
	s_delay_alu instid0(VALU_DEP_1) | instskip(SKIP_1) | instid1(VALU_DEP_2)
	v_ashrrev_i32_e32 v2, 31, v1
	v_and_b32_e32 v0, 63, v0
	v_lshlrev_b64_e32 v[2:3], 2, v[1:2]
	s_wait_kmcnt 0x0
	s_delay_alu instid0(VALU_DEP_1) | instskip(SKIP_1) | instid1(VALU_DEP_2)
	v_add_co_u32 v4, vcc_lo, s4, v2
	s_wait_alu 0xfffd
	v_add_co_ci_u32_e64 v5, null, s5, v3, vcc_lo
	v_add_co_u32 v2, vcc_lo, s6, v2
	s_wait_alu 0xfffd
	v_add_co_ci_u32_e64 v3, null, s7, v3, vcc_lo
	;; [unrolled: 3-line block ×3, first 2 shown]
	s_cmp_eq_u64 s[6:7], 0
	global_load_b32 v4, v[4:5], off
	s_cselect_b32 vcc_lo, -1, 0
	s_load_b64 s[4:5], s[0:1], 0x40
	v_dual_cndmask_b32 v3, v3, v7 :: v_dual_cndmask_b32 v2, v2, v6
	s_cmp_eq_u32 s3, 1
	global_load_b32 v3, v[2:3], off
	s_wait_loadcnt 0x1
	v_subrev_nc_u32_e32 v2, s16, v4
	s_delay_alu instid0(VALU_DEP_1) | instskip(SKIP_2) | instid1(VALU_DEP_2)
	v_add_nc_u32_e32 v2, v2, v0
	s_wait_loadcnt 0x0
	v_subrev_nc_u32_e32 v13, s16, v3
	v_mad_co_i64_i32 v[4:5], null, v2, 36, s[10:11]
	s_delay_alu instid0(VALU_DEP_2)
	v_cmp_lt_i32_e64 s2, v2, v13
	s_cbranch_scc1 .LBB4_19
; %bb.14:
	v_dual_mov_b32 v10, 0 :: v_dual_mov_b32 v11, 0
	v_mov_b32_e32 v12, 0
	s_and_saveexec_b32 s3, s2
	s_cbranch_execz .LBB4_18
; %bb.15:
	v_dual_mov_b32 v10, 0 :: v_dual_mov_b32 v7, v5
	v_dual_mov_b32 v6, v4 :: v_dual_mov_b32 v11, 0
	v_mov_b32_e32 v8, v2
	v_mov_b32_e32 v12, 0
	s_mov_b32 s6, 0
.LBB4_16:                               ; =>This Inner Loop Header: Depth=1
	s_delay_alu instid0(VALU_DEP_2) | instskip(NEXT) | instid1(VALU_DEP_1)
	v_ashrrev_i32_e32 v9, 31, v8
	v_lshlrev_b64_e32 v[14:15], 2, v[8:9]
	v_add_nc_u32_e32 v8, 64, v8
	s_delay_alu instid0(VALU_DEP_2) | instskip(SKIP_1) | instid1(VALU_DEP_3)
	v_add_co_u32 v14, vcc_lo, s8, v14
	s_wait_alu 0xfffd
	v_add_co_ci_u32_e64 v15, null, s9, v15, vcc_lo
	global_load_b32 v3, v[14:15], off
	global_load_b128 v[14:17], v[6:7], off offset:16
	s_wait_loadcnt 0x1
	v_subrev_nc_u32_e32 v3, s16, v3
	s_delay_alu instid0(VALU_DEP_1) | instskip(NEXT) | instid1(VALU_DEP_1)
	v_lshl_add_u32 v18, v3, 1, v3
	v_ashrrev_i32_e32 v19, 31, v18
	s_delay_alu instid0(VALU_DEP_1) | instskip(SKIP_1) | instid1(VALU_DEP_1)
	v_lshlrev_b64_e32 v[18:19], 2, v[18:19]
	s_wait_kmcnt 0x0
	v_add_co_u32 v22, vcc_lo, s4, v18
	s_wait_alu 0xfffd
	s_delay_alu instid0(VALU_DEP_2)
	v_add_co_ci_u32_e64 v23, null, s5, v19, vcc_lo
	global_load_b128 v[18:21], v[6:7], off
	global_load_b96 v[22:24], v[22:23], off
	global_load_b32 v3, v[6:7], off offset:32
	v_add_co_u32 v6, vcc_lo, 0x900, v6
	s_wait_alu 0xfffd
	v_add_co_ci_u32_e64 v7, null, 0, v7, vcc_lo
	v_cmp_ge_i32_e32 vcc_lo, v8, v13
	s_wait_alu 0xfffe
	s_or_b32 s6, vcc_lo, s6
	s_wait_loadcnt 0x1
	v_fmac_f32_e32 v11, v21, v22
	s_delay_alu instid0(VALU_DEP_1) | instskip(SKIP_1) | instid1(VALU_DEP_2)
	v_dual_fmac_f32 v10, v16, v22 :: v_dual_fmac_f32 v11, v14, v23
	v_fmac_f32_e32 v12, v18, v22
	v_dual_fmac_f32 v10, v17, v23 :: v_dual_fmac_f32 v11, v15, v24
	s_delay_alu instid0(VALU_DEP_2) | instskip(SKIP_1) | instid1(VALU_DEP_2)
	v_fmac_f32_e32 v12, v19, v23
	s_wait_loadcnt 0x0
	v_fmac_f32_e32 v10, v3, v24
	s_delay_alu instid0(VALU_DEP_2)
	v_fmac_f32_e32 v12, v20, v24
	s_wait_alu 0xfffe
	s_and_not1_b32 exec_lo, exec_lo, s6
	s_cbranch_execnz .LBB4_16
; %bb.17:
	s_or_b32 exec_lo, exec_lo, s6
.LBB4_18:
	s_wait_alu 0xfffe
	s_or_b32 exec_lo, exec_lo, s3
	s_cbranch_execz .LBB4_20
	s_branch .LBB4_25
.LBB4_19:
                                        ; implicit-def: $vgpr10
                                        ; implicit-def: $vgpr11
                                        ; implicit-def: $vgpr12
.LBB4_20:
	v_dual_mov_b32 v10, 0 :: v_dual_mov_b32 v11, 0
	v_mov_b32_e32 v12, 0
	s_and_saveexec_b32 s3, s2
	s_cbranch_execz .LBB4_24
; %bb.21:
	v_dual_mov_b32 v10, 0 :: v_dual_mov_b32 v11, 0
	v_mov_b32_e32 v12, 0
	s_mov_b32 s2, 0
.LBB4_22:                               ; =>This Inner Loop Header: Depth=1
	v_ashrrev_i32_e32 v3, 31, v2
	s_delay_alu instid0(VALU_DEP_1) | instskip(SKIP_1) | instid1(VALU_DEP_2)
	v_lshlrev_b64_e32 v[6:7], 2, v[2:3]
	v_add_nc_u32_e32 v2, 64, v2
	v_add_co_u32 v6, vcc_lo, s8, v6
	s_wait_alu 0xfffd
	s_delay_alu instid0(VALU_DEP_3) | instskip(SKIP_4) | instid1(VALU_DEP_1)
	v_add_co_ci_u32_e64 v7, null, s9, v7, vcc_lo
	global_load_b32 v3, v[6:7], off
	global_load_b128 v[6:9], v[4:5], off offset:16
	s_wait_loadcnt 0x1
	v_subrev_nc_u32_e32 v3, s16, v3
	v_lshl_add_u32 v14, v3, 1, v3
	s_delay_alu instid0(VALU_DEP_1) | instskip(NEXT) | instid1(VALU_DEP_1)
	v_ashrrev_i32_e32 v15, 31, v14
	v_lshlrev_b64_e32 v[14:15], 2, v[14:15]
	s_wait_kmcnt 0x0
	s_delay_alu instid0(VALU_DEP_1) | instskip(SKIP_1) | instid1(VALU_DEP_2)
	v_add_co_u32 v18, vcc_lo, s4, v14
	s_wait_alu 0xfffd
	v_add_co_ci_u32_e64 v19, null, s5, v15, vcc_lo
	global_load_b128 v[14:17], v[4:5], off
	global_load_b96 v[18:20], v[18:19], off
	global_load_b32 v3, v[4:5], off offset:32
	v_add_co_u32 v4, vcc_lo, 0x900, v4
	s_wait_alu 0xfffd
	v_add_co_ci_u32_e64 v5, null, 0, v5, vcc_lo
	v_cmp_ge_i32_e32 vcc_lo, v2, v13
	s_wait_alu 0xfffe
	s_or_b32 s2, vcc_lo, s2
	s_wait_loadcnt 0x1
	v_fmac_f32_e32 v11, v15, v18
	s_delay_alu instid0(VALU_DEP_1) | instskip(SKIP_1) | instid1(VALU_DEP_2)
	v_dual_fmac_f32 v10, v16, v18 :: v_dual_fmac_f32 v11, v6, v19
	v_fmac_f32_e32 v12, v14, v18
	v_dual_fmac_f32 v10, v7, v19 :: v_dual_fmac_f32 v11, v9, v20
	s_delay_alu instid0(VALU_DEP_2) | instskip(SKIP_1) | instid1(VALU_DEP_2)
	v_fmac_f32_e32 v12, v17, v19
	s_wait_loadcnt 0x0
	v_fmac_f32_e32 v10, v3, v20
	s_delay_alu instid0(VALU_DEP_2)
	v_fmac_f32_e32 v12, v8, v20
	s_wait_alu 0xfffe
	s_and_not1_b32 exec_lo, exec_lo, s2
	s_cbranch_execnz .LBB4_22
; %bb.23:
	s_or_b32 exec_lo, exec_lo, s2
.LBB4_24:
	s_wait_alu 0xfffe
	s_or_b32 exec_lo, exec_lo, s3
.LBB4_25:
	v_mbcnt_lo_u32_b32 v2, -1, 0
	s_mov_b32 s2, -1
	s_delay_alu instid0(VALU_DEP_1) | instskip(SKIP_2) | instid1(VALU_DEP_3)
	v_or_b32_e32 v3, 32, v2
	v_xor_b32_e32 v6, 16, v2
	v_xor_b32_e32 v9, 8, v2
	v_cmp_gt_i32_e32 vcc_lo, 32, v3
	s_wait_alu 0xfffd
	v_cndmask_b32_e32 v3, v2, v3, vcc_lo
	v_cmp_gt_i32_e32 vcc_lo, 32, v6
	s_wait_alu 0xfffd
	v_cndmask_b32_e32 v6, v2, v6, vcc_lo
	v_cmp_gt_i32_e32 vcc_lo, 32, v9
	s_delay_alu instid0(VALU_DEP_2)
	v_lshlrev_b32_e32 v6, 2, v6
	v_lshlrev_b32_e32 v3, 2, v3
	ds_bpermute_b32 v4, v3, v12
	s_wait_dscnt 0x0
	v_add_f32_e32 v4, v12, v4
	ds_bpermute_b32 v5, v3, v11
	ds_bpermute_b32 v3, v3, v10
	;; [unrolled: 1-line block ×3, first 2 shown]
	s_wait_alu 0xfffd
	v_cndmask_b32_e32 v9, v2, v9, vcc_lo
	s_wait_dscnt 0x0
	v_dual_add_f32 v5, v11, v5 :: v_dual_add_f32 v4, v4, v7
	v_add_f32_e32 v3, v10, v3
	ds_bpermute_b32 v8, v6, v5
	v_lshlrev_b32_e32 v9, 2, v9
	ds_bpermute_b32 v6, v6, v3
	s_wait_dscnt 0x1
	v_add_f32_e32 v5, v5, v8
	s_wait_dscnt 0x0
	v_add_f32_e32 v3, v3, v6
	ds_bpermute_b32 v6, v9, v4
	ds_bpermute_b32 v7, v9, v5
	;; [unrolled: 1-line block ×3, first 2 shown]
	v_xor_b32_e32 v9, 4, v2
	s_delay_alu instid0(VALU_DEP_1)
	v_cmp_gt_i32_e32 vcc_lo, 32, v9
	s_wait_dscnt 0x1
	v_dual_add_f32 v4, v4, v6 :: v_dual_add_f32 v5, v5, v7
	s_wait_dscnt 0x0
	v_add_f32_e32 v3, v3, v8
	s_wait_alu 0xfffd
	v_cndmask_b32_e32 v9, v2, v9, vcc_lo
	s_delay_alu instid0(VALU_DEP_1) | instskip(SKIP_4) | instid1(VALU_DEP_1)
	v_lshlrev_b32_e32 v9, 2, v9
	ds_bpermute_b32 v6, v9, v4
	ds_bpermute_b32 v7, v9, v5
	;; [unrolled: 1-line block ×3, first 2 shown]
	v_xor_b32_e32 v9, 2, v2
	v_cmp_gt_i32_e32 vcc_lo, 32, v9
	s_wait_alu 0xfffd
	v_cndmask_b32_e32 v9, v2, v9, vcc_lo
	s_wait_dscnt 0x2
	s_delay_alu instid0(VALU_DEP_1)
	v_dual_add_f32 v4, v4, v6 :: v_dual_lshlrev_b32 v9, 2, v9
	s_wait_dscnt 0x0
	v_dual_add_f32 v5, v5, v7 :: v_dual_add_f32 v6, v3, v8
	ds_bpermute_b32 v3, v9, v4
	ds_bpermute_b32 v7, v9, v5
	;; [unrolled: 1-line block ×3, first 2 shown]
	v_xor_b32_e32 v9, 1, v2
	s_delay_alu instid0(VALU_DEP_1) | instskip(SKIP_4) | instid1(VALU_DEP_2)
	v_cmp_gt_i32_e32 vcc_lo, 32, v9
	s_wait_alu 0xfffd
	v_cndmask_b32_e32 v2, v2, v9, vcc_lo
	v_cmp_eq_u32_e32 vcc_lo, 63, v0
	s_wait_dscnt 0x2
	v_dual_add_f32 v2, v4, v3 :: v_dual_lshlrev_b32 v9, 2, v2
	s_wait_dscnt 0x0
	v_dual_add_f32 v3, v5, v7 :: v_dual_add_f32 v4, v6, v8
	ds_bpermute_b32 v5, v9, v2
	ds_bpermute_b32 v6, v9, v3
	;; [unrolled: 1-line block ×3, first 2 shown]
	s_and_b32 exec_lo, exec_lo, vcc_lo
	s_cbranch_execz .LBB4_10
; %bb.26:
	s_load_b64 s[0:1], s[0:1], 0x50
	s_wait_dscnt 0x2
	v_add_f32_e32 v0, v2, v5
	s_wait_dscnt 0x1
	v_add_f32_e32 v2, v3, v6
	;; [unrolled: 2-line block ×3, first 2 shown]
	v_lshl_add_u32 v3, v1, 1, v1
	s_cmp_eq_f32 s12, 0
	v_dual_mul_f32 v1, s14, v2 :: v_dual_mul_f32 v0, s14, v0
	s_delay_alu instid0(VALU_DEP_3) | instskip(NEXT) | instid1(VALU_DEP_3)
	v_mul_f32_e32 v2, s14, v4
	v_ashrrev_i32_e32 v4, 31, v3
	s_cbranch_scc0 .LBB4_28
; %bb.27:
	s_delay_alu instid0(VALU_DEP_1) | instskip(SKIP_2) | instid1(VALU_DEP_1)
	v_lshlrev_b64_e32 v[5:6], 2, v[3:4]
	s_mov_b32 s2, 0
	s_wait_kmcnt 0x0
	v_add_co_u32 v5, vcc_lo, s0, v5
	s_wait_alu 0xfffd
	s_delay_alu instid0(VALU_DEP_2)
	v_add_co_ci_u32_e64 v6, null, s1, v6, vcc_lo
	global_store_b96 v[5:6], v[0:2], off
.LBB4_28:
	s_wait_alu 0xfffe
	s_and_not1_b32 vcc_lo, exec_lo, s2
	s_wait_alu 0xfffe
	s_cbranch_vccnz .LBB4_10
; %bb.29:
	v_lshlrev_b64_e32 v[3:4], 2, v[3:4]
	s_wait_kmcnt 0x0
	s_delay_alu instid0(VALU_DEP_1) | instskip(SKIP_1) | instid1(VALU_DEP_2)
	v_add_co_u32 v6, vcc_lo, s0, v3
	s_wait_alu 0xfffd
	v_add_co_ci_u32_e64 v7, null, s1, v4, vcc_lo
	global_load_b96 v[3:5], v[6:7], off
	s_wait_loadcnt 0x0
	v_dual_fmac_f32 v0, s12, v3 :: v_dual_fmac_f32 v1, s12, v4
	v_fmac_f32_e32 v2, s12, v5
	global_store_b96 v[6:7], v[0:2], off
	s_endpgm
	.section	.rodata,"a",@progbits
	.p2align	6, 0x0
	.amdhsa_kernel _ZN9rocsparseL18bsrxmvn_3x3_kernelILj256ELj64EfiifffEEvT3_20rocsparse_direction_NS_24const_host_device_scalarIT1_EES1_PKS1_PKT2_SA_S7_PKT4_PKT5_S5_PT6_21rocsparse_index_base_b
		.amdhsa_group_segment_fixed_size 0
		.amdhsa_private_segment_fixed_size 0
		.amdhsa_kernarg_size 96
		.amdhsa_user_sgpr_count 2
		.amdhsa_user_sgpr_dispatch_ptr 0
		.amdhsa_user_sgpr_queue_ptr 0
		.amdhsa_user_sgpr_kernarg_segment_ptr 1
		.amdhsa_user_sgpr_dispatch_id 0
		.amdhsa_user_sgpr_private_segment_size 0
		.amdhsa_wavefront_size32 1
		.amdhsa_uses_dynamic_stack 0
		.amdhsa_enable_private_segment 0
		.amdhsa_system_sgpr_workgroup_id_x 1
		.amdhsa_system_sgpr_workgroup_id_y 0
		.amdhsa_system_sgpr_workgroup_id_z 0
		.amdhsa_system_sgpr_workgroup_info 0
		.amdhsa_system_vgpr_workitem_id 0
		.amdhsa_next_free_vgpr 25
		.amdhsa_next_free_sgpr 18
		.amdhsa_reserve_vcc 1
		.amdhsa_float_round_mode_32 0
		.amdhsa_float_round_mode_16_64 0
		.amdhsa_float_denorm_mode_32 3
		.amdhsa_float_denorm_mode_16_64 3
		.amdhsa_fp16_overflow 0
		.amdhsa_workgroup_processor_mode 1
		.amdhsa_memory_ordered 1
		.amdhsa_forward_progress 1
		.amdhsa_inst_pref_size 14
		.amdhsa_round_robin_scheduling 0
		.amdhsa_exception_fp_ieee_invalid_op 0
		.amdhsa_exception_fp_denorm_src 0
		.amdhsa_exception_fp_ieee_div_zero 0
		.amdhsa_exception_fp_ieee_overflow 0
		.amdhsa_exception_fp_ieee_underflow 0
		.amdhsa_exception_fp_ieee_inexact 0
		.amdhsa_exception_int_div_zero 0
	.end_amdhsa_kernel
	.section	.text._ZN9rocsparseL18bsrxmvn_3x3_kernelILj256ELj64EfiifffEEvT3_20rocsparse_direction_NS_24const_host_device_scalarIT1_EES1_PKS1_PKT2_SA_S7_PKT4_PKT5_S5_PT6_21rocsparse_index_base_b,"axG",@progbits,_ZN9rocsparseL18bsrxmvn_3x3_kernelILj256ELj64EfiifffEEvT3_20rocsparse_direction_NS_24const_host_device_scalarIT1_EES1_PKS1_PKT2_SA_S7_PKT4_PKT5_S5_PT6_21rocsparse_index_base_b,comdat
.Lfunc_end4:
	.size	_ZN9rocsparseL18bsrxmvn_3x3_kernelILj256ELj64EfiifffEEvT3_20rocsparse_direction_NS_24const_host_device_scalarIT1_EES1_PKS1_PKT2_SA_S7_PKT4_PKT5_S5_PT6_21rocsparse_index_base_b, .Lfunc_end4-_ZN9rocsparseL18bsrxmvn_3x3_kernelILj256ELj64EfiifffEEvT3_20rocsparse_direction_NS_24const_host_device_scalarIT1_EES1_PKS1_PKT2_SA_S7_PKT4_PKT5_S5_PT6_21rocsparse_index_base_b
                                        ; -- End function
	.set _ZN9rocsparseL18bsrxmvn_3x3_kernelILj256ELj64EfiifffEEvT3_20rocsparse_direction_NS_24const_host_device_scalarIT1_EES1_PKS1_PKT2_SA_S7_PKT4_PKT5_S5_PT6_21rocsparse_index_base_b.num_vgpr, 25
	.set _ZN9rocsparseL18bsrxmvn_3x3_kernelILj256ELj64EfiifffEEvT3_20rocsparse_direction_NS_24const_host_device_scalarIT1_EES1_PKS1_PKT2_SA_S7_PKT4_PKT5_S5_PT6_21rocsparse_index_base_b.num_agpr, 0
	.set _ZN9rocsparseL18bsrxmvn_3x3_kernelILj256ELj64EfiifffEEvT3_20rocsparse_direction_NS_24const_host_device_scalarIT1_EES1_PKS1_PKT2_SA_S7_PKT4_PKT5_S5_PT6_21rocsparse_index_base_b.numbered_sgpr, 18
	.set _ZN9rocsparseL18bsrxmvn_3x3_kernelILj256ELj64EfiifffEEvT3_20rocsparse_direction_NS_24const_host_device_scalarIT1_EES1_PKS1_PKT2_SA_S7_PKT4_PKT5_S5_PT6_21rocsparse_index_base_b.num_named_barrier, 0
	.set _ZN9rocsparseL18bsrxmvn_3x3_kernelILj256ELj64EfiifffEEvT3_20rocsparse_direction_NS_24const_host_device_scalarIT1_EES1_PKS1_PKT2_SA_S7_PKT4_PKT5_S5_PT6_21rocsparse_index_base_b.private_seg_size, 0
	.set _ZN9rocsparseL18bsrxmvn_3x3_kernelILj256ELj64EfiifffEEvT3_20rocsparse_direction_NS_24const_host_device_scalarIT1_EES1_PKS1_PKT2_SA_S7_PKT4_PKT5_S5_PT6_21rocsparse_index_base_b.uses_vcc, 1
	.set _ZN9rocsparseL18bsrxmvn_3x3_kernelILj256ELj64EfiifffEEvT3_20rocsparse_direction_NS_24const_host_device_scalarIT1_EES1_PKS1_PKT2_SA_S7_PKT4_PKT5_S5_PT6_21rocsparse_index_base_b.uses_flat_scratch, 0
	.set _ZN9rocsparseL18bsrxmvn_3x3_kernelILj256ELj64EfiifffEEvT3_20rocsparse_direction_NS_24const_host_device_scalarIT1_EES1_PKS1_PKT2_SA_S7_PKT4_PKT5_S5_PT6_21rocsparse_index_base_b.has_dyn_sized_stack, 0
	.set _ZN9rocsparseL18bsrxmvn_3x3_kernelILj256ELj64EfiifffEEvT3_20rocsparse_direction_NS_24const_host_device_scalarIT1_EES1_PKS1_PKT2_SA_S7_PKT4_PKT5_S5_PT6_21rocsparse_index_base_b.has_recursion, 0
	.set _ZN9rocsparseL18bsrxmvn_3x3_kernelILj256ELj64EfiifffEEvT3_20rocsparse_direction_NS_24const_host_device_scalarIT1_EES1_PKS1_PKT2_SA_S7_PKT4_PKT5_S5_PT6_21rocsparse_index_base_b.has_indirect_call, 0
	.section	.AMDGPU.csdata,"",@progbits
; Kernel info:
; codeLenInByte = 1792
; TotalNumSgprs: 20
; NumVgprs: 25
; ScratchSize: 0
; MemoryBound: 0
; FloatMode: 240
; IeeeMode: 1
; LDSByteSize: 0 bytes/workgroup (compile time only)
; SGPRBlocks: 0
; VGPRBlocks: 3
; NumSGPRsForWavesPerEU: 20
; NumVGPRsForWavesPerEU: 25
; Occupancy: 16
; WaveLimiterHint : 1
; COMPUTE_PGM_RSRC2:SCRATCH_EN: 0
; COMPUTE_PGM_RSRC2:USER_SGPR: 2
; COMPUTE_PGM_RSRC2:TRAP_HANDLER: 0
; COMPUTE_PGM_RSRC2:TGID_X_EN: 1
; COMPUTE_PGM_RSRC2:TGID_Y_EN: 0
; COMPUTE_PGM_RSRC2:TGID_Z_EN: 0
; COMPUTE_PGM_RSRC2:TIDIG_COMP_CNT: 0
	.section	.text._ZN9rocsparseL18bsrxmvn_3x3_kernelILj256ELj4EdiidddEEvT3_20rocsparse_direction_NS_24const_host_device_scalarIT1_EES1_PKS1_PKT2_SA_S7_PKT4_PKT5_S5_PT6_21rocsparse_index_base_b,"axG",@progbits,_ZN9rocsparseL18bsrxmvn_3x3_kernelILj256ELj4EdiidddEEvT3_20rocsparse_direction_NS_24const_host_device_scalarIT1_EES1_PKS1_PKT2_SA_S7_PKT4_PKT5_S5_PT6_21rocsparse_index_base_b,comdat
	.globl	_ZN9rocsparseL18bsrxmvn_3x3_kernelILj256ELj4EdiidddEEvT3_20rocsparse_direction_NS_24const_host_device_scalarIT1_EES1_PKS1_PKT2_SA_S7_PKT4_PKT5_S5_PT6_21rocsparse_index_base_b ; -- Begin function _ZN9rocsparseL18bsrxmvn_3x3_kernelILj256ELj4EdiidddEEvT3_20rocsparse_direction_NS_24const_host_device_scalarIT1_EES1_PKS1_PKT2_SA_S7_PKT4_PKT5_S5_PT6_21rocsparse_index_base_b
	.p2align	8
	.type	_ZN9rocsparseL18bsrxmvn_3x3_kernelILj256ELj4EdiidddEEvT3_20rocsparse_direction_NS_24const_host_device_scalarIT1_EES1_PKS1_PKT2_SA_S7_PKT4_PKT5_S5_PT6_21rocsparse_index_base_b,@function
_ZN9rocsparseL18bsrxmvn_3x3_kernelILj256ELj4EdiidddEEvT3_20rocsparse_direction_NS_24const_host_device_scalarIT1_EES1_PKS1_PKT2_SA_S7_PKT4_PKT5_S5_PT6_21rocsparse_index_base_b: ; @_ZN9rocsparseL18bsrxmvn_3x3_kernelILj256ELj4EdiidddEEvT3_20rocsparse_direction_NS_24const_host_device_scalarIT1_EES1_PKS1_PKT2_SA_S7_PKT4_PKT5_S5_PT6_21rocsparse_index_base_b
; %bb.0:
	s_clause 0x2
	s_load_b64 s[12:13], s[0:1], 0x58
	s_load_b64 s[4:5], s[0:1], 0x8
	;; [unrolled: 1-line block ×3, first 2 shown]
	s_wait_kmcnt 0x0
	s_bitcmp1_b32 s13, 0
	v_dual_mov_b32 v7, s5 :: v_dual_mov_b32 v6, s4
	s_cselect_b32 s6, -1, 0
	s_delay_alu instid0(SALU_CYCLE_1)
	s_and_b32 vcc_lo, exec_lo, s6
	s_xor_b32 s6, s6, -1
	s_cbranch_vccnz .LBB5_2
; %bb.1:
	v_dual_mov_b32 v1, s4 :: v_dual_mov_b32 v2, s5
	flat_load_b64 v[6:7], v[1:2]
.LBB5_2:
	v_dual_mov_b32 v5, s3 :: v_dual_mov_b32 v4, s2
	s_and_not1_b32 vcc_lo, exec_lo, s6
	s_cbranch_vccnz .LBB5_4
; %bb.3:
	v_dual_mov_b32 v1, s2 :: v_dual_mov_b32 v2, s3
	flat_load_b64 v[4:5], v[1:2]
.LBB5_4:
	s_wait_loadcnt_dscnt 0x0
	v_cmp_neq_f64_e32 vcc_lo, 0, v[6:7]
	v_cmp_neq_f64_e64 s2, 1.0, v[4:5]
	s_or_b32 s2, vcc_lo, s2
	s_wait_alu 0xfffe
	s_and_saveexec_b32 s3, s2
	s_cbranch_execz .LBB5_10
; %bb.5:
	s_clause 0x1
	s_load_b64 s[4:5], s[0:1], 0x18
	s_load_b64 s[2:3], s[0:1], 0x0
	v_lshrrev_b32_e32 v1, 2, v0
	s_delay_alu instid0(VALU_DEP_1)
	v_lshl_or_b32 v8, ttmp9, 6, v1
	s_wait_kmcnt 0x0
	s_cmp_lg_u64 s[4:5], 0
	s_cbranch_scc0 .LBB5_11
; %bb.6:
	s_load_b32 s6, s[0:1], 0x10
	s_mov_b32 s7, 0
                                        ; implicit-def: $vgpr1
	s_wait_kmcnt 0x0
	v_cmp_gt_i32_e32 vcc_lo, s6, v8
	s_mov_b32 s6, 0
	s_and_saveexec_b32 s8, vcc_lo
	s_delay_alu instid0(SALU_CYCLE_1)
	s_xor_b32 s8, exec_lo, s8
	s_cbranch_execz .LBB5_8
; %bb.7:
	v_ashrrev_i32_e32 v9, 31, v8
	s_mov_b32 s6, exec_lo
	s_delay_alu instid0(VALU_DEP_1) | instskip(NEXT) | instid1(VALU_DEP_1)
	v_lshlrev_b64_e32 v[1:2], 2, v[8:9]
	v_add_co_u32 v1, vcc_lo, s4, v1
	s_delay_alu instid0(VALU_DEP_1)
	v_add_co_ci_u32_e64 v2, null, s5, v2, vcc_lo
	global_load_b32 v1, v[1:2], off
	s_wait_loadcnt 0x0
	v_subrev_nc_u32_e32 v1, s12, v1
.LBB5_8:
	s_or_b32 exec_lo, exec_lo, s8
	s_delay_alu instid0(SALU_CYCLE_1)
	s_and_b32 vcc_lo, exec_lo, s7
	s_wait_alu 0xfffe
	s_cbranch_vccz .LBB5_12
.LBB5_9:
	v_cmp_gt_i32_e32 vcc_lo, s2, v8
	s_and_not1_b32 s2, s6, exec_lo
	s_and_b32 s4, vcc_lo, exec_lo
	s_wait_alu 0xfffe
	s_or_b32 s6, s2, s4
	s_wait_alu 0xfffe
	s_and_b32 exec_lo, exec_lo, s6
	s_cbranch_execnz .LBB5_13
.LBB5_10:
	s_endpgm
.LBB5_11:
	s_mov_b32 s6, 0
                                        ; implicit-def: $vgpr1
	s_cbranch_execnz .LBB5_9
.LBB5_12:
	v_mov_b32_e32 v8, v1
	s_and_b32 exec_lo, exec_lo, s6
	s_cbranch_execz .LBB5_10
.LBB5_13:
	s_load_b256 s[4:11], s[0:1], 0x20
	s_delay_alu instid0(VALU_DEP_1) | instskip(SKIP_1) | instid1(VALU_DEP_2)
	v_ashrrev_i32_e32 v9, 31, v8
	v_and_b32_e32 v19, 3, v0
	v_lshlrev_b64_e32 v[1:2], 2, v[8:9]
	s_wait_kmcnt 0x0
	s_delay_alu instid0(VALU_DEP_1) | instskip(SKIP_1) | instid1(VALU_DEP_2)
	v_add_co_u32 v9, vcc_lo, s4, v1
	s_wait_alu 0xfffd
	v_add_co_ci_u32_e64 v10, null, s5, v2, vcc_lo
	v_add_co_u32 v1, vcc_lo, s6, v1
	s_wait_alu 0xfffd
	v_add_co_ci_u32_e64 v2, null, s7, v2, vcc_lo
	;; [unrolled: 3-line block ×3, first 2 shown]
	s_cmp_eq_u64 s[6:7], 0
	global_load_b32 v9, v[9:10], off
	s_cselect_b32 vcc_lo, -1, 0
	s_load_b64 s[4:5], s[0:1], 0x40
	v_cndmask_b32_e32 v2, v2, v11, vcc_lo
	v_cndmask_b32_e32 v1, v1, v3, vcc_lo
	s_cmp_eq_u32 s3, 1
	global_load_b32 v1, v[1:2], off
	s_wait_loadcnt 0x1
	v_subrev_nc_u32_e32 v0, s12, v9
	s_delay_alu instid0(VALU_DEP_1) | instskip(SKIP_2) | instid1(VALU_DEP_2)
	v_add_nc_u32_e32 v9, v0, v19
	s_wait_loadcnt 0x0
	v_subrev_nc_u32_e32 v20, s12, v1
	v_mad_co_i64_i32 v[11:12], null, 0x48, v9, s[10:11]
	s_delay_alu instid0(VALU_DEP_2)
	v_cmp_lt_i32_e64 s2, v9, v20
	s_cbranch_scc1 .LBB5_19
; %bb.14:
	v_mov_b32_e32 v0, 0
	v_dual_mov_b32 v1, 0 :: v_dual_mov_b32 v2, 0
	v_mov_b32_e32 v13, 0
	v_dual_mov_b32 v3, 0 :: v_dual_mov_b32 v14, 0
	s_and_saveexec_b32 s6, s2
	s_cbranch_execz .LBB5_18
; %bb.15:
	v_mov_b32_e32 v0, 0
	v_dual_mov_b32 v1, 0 :: v_dual_mov_b32 v16, v12
	v_dual_mov_b32 v2, 0 :: v_dual_mov_b32 v13, 0
	v_mov_b32_e32 v15, v11
	v_dual_mov_b32 v3, 0 :: v_dual_mov_b32 v14, 0
	v_mov_b32_e32 v17, v9
	s_mov_b32 s7, 0
.LBB5_16:                               ; =>This Inner Loop Header: Depth=1
	s_delay_alu instid0(VALU_DEP_1) | instskip(NEXT) | instid1(VALU_DEP_1)
	v_ashrrev_i32_e32 v18, 31, v17
	v_lshlrev_b64_e32 v[21:22], 2, v[17:18]
	v_add_nc_u32_e32 v17, 4, v17
	s_delay_alu instid0(VALU_DEP_2) | instskip(SKIP_1) | instid1(VALU_DEP_3)
	v_add_co_u32 v21, vcc_lo, s8, v21
	s_wait_alu 0xfffd
	v_add_co_ci_u32_e64 v22, null, s9, v22, vcc_lo
	global_load_b32 v10, v[21:22], off
	global_load_b128 v[21:24], v[15:16], off offset:48
	s_wait_loadcnt 0x1
	v_subrev_nc_u32_e32 v10, s12, v10
	s_delay_alu instid0(VALU_DEP_1) | instskip(NEXT) | instid1(VALU_DEP_1)
	v_lshl_add_u32 v25, v10, 1, v10
	v_ashrrev_i32_e32 v26, 31, v25
	s_delay_alu instid0(VALU_DEP_1) | instskip(SKIP_1) | instid1(VALU_DEP_1)
	v_lshlrev_b64_e32 v[25:26], 3, v[25:26]
	s_wait_kmcnt 0x0
	v_add_co_u32 v37, vcc_lo, s4, v25
	s_wait_alu 0xfffd
	s_delay_alu instid0(VALU_DEP_2)
	v_add_co_ci_u32_e64 v38, null, s5, v26, vcc_lo
	v_cmp_ge_i32_e32 vcc_lo, v17, v20
	s_clause 0x1
	global_load_b128 v[25:28], v[15:16], off offset:16
	global_load_b128 v[29:32], v[15:16], off
	s_clause 0x1
	global_load_b128 v[33:36], v[37:38], off
	global_load_b64 v[41:42], v[37:38], off offset:16
	s_clause 0x1
	global_load_b128 v[37:40], v[15:16], off offset:32
	global_load_b64 v[43:44], v[15:16], off offset:64
	v_add_co_u32 v15, s3, 0x120, v15
	s_wait_alu 0xf1ff
	v_add_co_ci_u32_e64 v16, null, 0, v16, s3
	s_wait_alu 0xfffe
	s_or_b32 s7, vcc_lo, s7
	s_wait_loadcnt 0x3
	v_fma_f64 v[13:14], v[29:30], v[33:34], v[13:14]
	v_fma_f64 v[2:3], v[27:28], v[33:34], v[2:3]
	;; [unrolled: 1-line block ×3, first 2 shown]
	s_delay_alu instid0(VALU_DEP_3) | instskip(SKIP_1) | instid1(VALU_DEP_3)
	v_fma_f64 v[13:14], v[31:32], v[35:36], v[13:14]
	s_wait_loadcnt 0x1
	v_fma_f64 v[2:3], v[37:38], v[35:36], v[2:3]
	s_delay_alu instid0(VALU_DEP_3) | instskip(NEXT) | instid1(VALU_DEP_3)
	v_fma_f64 v[0:1], v[23:24], v[35:36], v[0:1]
	v_fma_f64 v[13:14], v[25:26], v[41:42], v[13:14]
	s_delay_alu instid0(VALU_DEP_3) | instskip(SKIP_1) | instid1(VALU_DEP_3)
	v_fma_f64 v[2:3], v[39:40], v[41:42], v[2:3]
	s_wait_loadcnt 0x0
	v_fma_f64 v[0:1], v[43:44], v[41:42], v[0:1]
	s_wait_alu 0xfffe
	s_and_not1_b32 exec_lo, exec_lo, s7
	s_cbranch_execnz .LBB5_16
; %bb.17:
	s_or_b32 exec_lo, exec_lo, s7
.LBB5_18:
	s_wait_alu 0xfffe
	s_or_b32 exec_lo, exec_lo, s6
	s_cbranch_execz .LBB5_20
	s_branch .LBB5_25
.LBB5_19:
                                        ; implicit-def: $vgpr0_vgpr1
                                        ; implicit-def: $vgpr2_vgpr3
                                        ; implicit-def: $vgpr13_vgpr14
.LBB5_20:
	v_mov_b32_e32 v0, 0
	v_dual_mov_b32 v1, 0 :: v_dual_mov_b32 v2, 0
	v_mov_b32_e32 v13, 0
	v_dual_mov_b32 v3, 0 :: v_dual_mov_b32 v14, 0
	s_and_saveexec_b32 s3, s2
	s_cbranch_execz .LBB5_24
; %bb.21:
	v_mov_b32_e32 v0, 0
	v_dual_mov_b32 v1, 0 :: v_dual_mov_b32 v2, 0
	v_mov_b32_e32 v13, 0
	v_dual_mov_b32 v3, 0 :: v_dual_mov_b32 v14, 0
	s_mov_b32 s6, 0
.LBB5_22:                               ; =>This Inner Loop Header: Depth=1
	v_ashrrev_i32_e32 v10, 31, v9
	s_delay_alu instid0(VALU_DEP_1) | instskip(SKIP_1) | instid1(VALU_DEP_2)
	v_lshlrev_b64_e32 v[15:16], 2, v[9:10]
	v_add_nc_u32_e32 v9, 4, v9
	v_add_co_u32 v15, vcc_lo, s8, v15
	s_wait_alu 0xfffd
	s_delay_alu instid0(VALU_DEP_3) | instskip(SKIP_3) | instid1(VALU_DEP_1)
	v_add_co_ci_u32_e64 v16, null, s9, v16, vcc_lo
	global_load_b32 v10, v[15:16], off
	s_wait_loadcnt 0x0
	v_subrev_nc_u32_e32 v10, s12, v10
	v_lshl_add_u32 v15, v10, 1, v10
	s_delay_alu instid0(VALU_DEP_1) | instskip(NEXT) | instid1(VALU_DEP_1)
	v_ashrrev_i32_e32 v16, 31, v15
	v_lshlrev_b64_e32 v[15:16], 3, v[15:16]
	s_wait_kmcnt 0x0
	s_delay_alu instid0(VALU_DEP_1) | instskip(SKIP_1) | instid1(VALU_DEP_2)
	v_add_co_u32 v29, vcc_lo, s4, v15
	s_wait_alu 0xfffd
	v_add_co_ci_u32_e64 v30, null, s5, v16, vcc_lo
	v_cmp_ge_i32_e32 vcc_lo, v9, v20
	s_clause 0x1
	global_load_b128 v[15:18], v[11:12], off offset:16
	global_load_b128 v[21:24], v[11:12], off
	s_clause 0x1
	global_load_b128 v[25:28], v[29:30], off
	global_load_b64 v[37:38], v[29:30], off offset:16
	s_clause 0x2
	global_load_b128 v[29:32], v[11:12], off offset:32
	global_load_b128 v[33:36], v[11:12], off offset:48
	global_load_b64 v[39:40], v[11:12], off offset:64
	v_add_co_u32 v11, s2, 0x120, v11
	s_wait_alu 0xf1ff
	v_add_co_ci_u32_e64 v12, null, 0, v12, s2
	s_wait_alu 0xfffe
	s_or_b32 s6, vcc_lo, s6
	s_wait_loadcnt 0x4
	v_fma_f64 v[13:14], v[21:22], v[25:26], v[13:14]
	v_fma_f64 v[2:3], v[23:24], v[25:26], v[2:3]
	;; [unrolled: 1-line block ×3, first 2 shown]
	s_delay_alu instid0(VALU_DEP_3) | instskip(SKIP_1) | instid1(VALU_DEP_3)
	v_fma_f64 v[13:14], v[17:18], v[27:28], v[13:14]
	s_wait_loadcnt 0x2
	v_fma_f64 v[2:3], v[29:30], v[27:28], v[2:3]
	s_delay_alu instid0(VALU_DEP_3) | instskip(SKIP_1) | instid1(VALU_DEP_3)
	v_fma_f64 v[0:1], v[31:32], v[27:28], v[0:1]
	s_wait_loadcnt 0x1
	v_fma_f64 v[13:14], v[33:34], v[37:38], v[13:14]
	;; [unrolled: 4-line block ×3, first 2 shown]
	s_wait_alu 0xfffe
	s_and_not1_b32 exec_lo, exec_lo, s6
	s_cbranch_execnz .LBB5_22
; %bb.23:
	s_or_b32 exec_lo, exec_lo, s6
.LBB5_24:
	s_wait_alu 0xfffe
	s_or_b32 exec_lo, exec_lo, s3
.LBB5_25:
	v_mbcnt_lo_u32_b32 v17, -1, 0
	s_delay_alu instid0(VALU_DEP_1) | instskip(NEXT) | instid1(VALU_DEP_1)
	v_xor_b32_e32 v9, 2, v17
	v_cmp_gt_i32_e32 vcc_lo, 32, v9
	s_wait_alu 0xfffd
	v_cndmask_b32_e32 v9, v17, v9, vcc_lo
	s_delay_alu instid0(VALU_DEP_1)
	v_lshlrev_b32_e32 v16, 2, v9
	ds_bpermute_b32 v11, v16, v2
	ds_bpermute_b32 v12, v16, v3
	s_wait_dscnt 0x0
	v_add_f64_e32 v[2:3], v[2:3], v[11:12]
	v_xor_b32_e32 v11, 1, v17
	s_delay_alu instid0(VALU_DEP_1)
	v_cmp_gt_i32_e32 vcc_lo, 32, v11
	s_wait_alu 0xfffd
	v_cndmask_b32_e32 v11, v17, v11, vcc_lo
	ds_bpermute_b32 v9, v16, v13
	ds_bpermute_b32 v10, v16, v14
	ds_bpermute_b32 v15, v16, v0
	ds_bpermute_b32 v16, v16, v1
	v_lshlrev_b32_e32 v12, 2, v11
	v_cmp_eq_u32_e32 vcc_lo, 3, v19
	s_wait_dscnt 0x2
	v_add_f64_e32 v[9:10], v[13:14], v[9:10]
	s_wait_dscnt 0x0
	v_add_f64_e32 v[0:1], v[0:1], v[15:16]
	ds_bpermute_b32 v13, v12, v2
	ds_bpermute_b32 v14, v12, v3
	;; [unrolled: 1-line block ×6, first 2 shown]
	s_and_b32 exec_lo, exec_lo, vcc_lo
	s_cbranch_execz .LBB5_10
; %bb.26:
	s_wait_dscnt 0x2
	v_add_f64_e32 v[9:10], v[9:10], v[15:16]
	v_add_f64_e32 v[2:3], v[2:3], v[13:14]
	s_wait_dscnt 0x0
	v_add_f64_e32 v[11:12], v[0:1], v[11:12]
	s_load_b64 s[0:1], s[0:1], 0x50
	v_lshl_add_u32 v8, v8, 1, v8
	s_mov_b32 s2, exec_lo
	s_delay_alu instid0(VALU_DEP_4) | instskip(NEXT) | instid1(VALU_DEP_4)
	v_mul_f64_e32 v[0:1], v[6:7], v[9:10]
	v_mul_f64_e32 v[2:3], v[6:7], v[2:3]
	s_delay_alu instid0(VALU_DEP_4)
	v_mul_f64_e32 v[6:7], v[6:7], v[11:12]
	v_ashrrev_i32_e32 v9, 31, v8
	v_cmpx_eq_f64_e32 0, v[4:5]
	s_wait_alu 0xfffe
	s_xor_b32 s2, exec_lo, s2
	s_cbranch_execz .LBB5_28
; %bb.27:
	v_lshlrev_b64_e32 v[4:5], 3, v[8:9]
                                        ; implicit-def: $vgpr8
	s_wait_kmcnt 0x0
	s_delay_alu instid0(VALU_DEP_1) | instskip(SKIP_1) | instid1(VALU_DEP_2)
	v_add_co_u32 v4, vcc_lo, s0, v4
	s_wait_alu 0xfffd
	v_add_co_ci_u32_e64 v5, null, s1, v5, vcc_lo
	s_clause 0x1
	global_store_b128 v[4:5], v[0:3], off
	global_store_b64 v[4:5], v[6:7], off offset:16
                                        ; implicit-def: $vgpr4_vgpr5
                                        ; implicit-def: $vgpr0_vgpr1
                                        ; implicit-def: $vgpr6_vgpr7
.LBB5_28:
	s_wait_alu 0xfffe
	s_and_not1_saveexec_b32 s2, s2
	s_cbranch_execz .LBB5_10
; %bb.29:
	v_lshlrev_b64_e32 v[8:9], 3, v[8:9]
	s_wait_kmcnt 0x0
	s_delay_alu instid0(VALU_DEP_1) | instskip(SKIP_1) | instid1(VALU_DEP_2)
	v_add_co_u32 v12, vcc_lo, s0, v8
	s_wait_alu 0xfffd
	v_add_co_ci_u32_e64 v13, null, s1, v9, vcc_lo
	s_clause 0x1
	global_load_b128 v[8:11], v[12:13], off
	global_load_b64 v[14:15], v[12:13], off offset:16
	s_wait_loadcnt 0x1
	v_fma_f64 v[0:1], v[4:5], v[8:9], v[0:1]
	v_fma_f64 v[2:3], v[4:5], v[10:11], v[2:3]
	s_wait_loadcnt 0x0
	v_fma_f64 v[4:5], v[4:5], v[14:15], v[6:7]
	s_clause 0x1
	global_store_b128 v[12:13], v[0:3], off
	global_store_b64 v[12:13], v[4:5], off offset:16
	s_endpgm
	.section	.rodata,"a",@progbits
	.p2align	6, 0x0
	.amdhsa_kernel _ZN9rocsparseL18bsrxmvn_3x3_kernelILj256ELj4EdiidddEEvT3_20rocsparse_direction_NS_24const_host_device_scalarIT1_EES1_PKS1_PKT2_SA_S7_PKT4_PKT5_S5_PT6_21rocsparse_index_base_b
		.amdhsa_group_segment_fixed_size 0
		.amdhsa_private_segment_fixed_size 0
		.amdhsa_kernarg_size 96
		.amdhsa_user_sgpr_count 2
		.amdhsa_user_sgpr_dispatch_ptr 0
		.amdhsa_user_sgpr_queue_ptr 0
		.amdhsa_user_sgpr_kernarg_segment_ptr 1
		.amdhsa_user_sgpr_dispatch_id 0
		.amdhsa_user_sgpr_private_segment_size 0
		.amdhsa_wavefront_size32 1
		.amdhsa_uses_dynamic_stack 0
		.amdhsa_enable_private_segment 0
		.amdhsa_system_sgpr_workgroup_id_x 1
		.amdhsa_system_sgpr_workgroup_id_y 0
		.amdhsa_system_sgpr_workgroup_id_z 0
		.amdhsa_system_sgpr_workgroup_info 0
		.amdhsa_system_vgpr_workitem_id 0
		.amdhsa_next_free_vgpr 45
		.amdhsa_next_free_sgpr 14
		.amdhsa_reserve_vcc 1
		.amdhsa_float_round_mode_32 0
		.amdhsa_float_round_mode_16_64 0
		.amdhsa_float_denorm_mode_32 3
		.amdhsa_float_denorm_mode_16_64 3
		.amdhsa_fp16_overflow 0
		.amdhsa_workgroup_processor_mode 1
		.amdhsa_memory_ordered 1
		.amdhsa_forward_progress 1
		.amdhsa_inst_pref_size 15
		.amdhsa_round_robin_scheduling 0
		.amdhsa_exception_fp_ieee_invalid_op 0
		.amdhsa_exception_fp_denorm_src 0
		.amdhsa_exception_fp_ieee_div_zero 0
		.amdhsa_exception_fp_ieee_overflow 0
		.amdhsa_exception_fp_ieee_underflow 0
		.amdhsa_exception_fp_ieee_inexact 0
		.amdhsa_exception_int_div_zero 0
	.end_amdhsa_kernel
	.section	.text._ZN9rocsparseL18bsrxmvn_3x3_kernelILj256ELj4EdiidddEEvT3_20rocsparse_direction_NS_24const_host_device_scalarIT1_EES1_PKS1_PKT2_SA_S7_PKT4_PKT5_S5_PT6_21rocsparse_index_base_b,"axG",@progbits,_ZN9rocsparseL18bsrxmvn_3x3_kernelILj256ELj4EdiidddEEvT3_20rocsparse_direction_NS_24const_host_device_scalarIT1_EES1_PKS1_PKT2_SA_S7_PKT4_PKT5_S5_PT6_21rocsparse_index_base_b,comdat
.Lfunc_end5:
	.size	_ZN9rocsparseL18bsrxmvn_3x3_kernelILj256ELj4EdiidddEEvT3_20rocsparse_direction_NS_24const_host_device_scalarIT1_EES1_PKS1_PKT2_SA_S7_PKT4_PKT5_S5_PT6_21rocsparse_index_base_b, .Lfunc_end5-_ZN9rocsparseL18bsrxmvn_3x3_kernelILj256ELj4EdiidddEEvT3_20rocsparse_direction_NS_24const_host_device_scalarIT1_EES1_PKS1_PKT2_SA_S7_PKT4_PKT5_S5_PT6_21rocsparse_index_base_b
                                        ; -- End function
	.set _ZN9rocsparseL18bsrxmvn_3x3_kernelILj256ELj4EdiidddEEvT3_20rocsparse_direction_NS_24const_host_device_scalarIT1_EES1_PKS1_PKT2_SA_S7_PKT4_PKT5_S5_PT6_21rocsparse_index_base_b.num_vgpr, 45
	.set _ZN9rocsparseL18bsrxmvn_3x3_kernelILj256ELj4EdiidddEEvT3_20rocsparse_direction_NS_24const_host_device_scalarIT1_EES1_PKS1_PKT2_SA_S7_PKT4_PKT5_S5_PT6_21rocsparse_index_base_b.num_agpr, 0
	.set _ZN9rocsparseL18bsrxmvn_3x3_kernelILj256ELj4EdiidddEEvT3_20rocsparse_direction_NS_24const_host_device_scalarIT1_EES1_PKS1_PKT2_SA_S7_PKT4_PKT5_S5_PT6_21rocsparse_index_base_b.numbered_sgpr, 14
	.set _ZN9rocsparseL18bsrxmvn_3x3_kernelILj256ELj4EdiidddEEvT3_20rocsparse_direction_NS_24const_host_device_scalarIT1_EES1_PKS1_PKT2_SA_S7_PKT4_PKT5_S5_PT6_21rocsparse_index_base_b.num_named_barrier, 0
	.set _ZN9rocsparseL18bsrxmvn_3x3_kernelILj256ELj4EdiidddEEvT3_20rocsparse_direction_NS_24const_host_device_scalarIT1_EES1_PKS1_PKT2_SA_S7_PKT4_PKT5_S5_PT6_21rocsparse_index_base_b.private_seg_size, 0
	.set _ZN9rocsparseL18bsrxmvn_3x3_kernelILj256ELj4EdiidddEEvT3_20rocsparse_direction_NS_24const_host_device_scalarIT1_EES1_PKS1_PKT2_SA_S7_PKT4_PKT5_S5_PT6_21rocsparse_index_base_b.uses_vcc, 1
	.set _ZN9rocsparseL18bsrxmvn_3x3_kernelILj256ELj4EdiidddEEvT3_20rocsparse_direction_NS_24const_host_device_scalarIT1_EES1_PKS1_PKT2_SA_S7_PKT4_PKT5_S5_PT6_21rocsparse_index_base_b.uses_flat_scratch, 0
	.set _ZN9rocsparseL18bsrxmvn_3x3_kernelILj256ELj4EdiidddEEvT3_20rocsparse_direction_NS_24const_host_device_scalarIT1_EES1_PKS1_PKT2_SA_S7_PKT4_PKT5_S5_PT6_21rocsparse_index_base_b.has_dyn_sized_stack, 0
	.set _ZN9rocsparseL18bsrxmvn_3x3_kernelILj256ELj4EdiidddEEvT3_20rocsparse_direction_NS_24const_host_device_scalarIT1_EES1_PKS1_PKT2_SA_S7_PKT4_PKT5_S5_PT6_21rocsparse_index_base_b.has_recursion, 0
	.set _ZN9rocsparseL18bsrxmvn_3x3_kernelILj256ELj4EdiidddEEvT3_20rocsparse_direction_NS_24const_host_device_scalarIT1_EES1_PKS1_PKT2_SA_S7_PKT4_PKT5_S5_PT6_21rocsparse_index_base_b.has_indirect_call, 0
	.section	.AMDGPU.csdata,"",@progbits
; Kernel info:
; codeLenInByte = 1904
; TotalNumSgprs: 16
; NumVgprs: 45
; ScratchSize: 0
; MemoryBound: 1
; FloatMode: 240
; IeeeMode: 1
; LDSByteSize: 0 bytes/workgroup (compile time only)
; SGPRBlocks: 0
; VGPRBlocks: 5
; NumSGPRsForWavesPerEU: 16
; NumVGPRsForWavesPerEU: 45
; Occupancy: 16
; WaveLimiterHint : 1
; COMPUTE_PGM_RSRC2:SCRATCH_EN: 0
; COMPUTE_PGM_RSRC2:USER_SGPR: 2
; COMPUTE_PGM_RSRC2:TRAP_HANDLER: 0
; COMPUTE_PGM_RSRC2:TGID_X_EN: 1
; COMPUTE_PGM_RSRC2:TGID_Y_EN: 0
; COMPUTE_PGM_RSRC2:TGID_Z_EN: 0
; COMPUTE_PGM_RSRC2:TIDIG_COMP_CNT: 0
	.section	.text._ZN9rocsparseL18bsrxmvn_3x3_kernelILj256ELj8EdiidddEEvT3_20rocsparse_direction_NS_24const_host_device_scalarIT1_EES1_PKS1_PKT2_SA_S7_PKT4_PKT5_S5_PT6_21rocsparse_index_base_b,"axG",@progbits,_ZN9rocsparseL18bsrxmvn_3x3_kernelILj256ELj8EdiidddEEvT3_20rocsparse_direction_NS_24const_host_device_scalarIT1_EES1_PKS1_PKT2_SA_S7_PKT4_PKT5_S5_PT6_21rocsparse_index_base_b,comdat
	.globl	_ZN9rocsparseL18bsrxmvn_3x3_kernelILj256ELj8EdiidddEEvT3_20rocsparse_direction_NS_24const_host_device_scalarIT1_EES1_PKS1_PKT2_SA_S7_PKT4_PKT5_S5_PT6_21rocsparse_index_base_b ; -- Begin function _ZN9rocsparseL18bsrxmvn_3x3_kernelILj256ELj8EdiidddEEvT3_20rocsparse_direction_NS_24const_host_device_scalarIT1_EES1_PKS1_PKT2_SA_S7_PKT4_PKT5_S5_PT6_21rocsparse_index_base_b
	.p2align	8
	.type	_ZN9rocsparseL18bsrxmvn_3x3_kernelILj256ELj8EdiidddEEvT3_20rocsparse_direction_NS_24const_host_device_scalarIT1_EES1_PKS1_PKT2_SA_S7_PKT4_PKT5_S5_PT6_21rocsparse_index_base_b,@function
_ZN9rocsparseL18bsrxmvn_3x3_kernelILj256ELj8EdiidddEEvT3_20rocsparse_direction_NS_24const_host_device_scalarIT1_EES1_PKS1_PKT2_SA_S7_PKT4_PKT5_S5_PT6_21rocsparse_index_base_b: ; @_ZN9rocsparseL18bsrxmvn_3x3_kernelILj256ELj8EdiidddEEvT3_20rocsparse_direction_NS_24const_host_device_scalarIT1_EES1_PKS1_PKT2_SA_S7_PKT4_PKT5_S5_PT6_21rocsparse_index_base_b
; %bb.0:
	s_clause 0x2
	s_load_b64 s[12:13], s[0:1], 0x58
	s_load_b64 s[4:5], s[0:1], 0x8
	;; [unrolled: 1-line block ×3, first 2 shown]
	s_wait_kmcnt 0x0
	s_bitcmp1_b32 s13, 0
	v_dual_mov_b32 v7, s5 :: v_dual_mov_b32 v6, s4
	s_cselect_b32 s6, -1, 0
	s_delay_alu instid0(SALU_CYCLE_1)
	s_and_b32 vcc_lo, exec_lo, s6
	s_xor_b32 s6, s6, -1
	s_cbranch_vccnz .LBB6_2
; %bb.1:
	v_dual_mov_b32 v1, s4 :: v_dual_mov_b32 v2, s5
	flat_load_b64 v[6:7], v[1:2]
.LBB6_2:
	v_dual_mov_b32 v5, s3 :: v_dual_mov_b32 v4, s2
	s_and_not1_b32 vcc_lo, exec_lo, s6
	s_cbranch_vccnz .LBB6_4
; %bb.3:
	v_dual_mov_b32 v1, s2 :: v_dual_mov_b32 v2, s3
	flat_load_b64 v[4:5], v[1:2]
.LBB6_4:
	s_wait_loadcnt_dscnt 0x0
	v_cmp_neq_f64_e32 vcc_lo, 0, v[6:7]
	v_cmp_neq_f64_e64 s2, 1.0, v[4:5]
	s_or_b32 s2, vcc_lo, s2
	s_wait_alu 0xfffe
	s_and_saveexec_b32 s3, s2
	s_cbranch_execz .LBB6_10
; %bb.5:
	s_clause 0x1
	s_load_b64 s[4:5], s[0:1], 0x18
	s_load_b64 s[2:3], s[0:1], 0x0
	v_lshrrev_b32_e32 v1, 3, v0
	s_delay_alu instid0(VALU_DEP_1)
	v_lshl_or_b32 v8, ttmp9, 5, v1
	s_wait_kmcnt 0x0
	s_cmp_lg_u64 s[4:5], 0
	s_cbranch_scc0 .LBB6_11
; %bb.6:
	s_load_b32 s6, s[0:1], 0x10
	s_mov_b32 s7, 0
                                        ; implicit-def: $vgpr1
	s_wait_kmcnt 0x0
	v_cmp_gt_i32_e32 vcc_lo, s6, v8
	s_mov_b32 s6, 0
	s_and_saveexec_b32 s8, vcc_lo
	s_delay_alu instid0(SALU_CYCLE_1)
	s_xor_b32 s8, exec_lo, s8
	s_cbranch_execz .LBB6_8
; %bb.7:
	v_ashrrev_i32_e32 v9, 31, v8
	s_mov_b32 s6, exec_lo
	s_delay_alu instid0(VALU_DEP_1) | instskip(NEXT) | instid1(VALU_DEP_1)
	v_lshlrev_b64_e32 v[1:2], 2, v[8:9]
	v_add_co_u32 v1, vcc_lo, s4, v1
	s_delay_alu instid0(VALU_DEP_1)
	v_add_co_ci_u32_e64 v2, null, s5, v2, vcc_lo
	global_load_b32 v1, v[1:2], off
	s_wait_loadcnt 0x0
	v_subrev_nc_u32_e32 v1, s12, v1
.LBB6_8:
	s_or_b32 exec_lo, exec_lo, s8
	s_delay_alu instid0(SALU_CYCLE_1)
	s_and_b32 vcc_lo, exec_lo, s7
	s_wait_alu 0xfffe
	s_cbranch_vccz .LBB6_12
.LBB6_9:
	v_cmp_gt_i32_e32 vcc_lo, s2, v8
	s_and_not1_b32 s2, s6, exec_lo
	s_and_b32 s4, vcc_lo, exec_lo
	s_wait_alu 0xfffe
	s_or_b32 s6, s2, s4
	s_wait_alu 0xfffe
	s_and_b32 exec_lo, exec_lo, s6
	s_cbranch_execnz .LBB6_13
.LBB6_10:
	s_endpgm
.LBB6_11:
	s_mov_b32 s6, 0
                                        ; implicit-def: $vgpr1
	s_cbranch_execnz .LBB6_9
.LBB6_12:
	v_mov_b32_e32 v8, v1
	s_and_b32 exec_lo, exec_lo, s6
	s_cbranch_execz .LBB6_10
.LBB6_13:
	s_load_b256 s[4:11], s[0:1], 0x20
	s_delay_alu instid0(VALU_DEP_1) | instskip(SKIP_1) | instid1(VALU_DEP_2)
	v_ashrrev_i32_e32 v9, 31, v8
	v_and_b32_e32 v19, 7, v0
	v_lshlrev_b64_e32 v[1:2], 2, v[8:9]
	s_wait_kmcnt 0x0
	s_delay_alu instid0(VALU_DEP_1) | instskip(SKIP_1) | instid1(VALU_DEP_2)
	v_add_co_u32 v9, vcc_lo, s4, v1
	s_wait_alu 0xfffd
	v_add_co_ci_u32_e64 v10, null, s5, v2, vcc_lo
	v_add_co_u32 v1, vcc_lo, s6, v1
	s_wait_alu 0xfffd
	v_add_co_ci_u32_e64 v2, null, s7, v2, vcc_lo
	;; [unrolled: 3-line block ×3, first 2 shown]
	s_cmp_eq_u64 s[6:7], 0
	global_load_b32 v9, v[9:10], off
	s_cselect_b32 vcc_lo, -1, 0
	s_load_b64 s[4:5], s[0:1], 0x40
	v_cndmask_b32_e32 v2, v2, v11, vcc_lo
	v_cndmask_b32_e32 v1, v1, v3, vcc_lo
	s_cmp_eq_u32 s3, 1
	global_load_b32 v1, v[1:2], off
	s_wait_loadcnt 0x1
	v_subrev_nc_u32_e32 v0, s12, v9
	s_delay_alu instid0(VALU_DEP_1) | instskip(SKIP_2) | instid1(VALU_DEP_2)
	v_add_nc_u32_e32 v11, v0, v19
	s_wait_loadcnt 0x0
	v_subrev_nc_u32_e32 v20, s12, v1
	v_mad_co_i64_i32 v[13:14], null, 0x48, v11, s[10:11]
	s_delay_alu instid0(VALU_DEP_2)
	v_cmp_lt_i32_e64 s2, v11, v20
	s_cbranch_scc1 .LBB6_19
; %bb.14:
	v_mov_b32_e32 v0, 0
	v_dual_mov_b32 v1, 0 :: v_dual_mov_b32 v2, 0
	v_mov_b32_e32 v9, 0
	v_dual_mov_b32 v3, 0 :: v_dual_mov_b32 v10, 0
	s_and_saveexec_b32 s6, s2
	s_cbranch_execz .LBB6_18
; %bb.15:
	v_mov_b32_e32 v0, 0
	v_dual_mov_b32 v1, 0 :: v_dual_mov_b32 v16, v14
	v_dual_mov_b32 v2, 0 :: v_dual_mov_b32 v9, 0
	v_mov_b32_e32 v15, v13
	v_dual_mov_b32 v3, 0 :: v_dual_mov_b32 v10, 0
	v_mov_b32_e32 v17, v11
	s_mov_b32 s7, 0
.LBB6_16:                               ; =>This Inner Loop Header: Depth=1
	s_delay_alu instid0(VALU_DEP_1) | instskip(NEXT) | instid1(VALU_DEP_1)
	v_ashrrev_i32_e32 v18, 31, v17
	v_lshlrev_b64_e32 v[21:22], 2, v[17:18]
	v_add_nc_u32_e32 v17, 8, v17
	s_delay_alu instid0(VALU_DEP_2) | instskip(SKIP_1) | instid1(VALU_DEP_3)
	v_add_co_u32 v21, vcc_lo, s8, v21
	s_wait_alu 0xfffd
	v_add_co_ci_u32_e64 v22, null, s9, v22, vcc_lo
	global_load_b32 v12, v[21:22], off
	global_load_b128 v[21:24], v[15:16], off offset:48
	s_wait_loadcnt 0x1
	v_subrev_nc_u32_e32 v12, s12, v12
	s_delay_alu instid0(VALU_DEP_1) | instskip(NEXT) | instid1(VALU_DEP_1)
	v_lshl_add_u32 v25, v12, 1, v12
	v_ashrrev_i32_e32 v26, 31, v25
	s_delay_alu instid0(VALU_DEP_1) | instskip(SKIP_1) | instid1(VALU_DEP_1)
	v_lshlrev_b64_e32 v[25:26], 3, v[25:26]
	s_wait_kmcnt 0x0
	v_add_co_u32 v37, vcc_lo, s4, v25
	s_wait_alu 0xfffd
	s_delay_alu instid0(VALU_DEP_2)
	v_add_co_ci_u32_e64 v38, null, s5, v26, vcc_lo
	v_cmp_ge_i32_e32 vcc_lo, v17, v20
	s_clause 0x1
	global_load_b128 v[25:28], v[15:16], off offset:16
	global_load_b128 v[29:32], v[15:16], off
	s_clause 0x1
	global_load_b128 v[33:36], v[37:38], off
	global_load_b64 v[41:42], v[37:38], off offset:16
	s_clause 0x1
	global_load_b128 v[37:40], v[15:16], off offset:32
	global_load_b64 v[43:44], v[15:16], off offset:64
	v_add_co_u32 v15, s3, 0x240, v15
	s_wait_alu 0xf1ff
	v_add_co_ci_u32_e64 v16, null, 0, v16, s3
	s_wait_alu 0xfffe
	s_or_b32 s7, vcc_lo, s7
	s_wait_loadcnt 0x3
	v_fma_f64 v[9:10], v[29:30], v[33:34], v[9:10]
	v_fma_f64 v[2:3], v[27:28], v[33:34], v[2:3]
	;; [unrolled: 1-line block ×3, first 2 shown]
	s_delay_alu instid0(VALU_DEP_3) | instskip(SKIP_1) | instid1(VALU_DEP_3)
	v_fma_f64 v[9:10], v[31:32], v[35:36], v[9:10]
	s_wait_loadcnt 0x1
	v_fma_f64 v[2:3], v[37:38], v[35:36], v[2:3]
	s_delay_alu instid0(VALU_DEP_3) | instskip(NEXT) | instid1(VALU_DEP_3)
	v_fma_f64 v[0:1], v[23:24], v[35:36], v[0:1]
	v_fma_f64 v[9:10], v[25:26], v[41:42], v[9:10]
	s_delay_alu instid0(VALU_DEP_3) | instskip(SKIP_1) | instid1(VALU_DEP_3)
	v_fma_f64 v[2:3], v[39:40], v[41:42], v[2:3]
	s_wait_loadcnt 0x0
	v_fma_f64 v[0:1], v[43:44], v[41:42], v[0:1]
	s_wait_alu 0xfffe
	s_and_not1_b32 exec_lo, exec_lo, s7
	s_cbranch_execnz .LBB6_16
; %bb.17:
	s_or_b32 exec_lo, exec_lo, s7
.LBB6_18:
	s_wait_alu 0xfffe
	s_or_b32 exec_lo, exec_lo, s6
	s_cbranch_execz .LBB6_20
	s_branch .LBB6_25
.LBB6_19:
                                        ; implicit-def: $vgpr0_vgpr1
                                        ; implicit-def: $vgpr2_vgpr3
                                        ; implicit-def: $vgpr9_vgpr10
.LBB6_20:
	v_mov_b32_e32 v0, 0
	v_dual_mov_b32 v1, 0 :: v_dual_mov_b32 v2, 0
	v_mov_b32_e32 v9, 0
	v_dual_mov_b32 v3, 0 :: v_dual_mov_b32 v10, 0
	s_and_saveexec_b32 s3, s2
	s_cbranch_execz .LBB6_24
; %bb.21:
	v_mov_b32_e32 v0, 0
	v_dual_mov_b32 v1, 0 :: v_dual_mov_b32 v2, 0
	v_mov_b32_e32 v9, 0
	v_dual_mov_b32 v3, 0 :: v_dual_mov_b32 v10, 0
	s_mov_b32 s6, 0
.LBB6_22:                               ; =>This Inner Loop Header: Depth=1
	v_ashrrev_i32_e32 v12, 31, v11
	s_delay_alu instid0(VALU_DEP_1) | instskip(SKIP_1) | instid1(VALU_DEP_2)
	v_lshlrev_b64_e32 v[15:16], 2, v[11:12]
	v_add_nc_u32_e32 v11, 8, v11
	v_add_co_u32 v15, vcc_lo, s8, v15
	s_wait_alu 0xfffd
	s_delay_alu instid0(VALU_DEP_3) | instskip(SKIP_3) | instid1(VALU_DEP_1)
	v_add_co_ci_u32_e64 v16, null, s9, v16, vcc_lo
	global_load_b32 v12, v[15:16], off
	s_wait_loadcnt 0x0
	v_subrev_nc_u32_e32 v12, s12, v12
	v_lshl_add_u32 v15, v12, 1, v12
	s_delay_alu instid0(VALU_DEP_1) | instskip(NEXT) | instid1(VALU_DEP_1)
	v_ashrrev_i32_e32 v16, 31, v15
	v_lshlrev_b64_e32 v[15:16], 3, v[15:16]
	s_wait_kmcnt 0x0
	s_delay_alu instid0(VALU_DEP_1) | instskip(SKIP_1) | instid1(VALU_DEP_2)
	v_add_co_u32 v29, vcc_lo, s4, v15
	s_wait_alu 0xfffd
	v_add_co_ci_u32_e64 v30, null, s5, v16, vcc_lo
	v_cmp_ge_i32_e32 vcc_lo, v11, v20
	s_clause 0x1
	global_load_b128 v[15:18], v[13:14], off offset:16
	global_load_b128 v[21:24], v[13:14], off
	s_clause 0x1
	global_load_b128 v[25:28], v[29:30], off
	global_load_b64 v[37:38], v[29:30], off offset:16
	s_clause 0x2
	global_load_b128 v[29:32], v[13:14], off offset:32
	global_load_b128 v[33:36], v[13:14], off offset:48
	global_load_b64 v[39:40], v[13:14], off offset:64
	v_add_co_u32 v13, s2, 0x240, v13
	s_wait_alu 0xf1ff
	v_add_co_ci_u32_e64 v14, null, 0, v14, s2
	s_wait_alu 0xfffe
	s_or_b32 s6, vcc_lo, s6
	s_wait_loadcnt 0x4
	v_fma_f64 v[9:10], v[21:22], v[25:26], v[9:10]
	v_fma_f64 v[2:3], v[23:24], v[25:26], v[2:3]
	;; [unrolled: 1-line block ×3, first 2 shown]
	s_delay_alu instid0(VALU_DEP_3) | instskip(SKIP_1) | instid1(VALU_DEP_3)
	v_fma_f64 v[9:10], v[17:18], v[27:28], v[9:10]
	s_wait_loadcnt 0x2
	v_fma_f64 v[2:3], v[29:30], v[27:28], v[2:3]
	s_delay_alu instid0(VALU_DEP_3) | instskip(SKIP_1) | instid1(VALU_DEP_3)
	v_fma_f64 v[0:1], v[31:32], v[27:28], v[0:1]
	s_wait_loadcnt 0x1
	v_fma_f64 v[9:10], v[33:34], v[37:38], v[9:10]
	;; [unrolled: 4-line block ×3, first 2 shown]
	s_wait_alu 0xfffe
	s_and_not1_b32 exec_lo, exec_lo, s6
	s_cbranch_execnz .LBB6_22
; %bb.23:
	s_or_b32 exec_lo, exec_lo, s6
.LBB6_24:
	s_wait_alu 0xfffe
	s_or_b32 exec_lo, exec_lo, s3
.LBB6_25:
	v_mbcnt_lo_u32_b32 v17, -1, 0
	s_delay_alu instid0(VALU_DEP_1) | instskip(NEXT) | instid1(VALU_DEP_1)
	v_xor_b32_e32 v11, 4, v17
	v_cmp_gt_i32_e32 vcc_lo, 32, v11
	s_wait_alu 0xfffd
	v_cndmask_b32_e32 v11, v17, v11, vcc_lo
	s_delay_alu instid0(VALU_DEP_1)
	v_lshlrev_b32_e32 v16, 2, v11
	ds_bpermute_b32 v11, v16, v9
	ds_bpermute_b32 v12, v16, v10
	;; [unrolled: 1-line block ×6, first 2 shown]
	s_wait_dscnt 0x4
	v_add_f64_e32 v[9:10], v[9:10], v[11:12]
	s_wait_dscnt 0x2
	v_add_f64_e32 v[2:3], v[2:3], v[13:14]
	;; [unrolled: 2-line block ×3, first 2 shown]
	v_xor_b32_e32 v0, 2, v17
	s_delay_alu instid0(VALU_DEP_1) | instskip(SKIP_2) | instid1(VALU_DEP_1)
	v_cmp_gt_i32_e32 vcc_lo, 32, v0
	s_wait_alu 0xfffd
	v_cndmask_b32_e32 v0, v17, v0, vcc_lo
	v_lshlrev_b32_e32 v16, 2, v0
	ds_bpermute_b32 v0, v16, v9
	ds_bpermute_b32 v1, v16, v10
	;; [unrolled: 1-line block ×6, first 2 shown]
	s_wait_dscnt 0x4
	v_add_f64_e32 v[9:10], v[9:10], v[0:1]
	s_wait_dscnt 0x2
	v_add_f64_e32 v[0:1], v[2:3], v[13:14]
	;; [unrolled: 2-line block ×3, first 2 shown]
	v_xor_b32_e32 v11, 1, v17
	s_delay_alu instid0(VALU_DEP_1) | instskip(SKIP_3) | instid1(VALU_DEP_2)
	v_cmp_gt_i32_e32 vcc_lo, 32, v11
	s_wait_alu 0xfffd
	v_cndmask_b32_e32 v11, v17, v11, vcc_lo
	v_cmp_eq_u32_e32 vcc_lo, 7, v19
	v_lshlrev_b32_e32 v12, 2, v11
	ds_bpermute_b32 v15, v12, v9
	ds_bpermute_b32 v16, v12, v10
	;; [unrolled: 1-line block ×6, first 2 shown]
	s_and_b32 exec_lo, exec_lo, vcc_lo
	s_cbranch_execz .LBB6_10
; %bb.26:
	s_wait_dscnt 0x4
	v_add_f64_e32 v[9:10], v[9:10], v[15:16]
	s_wait_dscnt 0x2
	v_add_f64_e32 v[13:14], v[0:1], v[13:14]
	;; [unrolled: 2-line block ×3, first 2 shown]
	s_load_b64 s[0:1], s[0:1], 0x50
	v_lshl_add_u32 v8, v8, 1, v8
	s_mov_b32 s2, exec_lo
	s_delay_alu instid0(VALU_DEP_4) | instskip(NEXT) | instid1(VALU_DEP_4)
	v_mul_f64_e32 v[0:1], v[6:7], v[9:10]
	v_mul_f64_e32 v[2:3], v[6:7], v[13:14]
	s_delay_alu instid0(VALU_DEP_4)
	v_mul_f64_e32 v[6:7], v[6:7], v[11:12]
	v_ashrrev_i32_e32 v9, 31, v8
	v_cmpx_eq_f64_e32 0, v[4:5]
	s_wait_alu 0xfffe
	s_xor_b32 s2, exec_lo, s2
	s_cbranch_execz .LBB6_28
; %bb.27:
	v_lshlrev_b64_e32 v[4:5], 3, v[8:9]
                                        ; implicit-def: $vgpr8
	s_wait_kmcnt 0x0
	s_delay_alu instid0(VALU_DEP_1) | instskip(SKIP_1) | instid1(VALU_DEP_2)
	v_add_co_u32 v4, vcc_lo, s0, v4
	s_wait_alu 0xfffd
	v_add_co_ci_u32_e64 v5, null, s1, v5, vcc_lo
	s_clause 0x1
	global_store_b128 v[4:5], v[0:3], off
	global_store_b64 v[4:5], v[6:7], off offset:16
                                        ; implicit-def: $vgpr4_vgpr5
                                        ; implicit-def: $vgpr0_vgpr1
                                        ; implicit-def: $vgpr6_vgpr7
.LBB6_28:
	s_wait_alu 0xfffe
	s_and_not1_saveexec_b32 s2, s2
	s_cbranch_execz .LBB6_10
; %bb.29:
	v_lshlrev_b64_e32 v[8:9], 3, v[8:9]
	s_wait_kmcnt 0x0
	s_delay_alu instid0(VALU_DEP_1) | instskip(SKIP_1) | instid1(VALU_DEP_2)
	v_add_co_u32 v12, vcc_lo, s0, v8
	s_wait_alu 0xfffd
	v_add_co_ci_u32_e64 v13, null, s1, v9, vcc_lo
	s_clause 0x1
	global_load_b128 v[8:11], v[12:13], off
	global_load_b64 v[14:15], v[12:13], off offset:16
	s_wait_loadcnt 0x1
	v_fma_f64 v[0:1], v[4:5], v[8:9], v[0:1]
	v_fma_f64 v[2:3], v[4:5], v[10:11], v[2:3]
	s_wait_loadcnt 0x0
	v_fma_f64 v[4:5], v[4:5], v[14:15], v[6:7]
	s_clause 0x1
	global_store_b128 v[12:13], v[0:3], off
	global_store_b64 v[12:13], v[4:5], off offset:16
	s_endpgm
	.section	.rodata,"a",@progbits
	.p2align	6, 0x0
	.amdhsa_kernel _ZN9rocsparseL18bsrxmvn_3x3_kernelILj256ELj8EdiidddEEvT3_20rocsparse_direction_NS_24const_host_device_scalarIT1_EES1_PKS1_PKT2_SA_S7_PKT4_PKT5_S5_PT6_21rocsparse_index_base_b
		.amdhsa_group_segment_fixed_size 0
		.amdhsa_private_segment_fixed_size 0
		.amdhsa_kernarg_size 96
		.amdhsa_user_sgpr_count 2
		.amdhsa_user_sgpr_dispatch_ptr 0
		.amdhsa_user_sgpr_queue_ptr 0
		.amdhsa_user_sgpr_kernarg_segment_ptr 1
		.amdhsa_user_sgpr_dispatch_id 0
		.amdhsa_user_sgpr_private_segment_size 0
		.amdhsa_wavefront_size32 1
		.amdhsa_uses_dynamic_stack 0
		.amdhsa_enable_private_segment 0
		.amdhsa_system_sgpr_workgroup_id_x 1
		.amdhsa_system_sgpr_workgroup_id_y 0
		.amdhsa_system_sgpr_workgroup_id_z 0
		.amdhsa_system_sgpr_workgroup_info 0
		.amdhsa_system_vgpr_workitem_id 0
		.amdhsa_next_free_vgpr 45
		.amdhsa_next_free_sgpr 14
		.amdhsa_reserve_vcc 1
		.amdhsa_float_round_mode_32 0
		.amdhsa_float_round_mode_16_64 0
		.amdhsa_float_denorm_mode_32 3
		.amdhsa_float_denorm_mode_16_64 3
		.amdhsa_fp16_overflow 0
		.amdhsa_workgroup_processor_mode 1
		.amdhsa_memory_ordered 1
		.amdhsa_forward_progress 1
		.amdhsa_inst_pref_size 16
		.amdhsa_round_robin_scheduling 0
		.amdhsa_exception_fp_ieee_invalid_op 0
		.amdhsa_exception_fp_denorm_src 0
		.amdhsa_exception_fp_ieee_div_zero 0
		.amdhsa_exception_fp_ieee_overflow 0
		.amdhsa_exception_fp_ieee_underflow 0
		.amdhsa_exception_fp_ieee_inexact 0
		.amdhsa_exception_int_div_zero 0
	.end_amdhsa_kernel
	.section	.text._ZN9rocsparseL18bsrxmvn_3x3_kernelILj256ELj8EdiidddEEvT3_20rocsparse_direction_NS_24const_host_device_scalarIT1_EES1_PKS1_PKT2_SA_S7_PKT4_PKT5_S5_PT6_21rocsparse_index_base_b,"axG",@progbits,_ZN9rocsparseL18bsrxmvn_3x3_kernelILj256ELj8EdiidddEEvT3_20rocsparse_direction_NS_24const_host_device_scalarIT1_EES1_PKS1_PKT2_SA_S7_PKT4_PKT5_S5_PT6_21rocsparse_index_base_b,comdat
.Lfunc_end6:
	.size	_ZN9rocsparseL18bsrxmvn_3x3_kernelILj256ELj8EdiidddEEvT3_20rocsparse_direction_NS_24const_host_device_scalarIT1_EES1_PKS1_PKT2_SA_S7_PKT4_PKT5_S5_PT6_21rocsparse_index_base_b, .Lfunc_end6-_ZN9rocsparseL18bsrxmvn_3x3_kernelILj256ELj8EdiidddEEvT3_20rocsparse_direction_NS_24const_host_device_scalarIT1_EES1_PKS1_PKT2_SA_S7_PKT4_PKT5_S5_PT6_21rocsparse_index_base_b
                                        ; -- End function
	.set _ZN9rocsparseL18bsrxmvn_3x3_kernelILj256ELj8EdiidddEEvT3_20rocsparse_direction_NS_24const_host_device_scalarIT1_EES1_PKS1_PKT2_SA_S7_PKT4_PKT5_S5_PT6_21rocsparse_index_base_b.num_vgpr, 45
	.set _ZN9rocsparseL18bsrxmvn_3x3_kernelILj256ELj8EdiidddEEvT3_20rocsparse_direction_NS_24const_host_device_scalarIT1_EES1_PKS1_PKT2_SA_S7_PKT4_PKT5_S5_PT6_21rocsparse_index_base_b.num_agpr, 0
	.set _ZN9rocsparseL18bsrxmvn_3x3_kernelILj256ELj8EdiidddEEvT3_20rocsparse_direction_NS_24const_host_device_scalarIT1_EES1_PKS1_PKT2_SA_S7_PKT4_PKT5_S5_PT6_21rocsparse_index_base_b.numbered_sgpr, 14
	.set _ZN9rocsparseL18bsrxmvn_3x3_kernelILj256ELj8EdiidddEEvT3_20rocsparse_direction_NS_24const_host_device_scalarIT1_EES1_PKS1_PKT2_SA_S7_PKT4_PKT5_S5_PT6_21rocsparse_index_base_b.num_named_barrier, 0
	.set _ZN9rocsparseL18bsrxmvn_3x3_kernelILj256ELj8EdiidddEEvT3_20rocsparse_direction_NS_24const_host_device_scalarIT1_EES1_PKS1_PKT2_SA_S7_PKT4_PKT5_S5_PT6_21rocsparse_index_base_b.private_seg_size, 0
	.set _ZN9rocsparseL18bsrxmvn_3x3_kernelILj256ELj8EdiidddEEvT3_20rocsparse_direction_NS_24const_host_device_scalarIT1_EES1_PKS1_PKT2_SA_S7_PKT4_PKT5_S5_PT6_21rocsparse_index_base_b.uses_vcc, 1
	.set _ZN9rocsparseL18bsrxmvn_3x3_kernelILj256ELj8EdiidddEEvT3_20rocsparse_direction_NS_24const_host_device_scalarIT1_EES1_PKS1_PKT2_SA_S7_PKT4_PKT5_S5_PT6_21rocsparse_index_base_b.uses_flat_scratch, 0
	.set _ZN9rocsparseL18bsrxmvn_3x3_kernelILj256ELj8EdiidddEEvT3_20rocsparse_direction_NS_24const_host_device_scalarIT1_EES1_PKS1_PKT2_SA_S7_PKT4_PKT5_S5_PT6_21rocsparse_index_base_b.has_dyn_sized_stack, 0
	.set _ZN9rocsparseL18bsrxmvn_3x3_kernelILj256ELj8EdiidddEEvT3_20rocsparse_direction_NS_24const_host_device_scalarIT1_EES1_PKS1_PKT2_SA_S7_PKT4_PKT5_S5_PT6_21rocsparse_index_base_b.has_recursion, 0
	.set _ZN9rocsparseL18bsrxmvn_3x3_kernelILj256ELj8EdiidddEEvT3_20rocsparse_direction_NS_24const_host_device_scalarIT1_EES1_PKS1_PKT2_SA_S7_PKT4_PKT5_S5_PT6_21rocsparse_index_base_b.has_indirect_call, 0
	.section	.AMDGPU.csdata,"",@progbits
; Kernel info:
; codeLenInByte = 2004
; TotalNumSgprs: 16
; NumVgprs: 45
; ScratchSize: 0
; MemoryBound: 1
; FloatMode: 240
; IeeeMode: 1
; LDSByteSize: 0 bytes/workgroup (compile time only)
; SGPRBlocks: 0
; VGPRBlocks: 5
; NumSGPRsForWavesPerEU: 16
; NumVGPRsForWavesPerEU: 45
; Occupancy: 16
; WaveLimiterHint : 1
; COMPUTE_PGM_RSRC2:SCRATCH_EN: 0
; COMPUTE_PGM_RSRC2:USER_SGPR: 2
; COMPUTE_PGM_RSRC2:TRAP_HANDLER: 0
; COMPUTE_PGM_RSRC2:TGID_X_EN: 1
; COMPUTE_PGM_RSRC2:TGID_Y_EN: 0
; COMPUTE_PGM_RSRC2:TGID_Z_EN: 0
; COMPUTE_PGM_RSRC2:TIDIG_COMP_CNT: 0
	.section	.text._ZN9rocsparseL18bsrxmvn_3x3_kernelILj256ELj16EdiidddEEvT3_20rocsparse_direction_NS_24const_host_device_scalarIT1_EES1_PKS1_PKT2_SA_S7_PKT4_PKT5_S5_PT6_21rocsparse_index_base_b,"axG",@progbits,_ZN9rocsparseL18bsrxmvn_3x3_kernelILj256ELj16EdiidddEEvT3_20rocsparse_direction_NS_24const_host_device_scalarIT1_EES1_PKS1_PKT2_SA_S7_PKT4_PKT5_S5_PT6_21rocsparse_index_base_b,comdat
	.globl	_ZN9rocsparseL18bsrxmvn_3x3_kernelILj256ELj16EdiidddEEvT3_20rocsparse_direction_NS_24const_host_device_scalarIT1_EES1_PKS1_PKT2_SA_S7_PKT4_PKT5_S5_PT6_21rocsparse_index_base_b ; -- Begin function _ZN9rocsparseL18bsrxmvn_3x3_kernelILj256ELj16EdiidddEEvT3_20rocsparse_direction_NS_24const_host_device_scalarIT1_EES1_PKS1_PKT2_SA_S7_PKT4_PKT5_S5_PT6_21rocsparse_index_base_b
	.p2align	8
	.type	_ZN9rocsparseL18bsrxmvn_3x3_kernelILj256ELj16EdiidddEEvT3_20rocsparse_direction_NS_24const_host_device_scalarIT1_EES1_PKS1_PKT2_SA_S7_PKT4_PKT5_S5_PT6_21rocsparse_index_base_b,@function
_ZN9rocsparseL18bsrxmvn_3x3_kernelILj256ELj16EdiidddEEvT3_20rocsparse_direction_NS_24const_host_device_scalarIT1_EES1_PKS1_PKT2_SA_S7_PKT4_PKT5_S5_PT6_21rocsparse_index_base_b: ; @_ZN9rocsparseL18bsrxmvn_3x3_kernelILj256ELj16EdiidddEEvT3_20rocsparse_direction_NS_24const_host_device_scalarIT1_EES1_PKS1_PKT2_SA_S7_PKT4_PKT5_S5_PT6_21rocsparse_index_base_b
; %bb.0:
	s_clause 0x2
	s_load_b64 s[12:13], s[0:1], 0x58
	s_load_b64 s[4:5], s[0:1], 0x8
	;; [unrolled: 1-line block ×3, first 2 shown]
	s_wait_kmcnt 0x0
	s_bitcmp1_b32 s13, 0
	v_dual_mov_b32 v7, s5 :: v_dual_mov_b32 v6, s4
	s_cselect_b32 s6, -1, 0
	s_delay_alu instid0(SALU_CYCLE_1)
	s_and_b32 vcc_lo, exec_lo, s6
	s_xor_b32 s6, s6, -1
	s_cbranch_vccnz .LBB7_2
; %bb.1:
	v_dual_mov_b32 v1, s4 :: v_dual_mov_b32 v2, s5
	flat_load_b64 v[6:7], v[1:2]
.LBB7_2:
	v_dual_mov_b32 v5, s3 :: v_dual_mov_b32 v4, s2
	s_and_not1_b32 vcc_lo, exec_lo, s6
	s_cbranch_vccnz .LBB7_4
; %bb.3:
	v_dual_mov_b32 v1, s2 :: v_dual_mov_b32 v2, s3
	flat_load_b64 v[4:5], v[1:2]
.LBB7_4:
	s_wait_loadcnt_dscnt 0x0
	v_cmp_neq_f64_e32 vcc_lo, 0, v[6:7]
	v_cmp_neq_f64_e64 s2, 1.0, v[4:5]
	s_or_b32 s2, vcc_lo, s2
	s_wait_alu 0xfffe
	s_and_saveexec_b32 s3, s2
	s_cbranch_execz .LBB7_10
; %bb.5:
	s_clause 0x1
	s_load_b64 s[4:5], s[0:1], 0x18
	s_load_b64 s[2:3], s[0:1], 0x0
	v_lshrrev_b32_e32 v1, 4, v0
	s_delay_alu instid0(VALU_DEP_1)
	v_lshl_or_b32 v8, ttmp9, 4, v1
	s_wait_kmcnt 0x0
	s_cmp_lg_u64 s[4:5], 0
	s_cbranch_scc0 .LBB7_11
; %bb.6:
	s_load_b32 s6, s[0:1], 0x10
	s_mov_b32 s7, 0
                                        ; implicit-def: $vgpr1
	s_wait_kmcnt 0x0
	v_cmp_gt_i32_e32 vcc_lo, s6, v8
	s_mov_b32 s6, 0
	s_and_saveexec_b32 s8, vcc_lo
	s_delay_alu instid0(SALU_CYCLE_1)
	s_xor_b32 s8, exec_lo, s8
	s_cbranch_execz .LBB7_8
; %bb.7:
	v_ashrrev_i32_e32 v9, 31, v8
	s_mov_b32 s6, exec_lo
	s_delay_alu instid0(VALU_DEP_1) | instskip(NEXT) | instid1(VALU_DEP_1)
	v_lshlrev_b64_e32 v[1:2], 2, v[8:9]
	v_add_co_u32 v1, vcc_lo, s4, v1
	s_delay_alu instid0(VALU_DEP_1)
	v_add_co_ci_u32_e64 v2, null, s5, v2, vcc_lo
	global_load_b32 v1, v[1:2], off
	s_wait_loadcnt 0x0
	v_subrev_nc_u32_e32 v1, s12, v1
.LBB7_8:
	s_or_b32 exec_lo, exec_lo, s8
	s_delay_alu instid0(SALU_CYCLE_1)
	s_and_b32 vcc_lo, exec_lo, s7
	s_wait_alu 0xfffe
	s_cbranch_vccz .LBB7_12
.LBB7_9:
	v_cmp_gt_i32_e32 vcc_lo, s2, v8
	s_and_not1_b32 s2, s6, exec_lo
	s_and_b32 s4, vcc_lo, exec_lo
	s_wait_alu 0xfffe
	s_or_b32 s6, s2, s4
	s_wait_alu 0xfffe
	s_and_b32 exec_lo, exec_lo, s6
	s_cbranch_execnz .LBB7_13
.LBB7_10:
	s_endpgm
.LBB7_11:
	s_mov_b32 s6, 0
                                        ; implicit-def: $vgpr1
	s_cbranch_execnz .LBB7_9
.LBB7_12:
	v_mov_b32_e32 v8, v1
	s_and_b32 exec_lo, exec_lo, s6
	s_cbranch_execz .LBB7_10
.LBB7_13:
	s_load_b256 s[4:11], s[0:1], 0x20
	s_delay_alu instid0(VALU_DEP_1) | instskip(SKIP_1) | instid1(VALU_DEP_2)
	v_ashrrev_i32_e32 v9, 31, v8
	v_and_b32_e32 v19, 15, v0
	v_lshlrev_b64_e32 v[1:2], 2, v[8:9]
	s_wait_kmcnt 0x0
	s_delay_alu instid0(VALU_DEP_1) | instskip(SKIP_1) | instid1(VALU_DEP_2)
	v_add_co_u32 v9, vcc_lo, s4, v1
	s_wait_alu 0xfffd
	v_add_co_ci_u32_e64 v10, null, s5, v2, vcc_lo
	v_add_co_u32 v1, vcc_lo, s6, v1
	s_wait_alu 0xfffd
	v_add_co_ci_u32_e64 v2, null, s7, v2, vcc_lo
	;; [unrolled: 3-line block ×3, first 2 shown]
	s_cmp_eq_u64 s[6:7], 0
	global_load_b32 v9, v[9:10], off
	s_cselect_b32 vcc_lo, -1, 0
	s_load_b64 s[4:5], s[0:1], 0x40
	v_cndmask_b32_e32 v2, v2, v11, vcc_lo
	v_cndmask_b32_e32 v1, v1, v3, vcc_lo
	s_cmp_eq_u32 s3, 1
	global_load_b32 v1, v[1:2], off
	s_wait_loadcnt 0x1
	v_subrev_nc_u32_e32 v0, s12, v9
	s_delay_alu instid0(VALU_DEP_1) | instskip(SKIP_2) | instid1(VALU_DEP_2)
	v_add_nc_u32_e32 v11, v0, v19
	s_wait_loadcnt 0x0
	v_subrev_nc_u32_e32 v20, s12, v1
	v_mad_co_i64_i32 v[13:14], null, 0x48, v11, s[10:11]
	s_delay_alu instid0(VALU_DEP_2)
	v_cmp_lt_i32_e64 s2, v11, v20
	s_cbranch_scc1 .LBB7_19
; %bb.14:
	v_mov_b32_e32 v0, 0
	v_dual_mov_b32 v1, 0 :: v_dual_mov_b32 v2, 0
	v_mov_b32_e32 v9, 0
	v_dual_mov_b32 v3, 0 :: v_dual_mov_b32 v10, 0
	s_and_saveexec_b32 s6, s2
	s_cbranch_execz .LBB7_18
; %bb.15:
	v_mov_b32_e32 v0, 0
	v_dual_mov_b32 v1, 0 :: v_dual_mov_b32 v16, v14
	v_dual_mov_b32 v2, 0 :: v_dual_mov_b32 v9, 0
	v_mov_b32_e32 v15, v13
	v_dual_mov_b32 v3, 0 :: v_dual_mov_b32 v10, 0
	v_mov_b32_e32 v17, v11
	s_mov_b32 s7, 0
.LBB7_16:                               ; =>This Inner Loop Header: Depth=1
	s_delay_alu instid0(VALU_DEP_1) | instskip(NEXT) | instid1(VALU_DEP_1)
	v_ashrrev_i32_e32 v18, 31, v17
	v_lshlrev_b64_e32 v[21:22], 2, v[17:18]
	v_add_nc_u32_e32 v17, 16, v17
	s_delay_alu instid0(VALU_DEP_2) | instskip(SKIP_1) | instid1(VALU_DEP_3)
	v_add_co_u32 v21, vcc_lo, s8, v21
	s_wait_alu 0xfffd
	v_add_co_ci_u32_e64 v22, null, s9, v22, vcc_lo
	global_load_b32 v12, v[21:22], off
	global_load_b128 v[21:24], v[15:16], off offset:48
	s_wait_loadcnt 0x1
	v_subrev_nc_u32_e32 v12, s12, v12
	s_delay_alu instid0(VALU_DEP_1) | instskip(NEXT) | instid1(VALU_DEP_1)
	v_lshl_add_u32 v25, v12, 1, v12
	v_ashrrev_i32_e32 v26, 31, v25
	s_delay_alu instid0(VALU_DEP_1) | instskip(SKIP_1) | instid1(VALU_DEP_1)
	v_lshlrev_b64_e32 v[25:26], 3, v[25:26]
	s_wait_kmcnt 0x0
	v_add_co_u32 v37, vcc_lo, s4, v25
	s_wait_alu 0xfffd
	s_delay_alu instid0(VALU_DEP_2)
	v_add_co_ci_u32_e64 v38, null, s5, v26, vcc_lo
	v_cmp_ge_i32_e32 vcc_lo, v17, v20
	s_clause 0x1
	global_load_b128 v[25:28], v[15:16], off offset:16
	global_load_b128 v[29:32], v[15:16], off
	s_clause 0x1
	global_load_b128 v[33:36], v[37:38], off
	global_load_b64 v[41:42], v[37:38], off offset:16
	s_clause 0x1
	global_load_b128 v[37:40], v[15:16], off offset:32
	global_load_b64 v[43:44], v[15:16], off offset:64
	v_add_co_u32 v15, s3, 0x480, v15
	s_wait_alu 0xf1ff
	v_add_co_ci_u32_e64 v16, null, 0, v16, s3
	s_wait_alu 0xfffe
	s_or_b32 s7, vcc_lo, s7
	s_wait_loadcnt 0x3
	v_fma_f64 v[9:10], v[29:30], v[33:34], v[9:10]
	v_fma_f64 v[2:3], v[27:28], v[33:34], v[2:3]
	v_fma_f64 v[0:1], v[21:22], v[33:34], v[0:1]
	s_delay_alu instid0(VALU_DEP_3) | instskip(SKIP_1) | instid1(VALU_DEP_3)
	v_fma_f64 v[9:10], v[31:32], v[35:36], v[9:10]
	s_wait_loadcnt 0x1
	v_fma_f64 v[2:3], v[37:38], v[35:36], v[2:3]
	s_delay_alu instid0(VALU_DEP_3) | instskip(NEXT) | instid1(VALU_DEP_3)
	v_fma_f64 v[0:1], v[23:24], v[35:36], v[0:1]
	v_fma_f64 v[9:10], v[25:26], v[41:42], v[9:10]
	s_delay_alu instid0(VALU_DEP_3) | instskip(SKIP_1) | instid1(VALU_DEP_3)
	v_fma_f64 v[2:3], v[39:40], v[41:42], v[2:3]
	s_wait_loadcnt 0x0
	v_fma_f64 v[0:1], v[43:44], v[41:42], v[0:1]
	s_wait_alu 0xfffe
	s_and_not1_b32 exec_lo, exec_lo, s7
	s_cbranch_execnz .LBB7_16
; %bb.17:
	s_or_b32 exec_lo, exec_lo, s7
.LBB7_18:
	s_wait_alu 0xfffe
	s_or_b32 exec_lo, exec_lo, s6
	s_cbranch_execz .LBB7_20
	s_branch .LBB7_25
.LBB7_19:
                                        ; implicit-def: $vgpr0_vgpr1
                                        ; implicit-def: $vgpr2_vgpr3
                                        ; implicit-def: $vgpr9_vgpr10
.LBB7_20:
	v_mov_b32_e32 v0, 0
	v_dual_mov_b32 v1, 0 :: v_dual_mov_b32 v2, 0
	v_mov_b32_e32 v9, 0
	v_dual_mov_b32 v3, 0 :: v_dual_mov_b32 v10, 0
	s_and_saveexec_b32 s3, s2
	s_cbranch_execz .LBB7_24
; %bb.21:
	v_mov_b32_e32 v0, 0
	v_dual_mov_b32 v1, 0 :: v_dual_mov_b32 v2, 0
	v_mov_b32_e32 v9, 0
	v_dual_mov_b32 v3, 0 :: v_dual_mov_b32 v10, 0
	s_mov_b32 s6, 0
.LBB7_22:                               ; =>This Inner Loop Header: Depth=1
	v_ashrrev_i32_e32 v12, 31, v11
	s_delay_alu instid0(VALU_DEP_1) | instskip(SKIP_1) | instid1(VALU_DEP_2)
	v_lshlrev_b64_e32 v[15:16], 2, v[11:12]
	v_add_nc_u32_e32 v11, 16, v11
	v_add_co_u32 v15, vcc_lo, s8, v15
	s_wait_alu 0xfffd
	s_delay_alu instid0(VALU_DEP_3) | instskip(SKIP_3) | instid1(VALU_DEP_1)
	v_add_co_ci_u32_e64 v16, null, s9, v16, vcc_lo
	global_load_b32 v12, v[15:16], off
	s_wait_loadcnt 0x0
	v_subrev_nc_u32_e32 v12, s12, v12
	v_lshl_add_u32 v15, v12, 1, v12
	s_delay_alu instid0(VALU_DEP_1) | instskip(NEXT) | instid1(VALU_DEP_1)
	v_ashrrev_i32_e32 v16, 31, v15
	v_lshlrev_b64_e32 v[15:16], 3, v[15:16]
	s_wait_kmcnt 0x0
	s_delay_alu instid0(VALU_DEP_1) | instskip(SKIP_1) | instid1(VALU_DEP_2)
	v_add_co_u32 v29, vcc_lo, s4, v15
	s_wait_alu 0xfffd
	v_add_co_ci_u32_e64 v30, null, s5, v16, vcc_lo
	v_cmp_ge_i32_e32 vcc_lo, v11, v20
	s_clause 0x1
	global_load_b128 v[15:18], v[13:14], off offset:16
	global_load_b128 v[21:24], v[13:14], off
	s_clause 0x1
	global_load_b128 v[25:28], v[29:30], off
	global_load_b64 v[37:38], v[29:30], off offset:16
	s_clause 0x2
	global_load_b128 v[29:32], v[13:14], off offset:32
	global_load_b128 v[33:36], v[13:14], off offset:48
	global_load_b64 v[39:40], v[13:14], off offset:64
	v_add_co_u32 v13, s2, 0x480, v13
	s_wait_alu 0xf1ff
	v_add_co_ci_u32_e64 v14, null, 0, v14, s2
	s_wait_alu 0xfffe
	s_or_b32 s6, vcc_lo, s6
	s_wait_loadcnt 0x4
	v_fma_f64 v[9:10], v[21:22], v[25:26], v[9:10]
	v_fma_f64 v[2:3], v[23:24], v[25:26], v[2:3]
	v_fma_f64 v[0:1], v[15:16], v[25:26], v[0:1]
	s_delay_alu instid0(VALU_DEP_3) | instskip(SKIP_1) | instid1(VALU_DEP_3)
	v_fma_f64 v[9:10], v[17:18], v[27:28], v[9:10]
	s_wait_loadcnt 0x2
	v_fma_f64 v[2:3], v[29:30], v[27:28], v[2:3]
	s_delay_alu instid0(VALU_DEP_3) | instskip(SKIP_1) | instid1(VALU_DEP_3)
	v_fma_f64 v[0:1], v[31:32], v[27:28], v[0:1]
	s_wait_loadcnt 0x1
	v_fma_f64 v[9:10], v[33:34], v[37:38], v[9:10]
	;; [unrolled: 4-line block ×3, first 2 shown]
	s_wait_alu 0xfffe
	s_and_not1_b32 exec_lo, exec_lo, s6
	s_cbranch_execnz .LBB7_22
; %bb.23:
	s_or_b32 exec_lo, exec_lo, s6
.LBB7_24:
	s_wait_alu 0xfffe
	s_or_b32 exec_lo, exec_lo, s3
.LBB7_25:
	v_mbcnt_lo_u32_b32 v17, -1, 0
	s_delay_alu instid0(VALU_DEP_1) | instskip(NEXT) | instid1(VALU_DEP_1)
	v_xor_b32_e32 v11, 8, v17
	v_cmp_gt_i32_e32 vcc_lo, 32, v11
	s_wait_alu 0xfffd
	v_cndmask_b32_e32 v11, v17, v11, vcc_lo
	s_delay_alu instid0(VALU_DEP_1)
	v_lshlrev_b32_e32 v16, 2, v11
	ds_bpermute_b32 v11, v16, v9
	ds_bpermute_b32 v12, v16, v10
	;; [unrolled: 1-line block ×6, first 2 shown]
	s_wait_dscnt 0x4
	v_add_f64_e32 v[9:10], v[9:10], v[11:12]
	v_xor_b32_e32 v11, 4, v17
	s_wait_dscnt 0x2
	v_add_f64_e32 v[2:3], v[2:3], v[13:14]
	s_wait_dscnt 0x0
	v_add_f64_e32 v[0:1], v[0:1], v[15:16]
	v_cmp_gt_i32_e32 vcc_lo, 32, v11
	s_wait_alu 0xfffd
	v_cndmask_b32_e32 v11, v17, v11, vcc_lo
	s_delay_alu instid0(VALU_DEP_1)
	v_lshlrev_b32_e32 v16, 2, v11
	ds_bpermute_b32 v11, v16, v9
	ds_bpermute_b32 v12, v16, v10
	;; [unrolled: 1-line block ×6, first 2 shown]
	s_wait_dscnt 0x4
	v_add_f64_e32 v[9:10], v[9:10], v[11:12]
	s_wait_dscnt 0x2
	v_add_f64_e32 v[2:3], v[2:3], v[13:14]
	;; [unrolled: 2-line block ×3, first 2 shown]
	v_xor_b32_e32 v0, 2, v17
	s_delay_alu instid0(VALU_DEP_1) | instskip(SKIP_2) | instid1(VALU_DEP_1)
	v_cmp_gt_i32_e32 vcc_lo, 32, v0
	s_wait_alu 0xfffd
	v_cndmask_b32_e32 v0, v17, v0, vcc_lo
	v_lshlrev_b32_e32 v16, 2, v0
	ds_bpermute_b32 v0, v16, v9
	ds_bpermute_b32 v1, v16, v10
	;; [unrolled: 1-line block ×6, first 2 shown]
	s_wait_dscnt 0x4
	v_add_f64_e32 v[9:10], v[9:10], v[0:1]
	s_wait_dscnt 0x2
	v_add_f64_e32 v[0:1], v[2:3], v[13:14]
	;; [unrolled: 2-line block ×3, first 2 shown]
	v_xor_b32_e32 v11, 1, v17
	s_delay_alu instid0(VALU_DEP_1) | instskip(SKIP_3) | instid1(VALU_DEP_2)
	v_cmp_gt_i32_e32 vcc_lo, 32, v11
	s_wait_alu 0xfffd
	v_cndmask_b32_e32 v11, v17, v11, vcc_lo
	v_cmp_eq_u32_e32 vcc_lo, 15, v19
	v_lshlrev_b32_e32 v12, 2, v11
	ds_bpermute_b32 v15, v12, v9
	ds_bpermute_b32 v16, v12, v10
	;; [unrolled: 1-line block ×6, first 2 shown]
	s_and_b32 exec_lo, exec_lo, vcc_lo
	s_cbranch_execz .LBB7_10
; %bb.26:
	s_wait_dscnt 0x4
	v_add_f64_e32 v[9:10], v[9:10], v[15:16]
	s_wait_dscnt 0x2
	v_add_f64_e32 v[13:14], v[0:1], v[13:14]
	;; [unrolled: 2-line block ×3, first 2 shown]
	s_load_b64 s[0:1], s[0:1], 0x50
	v_lshl_add_u32 v8, v8, 1, v8
	s_mov_b32 s2, exec_lo
	s_delay_alu instid0(VALU_DEP_4) | instskip(NEXT) | instid1(VALU_DEP_4)
	v_mul_f64_e32 v[0:1], v[6:7], v[9:10]
	v_mul_f64_e32 v[2:3], v[6:7], v[13:14]
	s_delay_alu instid0(VALU_DEP_4)
	v_mul_f64_e32 v[6:7], v[6:7], v[11:12]
	v_ashrrev_i32_e32 v9, 31, v8
	v_cmpx_eq_f64_e32 0, v[4:5]
	s_wait_alu 0xfffe
	s_xor_b32 s2, exec_lo, s2
	s_cbranch_execz .LBB7_28
; %bb.27:
	v_lshlrev_b64_e32 v[4:5], 3, v[8:9]
                                        ; implicit-def: $vgpr8
	s_wait_kmcnt 0x0
	s_delay_alu instid0(VALU_DEP_1) | instskip(SKIP_1) | instid1(VALU_DEP_2)
	v_add_co_u32 v4, vcc_lo, s0, v4
	s_wait_alu 0xfffd
	v_add_co_ci_u32_e64 v5, null, s1, v5, vcc_lo
	s_clause 0x1
	global_store_b128 v[4:5], v[0:3], off
	global_store_b64 v[4:5], v[6:7], off offset:16
                                        ; implicit-def: $vgpr4_vgpr5
                                        ; implicit-def: $vgpr0_vgpr1
                                        ; implicit-def: $vgpr6_vgpr7
.LBB7_28:
	s_wait_alu 0xfffe
	s_and_not1_saveexec_b32 s2, s2
	s_cbranch_execz .LBB7_10
; %bb.29:
	v_lshlrev_b64_e32 v[8:9], 3, v[8:9]
	s_wait_kmcnt 0x0
	s_delay_alu instid0(VALU_DEP_1) | instskip(SKIP_1) | instid1(VALU_DEP_2)
	v_add_co_u32 v12, vcc_lo, s0, v8
	s_wait_alu 0xfffd
	v_add_co_ci_u32_e64 v13, null, s1, v9, vcc_lo
	s_clause 0x1
	global_load_b128 v[8:11], v[12:13], off
	global_load_b64 v[14:15], v[12:13], off offset:16
	s_wait_loadcnt 0x1
	v_fma_f64 v[0:1], v[4:5], v[8:9], v[0:1]
	v_fma_f64 v[2:3], v[4:5], v[10:11], v[2:3]
	s_wait_loadcnt 0x0
	v_fma_f64 v[4:5], v[4:5], v[14:15], v[6:7]
	s_clause 0x1
	global_store_b128 v[12:13], v[0:3], off
	global_store_b64 v[12:13], v[4:5], off offset:16
	s_endpgm
	.section	.rodata,"a",@progbits
	.p2align	6, 0x0
	.amdhsa_kernel _ZN9rocsparseL18bsrxmvn_3x3_kernelILj256ELj16EdiidddEEvT3_20rocsparse_direction_NS_24const_host_device_scalarIT1_EES1_PKS1_PKT2_SA_S7_PKT4_PKT5_S5_PT6_21rocsparse_index_base_b
		.amdhsa_group_segment_fixed_size 0
		.amdhsa_private_segment_fixed_size 0
		.amdhsa_kernarg_size 96
		.amdhsa_user_sgpr_count 2
		.amdhsa_user_sgpr_dispatch_ptr 0
		.amdhsa_user_sgpr_queue_ptr 0
		.amdhsa_user_sgpr_kernarg_segment_ptr 1
		.amdhsa_user_sgpr_dispatch_id 0
		.amdhsa_user_sgpr_private_segment_size 0
		.amdhsa_wavefront_size32 1
		.amdhsa_uses_dynamic_stack 0
		.amdhsa_enable_private_segment 0
		.amdhsa_system_sgpr_workgroup_id_x 1
		.amdhsa_system_sgpr_workgroup_id_y 0
		.amdhsa_system_sgpr_workgroup_id_z 0
		.amdhsa_system_sgpr_workgroup_info 0
		.amdhsa_system_vgpr_workitem_id 0
		.amdhsa_next_free_vgpr 45
		.amdhsa_next_free_sgpr 14
		.amdhsa_reserve_vcc 1
		.amdhsa_float_round_mode_32 0
		.amdhsa_float_round_mode_16_64 0
		.amdhsa_float_denorm_mode_32 3
		.amdhsa_float_denorm_mode_16_64 3
		.amdhsa_fp16_overflow 0
		.amdhsa_workgroup_processor_mode 1
		.amdhsa_memory_ordered 1
		.amdhsa_forward_progress 1
		.amdhsa_inst_pref_size 17
		.amdhsa_round_robin_scheduling 0
		.amdhsa_exception_fp_ieee_invalid_op 0
		.amdhsa_exception_fp_denorm_src 0
		.amdhsa_exception_fp_ieee_div_zero 0
		.amdhsa_exception_fp_ieee_overflow 0
		.amdhsa_exception_fp_ieee_underflow 0
		.amdhsa_exception_fp_ieee_inexact 0
		.amdhsa_exception_int_div_zero 0
	.end_amdhsa_kernel
	.section	.text._ZN9rocsparseL18bsrxmvn_3x3_kernelILj256ELj16EdiidddEEvT3_20rocsparse_direction_NS_24const_host_device_scalarIT1_EES1_PKS1_PKT2_SA_S7_PKT4_PKT5_S5_PT6_21rocsparse_index_base_b,"axG",@progbits,_ZN9rocsparseL18bsrxmvn_3x3_kernelILj256ELj16EdiidddEEvT3_20rocsparse_direction_NS_24const_host_device_scalarIT1_EES1_PKS1_PKT2_SA_S7_PKT4_PKT5_S5_PT6_21rocsparse_index_base_b,comdat
.Lfunc_end7:
	.size	_ZN9rocsparseL18bsrxmvn_3x3_kernelILj256ELj16EdiidddEEvT3_20rocsparse_direction_NS_24const_host_device_scalarIT1_EES1_PKS1_PKT2_SA_S7_PKT4_PKT5_S5_PT6_21rocsparse_index_base_b, .Lfunc_end7-_ZN9rocsparseL18bsrxmvn_3x3_kernelILj256ELj16EdiidddEEvT3_20rocsparse_direction_NS_24const_host_device_scalarIT1_EES1_PKS1_PKT2_SA_S7_PKT4_PKT5_S5_PT6_21rocsparse_index_base_b
                                        ; -- End function
	.set _ZN9rocsparseL18bsrxmvn_3x3_kernelILj256ELj16EdiidddEEvT3_20rocsparse_direction_NS_24const_host_device_scalarIT1_EES1_PKS1_PKT2_SA_S7_PKT4_PKT5_S5_PT6_21rocsparse_index_base_b.num_vgpr, 45
	.set _ZN9rocsparseL18bsrxmvn_3x3_kernelILj256ELj16EdiidddEEvT3_20rocsparse_direction_NS_24const_host_device_scalarIT1_EES1_PKS1_PKT2_SA_S7_PKT4_PKT5_S5_PT6_21rocsparse_index_base_b.num_agpr, 0
	.set _ZN9rocsparseL18bsrxmvn_3x3_kernelILj256ELj16EdiidddEEvT3_20rocsparse_direction_NS_24const_host_device_scalarIT1_EES1_PKS1_PKT2_SA_S7_PKT4_PKT5_S5_PT6_21rocsparse_index_base_b.numbered_sgpr, 14
	.set _ZN9rocsparseL18bsrxmvn_3x3_kernelILj256ELj16EdiidddEEvT3_20rocsparse_direction_NS_24const_host_device_scalarIT1_EES1_PKS1_PKT2_SA_S7_PKT4_PKT5_S5_PT6_21rocsparse_index_base_b.num_named_barrier, 0
	.set _ZN9rocsparseL18bsrxmvn_3x3_kernelILj256ELj16EdiidddEEvT3_20rocsparse_direction_NS_24const_host_device_scalarIT1_EES1_PKS1_PKT2_SA_S7_PKT4_PKT5_S5_PT6_21rocsparse_index_base_b.private_seg_size, 0
	.set _ZN9rocsparseL18bsrxmvn_3x3_kernelILj256ELj16EdiidddEEvT3_20rocsparse_direction_NS_24const_host_device_scalarIT1_EES1_PKS1_PKT2_SA_S7_PKT4_PKT5_S5_PT6_21rocsparse_index_base_b.uses_vcc, 1
	.set _ZN9rocsparseL18bsrxmvn_3x3_kernelILj256ELj16EdiidddEEvT3_20rocsparse_direction_NS_24const_host_device_scalarIT1_EES1_PKS1_PKT2_SA_S7_PKT4_PKT5_S5_PT6_21rocsparse_index_base_b.uses_flat_scratch, 0
	.set _ZN9rocsparseL18bsrxmvn_3x3_kernelILj256ELj16EdiidddEEvT3_20rocsparse_direction_NS_24const_host_device_scalarIT1_EES1_PKS1_PKT2_SA_S7_PKT4_PKT5_S5_PT6_21rocsparse_index_base_b.has_dyn_sized_stack, 0
	.set _ZN9rocsparseL18bsrxmvn_3x3_kernelILj256ELj16EdiidddEEvT3_20rocsparse_direction_NS_24const_host_device_scalarIT1_EES1_PKS1_PKT2_SA_S7_PKT4_PKT5_S5_PT6_21rocsparse_index_base_b.has_recursion, 0
	.set _ZN9rocsparseL18bsrxmvn_3x3_kernelILj256ELj16EdiidddEEvT3_20rocsparse_direction_NS_24const_host_device_scalarIT1_EES1_PKS1_PKT2_SA_S7_PKT4_PKT5_S5_PT6_21rocsparse_index_base_b.has_indirect_call, 0
	.section	.AMDGPU.csdata,"",@progbits
; Kernel info:
; codeLenInByte = 2100
; TotalNumSgprs: 16
; NumVgprs: 45
; ScratchSize: 0
; MemoryBound: 1
; FloatMode: 240
; IeeeMode: 1
; LDSByteSize: 0 bytes/workgroup (compile time only)
; SGPRBlocks: 0
; VGPRBlocks: 5
; NumSGPRsForWavesPerEU: 16
; NumVGPRsForWavesPerEU: 45
; Occupancy: 16
; WaveLimiterHint : 1
; COMPUTE_PGM_RSRC2:SCRATCH_EN: 0
; COMPUTE_PGM_RSRC2:USER_SGPR: 2
; COMPUTE_PGM_RSRC2:TRAP_HANDLER: 0
; COMPUTE_PGM_RSRC2:TGID_X_EN: 1
; COMPUTE_PGM_RSRC2:TGID_Y_EN: 0
; COMPUTE_PGM_RSRC2:TGID_Z_EN: 0
; COMPUTE_PGM_RSRC2:TIDIG_COMP_CNT: 0
	.section	.text._ZN9rocsparseL18bsrxmvn_3x3_kernelILj256ELj32EdiidddEEvT3_20rocsparse_direction_NS_24const_host_device_scalarIT1_EES1_PKS1_PKT2_SA_S7_PKT4_PKT5_S5_PT6_21rocsparse_index_base_b,"axG",@progbits,_ZN9rocsparseL18bsrxmvn_3x3_kernelILj256ELj32EdiidddEEvT3_20rocsparse_direction_NS_24const_host_device_scalarIT1_EES1_PKS1_PKT2_SA_S7_PKT4_PKT5_S5_PT6_21rocsparse_index_base_b,comdat
	.globl	_ZN9rocsparseL18bsrxmvn_3x3_kernelILj256ELj32EdiidddEEvT3_20rocsparse_direction_NS_24const_host_device_scalarIT1_EES1_PKS1_PKT2_SA_S7_PKT4_PKT5_S5_PT6_21rocsparse_index_base_b ; -- Begin function _ZN9rocsparseL18bsrxmvn_3x3_kernelILj256ELj32EdiidddEEvT3_20rocsparse_direction_NS_24const_host_device_scalarIT1_EES1_PKS1_PKT2_SA_S7_PKT4_PKT5_S5_PT6_21rocsparse_index_base_b
	.p2align	8
	.type	_ZN9rocsparseL18bsrxmvn_3x3_kernelILj256ELj32EdiidddEEvT3_20rocsparse_direction_NS_24const_host_device_scalarIT1_EES1_PKS1_PKT2_SA_S7_PKT4_PKT5_S5_PT6_21rocsparse_index_base_b,@function
_ZN9rocsparseL18bsrxmvn_3x3_kernelILj256ELj32EdiidddEEvT3_20rocsparse_direction_NS_24const_host_device_scalarIT1_EES1_PKS1_PKT2_SA_S7_PKT4_PKT5_S5_PT6_21rocsparse_index_base_b: ; @_ZN9rocsparseL18bsrxmvn_3x3_kernelILj256ELj32EdiidddEEvT3_20rocsparse_direction_NS_24const_host_device_scalarIT1_EES1_PKS1_PKT2_SA_S7_PKT4_PKT5_S5_PT6_21rocsparse_index_base_b
; %bb.0:
	s_clause 0x2
	s_load_b64 s[12:13], s[0:1], 0x58
	s_load_b64 s[4:5], s[0:1], 0x8
	;; [unrolled: 1-line block ×3, first 2 shown]
	s_wait_kmcnt 0x0
	s_bitcmp1_b32 s13, 0
	v_dual_mov_b32 v7, s5 :: v_dual_mov_b32 v6, s4
	s_cselect_b32 s6, -1, 0
	s_delay_alu instid0(SALU_CYCLE_1)
	s_and_b32 vcc_lo, exec_lo, s6
	s_xor_b32 s6, s6, -1
	s_cbranch_vccnz .LBB8_2
; %bb.1:
	v_dual_mov_b32 v1, s4 :: v_dual_mov_b32 v2, s5
	flat_load_b64 v[6:7], v[1:2]
.LBB8_2:
	v_dual_mov_b32 v5, s3 :: v_dual_mov_b32 v4, s2
	s_and_not1_b32 vcc_lo, exec_lo, s6
	s_cbranch_vccnz .LBB8_4
; %bb.3:
	v_dual_mov_b32 v1, s2 :: v_dual_mov_b32 v2, s3
	flat_load_b64 v[4:5], v[1:2]
.LBB8_4:
	s_wait_loadcnt_dscnt 0x0
	v_cmp_neq_f64_e32 vcc_lo, 0, v[6:7]
	v_cmp_neq_f64_e64 s2, 1.0, v[4:5]
	s_or_b32 s2, vcc_lo, s2
	s_wait_alu 0xfffe
	s_and_saveexec_b32 s3, s2
	s_cbranch_execz .LBB8_10
; %bb.5:
	s_clause 0x1
	s_load_b64 s[4:5], s[0:1], 0x18
	s_load_b64 s[2:3], s[0:1], 0x0
	v_lshrrev_b32_e32 v1, 5, v0
	s_delay_alu instid0(VALU_DEP_1)
	v_lshl_or_b32 v8, ttmp9, 3, v1
	s_wait_kmcnt 0x0
	s_cmp_lg_u64 s[4:5], 0
	s_cbranch_scc0 .LBB8_11
; %bb.6:
	s_load_b32 s6, s[0:1], 0x10
	s_mov_b32 s7, 0
                                        ; implicit-def: $vgpr1
	s_wait_kmcnt 0x0
	v_cmp_gt_i32_e32 vcc_lo, s6, v8
	s_mov_b32 s6, 0
	s_and_saveexec_b32 s8, vcc_lo
	s_delay_alu instid0(SALU_CYCLE_1)
	s_xor_b32 s8, exec_lo, s8
	s_cbranch_execz .LBB8_8
; %bb.7:
	v_ashrrev_i32_e32 v9, 31, v8
	s_mov_b32 s6, exec_lo
	s_delay_alu instid0(VALU_DEP_1) | instskip(NEXT) | instid1(VALU_DEP_1)
	v_lshlrev_b64_e32 v[1:2], 2, v[8:9]
	v_add_co_u32 v1, vcc_lo, s4, v1
	s_delay_alu instid0(VALU_DEP_1)
	v_add_co_ci_u32_e64 v2, null, s5, v2, vcc_lo
	global_load_b32 v1, v[1:2], off
	s_wait_loadcnt 0x0
	v_subrev_nc_u32_e32 v1, s12, v1
.LBB8_8:
	s_or_b32 exec_lo, exec_lo, s8
	s_delay_alu instid0(SALU_CYCLE_1)
	s_and_b32 vcc_lo, exec_lo, s7
	s_wait_alu 0xfffe
	s_cbranch_vccz .LBB8_12
.LBB8_9:
	v_cmp_gt_i32_e32 vcc_lo, s2, v8
	s_and_not1_b32 s2, s6, exec_lo
	s_and_b32 s4, vcc_lo, exec_lo
	s_wait_alu 0xfffe
	s_or_b32 s6, s2, s4
	s_wait_alu 0xfffe
	s_and_b32 exec_lo, exec_lo, s6
	s_cbranch_execnz .LBB8_13
.LBB8_10:
	s_endpgm
.LBB8_11:
	s_mov_b32 s6, 0
                                        ; implicit-def: $vgpr1
	s_cbranch_execnz .LBB8_9
.LBB8_12:
	v_mov_b32_e32 v8, v1
	s_and_b32 exec_lo, exec_lo, s6
	s_cbranch_execz .LBB8_10
.LBB8_13:
	s_load_b256 s[4:11], s[0:1], 0x20
	s_delay_alu instid0(VALU_DEP_1) | instskip(SKIP_1) | instid1(VALU_DEP_2)
	v_ashrrev_i32_e32 v9, 31, v8
	v_and_b32_e32 v19, 31, v0
	v_lshlrev_b64_e32 v[1:2], 2, v[8:9]
	s_wait_kmcnt 0x0
	s_delay_alu instid0(VALU_DEP_1) | instskip(SKIP_1) | instid1(VALU_DEP_2)
	v_add_co_u32 v9, vcc_lo, s4, v1
	s_wait_alu 0xfffd
	v_add_co_ci_u32_e64 v10, null, s5, v2, vcc_lo
	v_add_co_u32 v1, vcc_lo, s6, v1
	s_wait_alu 0xfffd
	v_add_co_ci_u32_e64 v2, null, s7, v2, vcc_lo
	;; [unrolled: 3-line block ×3, first 2 shown]
	s_cmp_eq_u64 s[6:7], 0
	global_load_b32 v9, v[9:10], off
	s_cselect_b32 vcc_lo, -1, 0
	s_load_b64 s[4:5], s[0:1], 0x40
	v_cndmask_b32_e32 v2, v2, v11, vcc_lo
	v_cndmask_b32_e32 v1, v1, v3, vcc_lo
	s_cmp_eq_u32 s3, 1
	global_load_b32 v1, v[1:2], off
	s_wait_loadcnt 0x1
	v_subrev_nc_u32_e32 v0, s12, v9
	s_delay_alu instid0(VALU_DEP_1) | instskip(SKIP_2) | instid1(VALU_DEP_2)
	v_add_nc_u32_e32 v11, v0, v19
	s_wait_loadcnt 0x0
	v_subrev_nc_u32_e32 v20, s12, v1
	v_mad_co_i64_i32 v[13:14], null, 0x48, v11, s[10:11]
	s_delay_alu instid0(VALU_DEP_2)
	v_cmp_lt_i32_e64 s2, v11, v20
	s_cbranch_scc1 .LBB8_19
; %bb.14:
	v_mov_b32_e32 v0, 0
	v_dual_mov_b32 v1, 0 :: v_dual_mov_b32 v2, 0
	v_mov_b32_e32 v9, 0
	v_dual_mov_b32 v3, 0 :: v_dual_mov_b32 v10, 0
	s_and_saveexec_b32 s6, s2
	s_cbranch_execz .LBB8_18
; %bb.15:
	v_mov_b32_e32 v0, 0
	v_dual_mov_b32 v1, 0 :: v_dual_mov_b32 v16, v14
	v_dual_mov_b32 v2, 0 :: v_dual_mov_b32 v9, 0
	v_mov_b32_e32 v15, v13
	v_dual_mov_b32 v3, 0 :: v_dual_mov_b32 v10, 0
	v_mov_b32_e32 v17, v11
	s_mov_b32 s7, 0
.LBB8_16:                               ; =>This Inner Loop Header: Depth=1
	s_delay_alu instid0(VALU_DEP_1) | instskip(NEXT) | instid1(VALU_DEP_1)
	v_ashrrev_i32_e32 v18, 31, v17
	v_lshlrev_b64_e32 v[21:22], 2, v[17:18]
	v_add_nc_u32_e32 v17, 32, v17
	s_delay_alu instid0(VALU_DEP_2) | instskip(SKIP_1) | instid1(VALU_DEP_3)
	v_add_co_u32 v21, vcc_lo, s8, v21
	s_wait_alu 0xfffd
	v_add_co_ci_u32_e64 v22, null, s9, v22, vcc_lo
	global_load_b32 v12, v[21:22], off
	global_load_b128 v[21:24], v[15:16], off offset:48
	s_wait_loadcnt 0x1
	v_subrev_nc_u32_e32 v12, s12, v12
	s_delay_alu instid0(VALU_DEP_1) | instskip(NEXT) | instid1(VALU_DEP_1)
	v_lshl_add_u32 v25, v12, 1, v12
	v_ashrrev_i32_e32 v26, 31, v25
	s_delay_alu instid0(VALU_DEP_1) | instskip(SKIP_1) | instid1(VALU_DEP_1)
	v_lshlrev_b64_e32 v[25:26], 3, v[25:26]
	s_wait_kmcnt 0x0
	v_add_co_u32 v37, vcc_lo, s4, v25
	s_wait_alu 0xfffd
	s_delay_alu instid0(VALU_DEP_2)
	v_add_co_ci_u32_e64 v38, null, s5, v26, vcc_lo
	v_cmp_ge_i32_e32 vcc_lo, v17, v20
	s_clause 0x1
	global_load_b128 v[25:28], v[15:16], off offset:16
	global_load_b128 v[29:32], v[15:16], off
	s_clause 0x1
	global_load_b128 v[33:36], v[37:38], off
	global_load_b64 v[41:42], v[37:38], off offset:16
	s_clause 0x1
	global_load_b128 v[37:40], v[15:16], off offset:32
	global_load_b64 v[43:44], v[15:16], off offset:64
	v_add_co_u32 v15, s3, 0x900, v15
	s_wait_alu 0xf1ff
	v_add_co_ci_u32_e64 v16, null, 0, v16, s3
	s_wait_alu 0xfffe
	s_or_b32 s7, vcc_lo, s7
	s_wait_loadcnt 0x3
	v_fma_f64 v[9:10], v[29:30], v[33:34], v[9:10]
	v_fma_f64 v[2:3], v[27:28], v[33:34], v[2:3]
	;; [unrolled: 1-line block ×3, first 2 shown]
	s_delay_alu instid0(VALU_DEP_3) | instskip(SKIP_1) | instid1(VALU_DEP_3)
	v_fma_f64 v[9:10], v[31:32], v[35:36], v[9:10]
	s_wait_loadcnt 0x1
	v_fma_f64 v[2:3], v[37:38], v[35:36], v[2:3]
	s_delay_alu instid0(VALU_DEP_3) | instskip(NEXT) | instid1(VALU_DEP_3)
	v_fma_f64 v[0:1], v[23:24], v[35:36], v[0:1]
	v_fma_f64 v[9:10], v[25:26], v[41:42], v[9:10]
	s_delay_alu instid0(VALU_DEP_3) | instskip(SKIP_1) | instid1(VALU_DEP_3)
	v_fma_f64 v[2:3], v[39:40], v[41:42], v[2:3]
	s_wait_loadcnt 0x0
	v_fma_f64 v[0:1], v[43:44], v[41:42], v[0:1]
	s_wait_alu 0xfffe
	s_and_not1_b32 exec_lo, exec_lo, s7
	s_cbranch_execnz .LBB8_16
; %bb.17:
	s_or_b32 exec_lo, exec_lo, s7
.LBB8_18:
	s_wait_alu 0xfffe
	s_or_b32 exec_lo, exec_lo, s6
	s_cbranch_execz .LBB8_20
	s_branch .LBB8_25
.LBB8_19:
                                        ; implicit-def: $vgpr0_vgpr1
                                        ; implicit-def: $vgpr2_vgpr3
                                        ; implicit-def: $vgpr9_vgpr10
.LBB8_20:
	v_mov_b32_e32 v0, 0
	v_dual_mov_b32 v1, 0 :: v_dual_mov_b32 v2, 0
	v_mov_b32_e32 v9, 0
	v_dual_mov_b32 v3, 0 :: v_dual_mov_b32 v10, 0
	s_and_saveexec_b32 s3, s2
	s_cbranch_execz .LBB8_24
; %bb.21:
	v_mov_b32_e32 v0, 0
	v_dual_mov_b32 v1, 0 :: v_dual_mov_b32 v2, 0
	v_mov_b32_e32 v9, 0
	v_dual_mov_b32 v3, 0 :: v_dual_mov_b32 v10, 0
	s_mov_b32 s6, 0
.LBB8_22:                               ; =>This Inner Loop Header: Depth=1
	v_ashrrev_i32_e32 v12, 31, v11
	s_delay_alu instid0(VALU_DEP_1) | instskip(SKIP_1) | instid1(VALU_DEP_2)
	v_lshlrev_b64_e32 v[15:16], 2, v[11:12]
	v_add_nc_u32_e32 v11, 32, v11
	v_add_co_u32 v15, vcc_lo, s8, v15
	s_wait_alu 0xfffd
	s_delay_alu instid0(VALU_DEP_3) | instskip(SKIP_3) | instid1(VALU_DEP_1)
	v_add_co_ci_u32_e64 v16, null, s9, v16, vcc_lo
	global_load_b32 v12, v[15:16], off
	s_wait_loadcnt 0x0
	v_subrev_nc_u32_e32 v12, s12, v12
	v_lshl_add_u32 v15, v12, 1, v12
	s_delay_alu instid0(VALU_DEP_1) | instskip(NEXT) | instid1(VALU_DEP_1)
	v_ashrrev_i32_e32 v16, 31, v15
	v_lshlrev_b64_e32 v[15:16], 3, v[15:16]
	s_wait_kmcnt 0x0
	s_delay_alu instid0(VALU_DEP_1) | instskip(SKIP_1) | instid1(VALU_DEP_2)
	v_add_co_u32 v29, vcc_lo, s4, v15
	s_wait_alu 0xfffd
	v_add_co_ci_u32_e64 v30, null, s5, v16, vcc_lo
	v_cmp_ge_i32_e32 vcc_lo, v11, v20
	s_clause 0x1
	global_load_b128 v[15:18], v[13:14], off offset:16
	global_load_b128 v[21:24], v[13:14], off
	s_clause 0x1
	global_load_b128 v[25:28], v[29:30], off
	global_load_b64 v[37:38], v[29:30], off offset:16
	s_clause 0x2
	global_load_b128 v[29:32], v[13:14], off offset:32
	global_load_b128 v[33:36], v[13:14], off offset:48
	global_load_b64 v[39:40], v[13:14], off offset:64
	v_add_co_u32 v13, s2, 0x900, v13
	s_wait_alu 0xf1ff
	v_add_co_ci_u32_e64 v14, null, 0, v14, s2
	s_wait_alu 0xfffe
	s_or_b32 s6, vcc_lo, s6
	s_wait_loadcnt 0x4
	v_fma_f64 v[9:10], v[21:22], v[25:26], v[9:10]
	v_fma_f64 v[2:3], v[23:24], v[25:26], v[2:3]
	;; [unrolled: 1-line block ×3, first 2 shown]
	s_delay_alu instid0(VALU_DEP_3) | instskip(SKIP_1) | instid1(VALU_DEP_3)
	v_fma_f64 v[9:10], v[17:18], v[27:28], v[9:10]
	s_wait_loadcnt 0x2
	v_fma_f64 v[2:3], v[29:30], v[27:28], v[2:3]
	s_delay_alu instid0(VALU_DEP_3) | instskip(SKIP_1) | instid1(VALU_DEP_3)
	v_fma_f64 v[0:1], v[31:32], v[27:28], v[0:1]
	s_wait_loadcnt 0x1
	v_fma_f64 v[9:10], v[33:34], v[37:38], v[9:10]
	;; [unrolled: 4-line block ×3, first 2 shown]
	s_wait_alu 0xfffe
	s_and_not1_b32 exec_lo, exec_lo, s6
	s_cbranch_execnz .LBB8_22
; %bb.23:
	s_or_b32 exec_lo, exec_lo, s6
.LBB8_24:
	s_wait_alu 0xfffe
	s_or_b32 exec_lo, exec_lo, s3
.LBB8_25:
	v_mbcnt_lo_u32_b32 v17, -1, 0
	s_delay_alu instid0(VALU_DEP_1) | instskip(NEXT) | instid1(VALU_DEP_1)
	v_xor_b32_e32 v11, 16, v17
	v_cmp_gt_i32_e32 vcc_lo, 32, v11
	s_wait_alu 0xfffd
	v_cndmask_b32_e32 v11, v17, v11, vcc_lo
	s_delay_alu instid0(VALU_DEP_1)
	v_lshlrev_b32_e32 v16, 2, v11
	ds_bpermute_b32 v11, v16, v9
	ds_bpermute_b32 v12, v16, v10
	;; [unrolled: 1-line block ×6, first 2 shown]
	s_wait_dscnt 0x4
	v_add_f64_e32 v[9:10], v[9:10], v[11:12]
	v_xor_b32_e32 v11, 8, v17
	s_wait_dscnt 0x2
	v_add_f64_e32 v[2:3], v[2:3], v[13:14]
	s_wait_dscnt 0x0
	v_add_f64_e32 v[0:1], v[0:1], v[15:16]
	v_cmp_gt_i32_e32 vcc_lo, 32, v11
	s_wait_alu 0xfffd
	v_cndmask_b32_e32 v11, v17, v11, vcc_lo
	s_delay_alu instid0(VALU_DEP_1)
	v_lshlrev_b32_e32 v16, 2, v11
	ds_bpermute_b32 v11, v16, v9
	ds_bpermute_b32 v12, v16, v10
	;; [unrolled: 1-line block ×6, first 2 shown]
	s_wait_dscnt 0x4
	v_add_f64_e32 v[9:10], v[9:10], v[11:12]
	v_xor_b32_e32 v11, 4, v17
	s_wait_dscnt 0x2
	v_add_f64_e32 v[2:3], v[2:3], v[13:14]
	s_wait_dscnt 0x0
	v_add_f64_e32 v[0:1], v[0:1], v[15:16]
	v_cmp_gt_i32_e32 vcc_lo, 32, v11
	s_wait_alu 0xfffd
	v_cndmask_b32_e32 v11, v17, v11, vcc_lo
	s_delay_alu instid0(VALU_DEP_1)
	v_lshlrev_b32_e32 v16, 2, v11
	ds_bpermute_b32 v11, v16, v9
	ds_bpermute_b32 v12, v16, v10
	;; [unrolled: 1-line block ×6, first 2 shown]
	s_wait_dscnt 0x4
	v_add_f64_e32 v[9:10], v[9:10], v[11:12]
	s_wait_dscnt 0x2
	v_add_f64_e32 v[2:3], v[2:3], v[13:14]
	s_wait_dscnt 0x0
	v_add_f64_e32 v[11:12], v[0:1], v[15:16]
	v_xor_b32_e32 v0, 2, v17
	s_delay_alu instid0(VALU_DEP_1) | instskip(SKIP_2) | instid1(VALU_DEP_1)
	v_cmp_gt_i32_e32 vcc_lo, 32, v0
	s_wait_alu 0xfffd
	v_cndmask_b32_e32 v0, v17, v0, vcc_lo
	v_lshlrev_b32_e32 v16, 2, v0
	ds_bpermute_b32 v0, v16, v9
	ds_bpermute_b32 v1, v16, v10
	;; [unrolled: 1-line block ×6, first 2 shown]
	s_wait_dscnt 0x4
	v_add_f64_e32 v[9:10], v[9:10], v[0:1]
	s_wait_dscnt 0x2
	v_add_f64_e32 v[0:1], v[2:3], v[13:14]
	;; [unrolled: 2-line block ×3, first 2 shown]
	v_xor_b32_e32 v11, 1, v17
	s_delay_alu instid0(VALU_DEP_1) | instskip(SKIP_3) | instid1(VALU_DEP_2)
	v_cmp_gt_i32_e32 vcc_lo, 32, v11
	s_wait_alu 0xfffd
	v_cndmask_b32_e32 v11, v17, v11, vcc_lo
	v_cmp_eq_u32_e32 vcc_lo, 31, v19
	v_lshlrev_b32_e32 v12, 2, v11
	ds_bpermute_b32 v15, v12, v9
	ds_bpermute_b32 v16, v12, v10
	;; [unrolled: 1-line block ×6, first 2 shown]
	s_and_b32 exec_lo, exec_lo, vcc_lo
	s_cbranch_execz .LBB8_10
; %bb.26:
	s_wait_dscnt 0x4
	v_add_f64_e32 v[9:10], v[9:10], v[15:16]
	s_wait_dscnt 0x2
	v_add_f64_e32 v[13:14], v[0:1], v[13:14]
	;; [unrolled: 2-line block ×3, first 2 shown]
	s_load_b64 s[0:1], s[0:1], 0x50
	v_lshl_add_u32 v8, v8, 1, v8
	s_mov_b32 s2, exec_lo
	s_delay_alu instid0(VALU_DEP_4) | instskip(NEXT) | instid1(VALU_DEP_4)
	v_mul_f64_e32 v[0:1], v[6:7], v[9:10]
	v_mul_f64_e32 v[2:3], v[6:7], v[13:14]
	s_delay_alu instid0(VALU_DEP_4)
	v_mul_f64_e32 v[6:7], v[6:7], v[11:12]
	v_ashrrev_i32_e32 v9, 31, v8
	v_cmpx_eq_f64_e32 0, v[4:5]
	s_wait_alu 0xfffe
	s_xor_b32 s2, exec_lo, s2
	s_cbranch_execz .LBB8_28
; %bb.27:
	v_lshlrev_b64_e32 v[4:5], 3, v[8:9]
                                        ; implicit-def: $vgpr8
	s_wait_kmcnt 0x0
	s_delay_alu instid0(VALU_DEP_1) | instskip(SKIP_1) | instid1(VALU_DEP_2)
	v_add_co_u32 v4, vcc_lo, s0, v4
	s_wait_alu 0xfffd
	v_add_co_ci_u32_e64 v5, null, s1, v5, vcc_lo
	s_clause 0x1
	global_store_b128 v[4:5], v[0:3], off
	global_store_b64 v[4:5], v[6:7], off offset:16
                                        ; implicit-def: $vgpr4_vgpr5
                                        ; implicit-def: $vgpr0_vgpr1
                                        ; implicit-def: $vgpr6_vgpr7
.LBB8_28:
	s_wait_alu 0xfffe
	s_and_not1_saveexec_b32 s2, s2
	s_cbranch_execz .LBB8_10
; %bb.29:
	v_lshlrev_b64_e32 v[8:9], 3, v[8:9]
	s_wait_kmcnt 0x0
	s_delay_alu instid0(VALU_DEP_1) | instskip(SKIP_1) | instid1(VALU_DEP_2)
	v_add_co_u32 v12, vcc_lo, s0, v8
	s_wait_alu 0xfffd
	v_add_co_ci_u32_e64 v13, null, s1, v9, vcc_lo
	s_clause 0x1
	global_load_b128 v[8:11], v[12:13], off
	global_load_b64 v[14:15], v[12:13], off offset:16
	s_wait_loadcnt 0x1
	v_fma_f64 v[0:1], v[4:5], v[8:9], v[0:1]
	v_fma_f64 v[2:3], v[4:5], v[10:11], v[2:3]
	s_wait_loadcnt 0x0
	v_fma_f64 v[4:5], v[4:5], v[14:15], v[6:7]
	s_clause 0x1
	global_store_b128 v[12:13], v[0:3], off
	global_store_b64 v[12:13], v[4:5], off offset:16
	s_endpgm
	.section	.rodata,"a",@progbits
	.p2align	6, 0x0
	.amdhsa_kernel _ZN9rocsparseL18bsrxmvn_3x3_kernelILj256ELj32EdiidddEEvT3_20rocsparse_direction_NS_24const_host_device_scalarIT1_EES1_PKS1_PKT2_SA_S7_PKT4_PKT5_S5_PT6_21rocsparse_index_base_b
		.amdhsa_group_segment_fixed_size 0
		.amdhsa_private_segment_fixed_size 0
		.amdhsa_kernarg_size 96
		.amdhsa_user_sgpr_count 2
		.amdhsa_user_sgpr_dispatch_ptr 0
		.amdhsa_user_sgpr_queue_ptr 0
		.amdhsa_user_sgpr_kernarg_segment_ptr 1
		.amdhsa_user_sgpr_dispatch_id 0
		.amdhsa_user_sgpr_private_segment_size 0
		.amdhsa_wavefront_size32 1
		.amdhsa_uses_dynamic_stack 0
		.amdhsa_enable_private_segment 0
		.amdhsa_system_sgpr_workgroup_id_x 1
		.amdhsa_system_sgpr_workgroup_id_y 0
		.amdhsa_system_sgpr_workgroup_id_z 0
		.amdhsa_system_sgpr_workgroup_info 0
		.amdhsa_system_vgpr_workitem_id 0
		.amdhsa_next_free_vgpr 45
		.amdhsa_next_free_sgpr 14
		.amdhsa_reserve_vcc 1
		.amdhsa_float_round_mode_32 0
		.amdhsa_float_round_mode_16_64 0
		.amdhsa_float_denorm_mode_32 3
		.amdhsa_float_denorm_mode_16_64 3
		.amdhsa_fp16_overflow 0
		.amdhsa_workgroup_processor_mode 1
		.amdhsa_memory_ordered 1
		.amdhsa_forward_progress 1
		.amdhsa_inst_pref_size 18
		.amdhsa_round_robin_scheduling 0
		.amdhsa_exception_fp_ieee_invalid_op 0
		.amdhsa_exception_fp_denorm_src 0
		.amdhsa_exception_fp_ieee_div_zero 0
		.amdhsa_exception_fp_ieee_overflow 0
		.amdhsa_exception_fp_ieee_underflow 0
		.amdhsa_exception_fp_ieee_inexact 0
		.amdhsa_exception_int_div_zero 0
	.end_amdhsa_kernel
	.section	.text._ZN9rocsparseL18bsrxmvn_3x3_kernelILj256ELj32EdiidddEEvT3_20rocsparse_direction_NS_24const_host_device_scalarIT1_EES1_PKS1_PKT2_SA_S7_PKT4_PKT5_S5_PT6_21rocsparse_index_base_b,"axG",@progbits,_ZN9rocsparseL18bsrxmvn_3x3_kernelILj256ELj32EdiidddEEvT3_20rocsparse_direction_NS_24const_host_device_scalarIT1_EES1_PKS1_PKT2_SA_S7_PKT4_PKT5_S5_PT6_21rocsparse_index_base_b,comdat
.Lfunc_end8:
	.size	_ZN9rocsparseL18bsrxmvn_3x3_kernelILj256ELj32EdiidddEEvT3_20rocsparse_direction_NS_24const_host_device_scalarIT1_EES1_PKS1_PKT2_SA_S7_PKT4_PKT5_S5_PT6_21rocsparse_index_base_b, .Lfunc_end8-_ZN9rocsparseL18bsrxmvn_3x3_kernelILj256ELj32EdiidddEEvT3_20rocsparse_direction_NS_24const_host_device_scalarIT1_EES1_PKS1_PKT2_SA_S7_PKT4_PKT5_S5_PT6_21rocsparse_index_base_b
                                        ; -- End function
	.set _ZN9rocsparseL18bsrxmvn_3x3_kernelILj256ELj32EdiidddEEvT3_20rocsparse_direction_NS_24const_host_device_scalarIT1_EES1_PKS1_PKT2_SA_S7_PKT4_PKT5_S5_PT6_21rocsparse_index_base_b.num_vgpr, 45
	.set _ZN9rocsparseL18bsrxmvn_3x3_kernelILj256ELj32EdiidddEEvT3_20rocsparse_direction_NS_24const_host_device_scalarIT1_EES1_PKS1_PKT2_SA_S7_PKT4_PKT5_S5_PT6_21rocsparse_index_base_b.num_agpr, 0
	.set _ZN9rocsparseL18bsrxmvn_3x3_kernelILj256ELj32EdiidddEEvT3_20rocsparse_direction_NS_24const_host_device_scalarIT1_EES1_PKS1_PKT2_SA_S7_PKT4_PKT5_S5_PT6_21rocsparse_index_base_b.numbered_sgpr, 14
	.set _ZN9rocsparseL18bsrxmvn_3x3_kernelILj256ELj32EdiidddEEvT3_20rocsparse_direction_NS_24const_host_device_scalarIT1_EES1_PKS1_PKT2_SA_S7_PKT4_PKT5_S5_PT6_21rocsparse_index_base_b.num_named_barrier, 0
	.set _ZN9rocsparseL18bsrxmvn_3x3_kernelILj256ELj32EdiidddEEvT3_20rocsparse_direction_NS_24const_host_device_scalarIT1_EES1_PKS1_PKT2_SA_S7_PKT4_PKT5_S5_PT6_21rocsparse_index_base_b.private_seg_size, 0
	.set _ZN9rocsparseL18bsrxmvn_3x3_kernelILj256ELj32EdiidddEEvT3_20rocsparse_direction_NS_24const_host_device_scalarIT1_EES1_PKS1_PKT2_SA_S7_PKT4_PKT5_S5_PT6_21rocsparse_index_base_b.uses_vcc, 1
	.set _ZN9rocsparseL18bsrxmvn_3x3_kernelILj256ELj32EdiidddEEvT3_20rocsparse_direction_NS_24const_host_device_scalarIT1_EES1_PKS1_PKT2_SA_S7_PKT4_PKT5_S5_PT6_21rocsparse_index_base_b.uses_flat_scratch, 0
	.set _ZN9rocsparseL18bsrxmvn_3x3_kernelILj256ELj32EdiidddEEvT3_20rocsparse_direction_NS_24const_host_device_scalarIT1_EES1_PKS1_PKT2_SA_S7_PKT4_PKT5_S5_PT6_21rocsparse_index_base_b.has_dyn_sized_stack, 0
	.set _ZN9rocsparseL18bsrxmvn_3x3_kernelILj256ELj32EdiidddEEvT3_20rocsparse_direction_NS_24const_host_device_scalarIT1_EES1_PKS1_PKT2_SA_S7_PKT4_PKT5_S5_PT6_21rocsparse_index_base_b.has_recursion, 0
	.set _ZN9rocsparseL18bsrxmvn_3x3_kernelILj256ELj32EdiidddEEvT3_20rocsparse_direction_NS_24const_host_device_scalarIT1_EES1_PKS1_PKT2_SA_S7_PKT4_PKT5_S5_PT6_21rocsparse_index_base_b.has_indirect_call, 0
	.section	.AMDGPU.csdata,"",@progbits
; Kernel info:
; codeLenInByte = 2196
; TotalNumSgprs: 16
; NumVgprs: 45
; ScratchSize: 0
; MemoryBound: 1
; FloatMode: 240
; IeeeMode: 1
; LDSByteSize: 0 bytes/workgroup (compile time only)
; SGPRBlocks: 0
; VGPRBlocks: 5
; NumSGPRsForWavesPerEU: 16
; NumVGPRsForWavesPerEU: 45
; Occupancy: 16
; WaveLimiterHint : 1
; COMPUTE_PGM_RSRC2:SCRATCH_EN: 0
; COMPUTE_PGM_RSRC2:USER_SGPR: 2
; COMPUTE_PGM_RSRC2:TRAP_HANDLER: 0
; COMPUTE_PGM_RSRC2:TGID_X_EN: 1
; COMPUTE_PGM_RSRC2:TGID_Y_EN: 0
; COMPUTE_PGM_RSRC2:TGID_Z_EN: 0
; COMPUTE_PGM_RSRC2:TIDIG_COMP_CNT: 0
	.section	.text._ZN9rocsparseL18bsrxmvn_3x3_kernelILj256ELj64EdiidddEEvT3_20rocsparse_direction_NS_24const_host_device_scalarIT1_EES1_PKS1_PKT2_SA_S7_PKT4_PKT5_S5_PT6_21rocsparse_index_base_b,"axG",@progbits,_ZN9rocsparseL18bsrxmvn_3x3_kernelILj256ELj64EdiidddEEvT3_20rocsparse_direction_NS_24const_host_device_scalarIT1_EES1_PKS1_PKT2_SA_S7_PKT4_PKT5_S5_PT6_21rocsparse_index_base_b,comdat
	.globl	_ZN9rocsparseL18bsrxmvn_3x3_kernelILj256ELj64EdiidddEEvT3_20rocsparse_direction_NS_24const_host_device_scalarIT1_EES1_PKS1_PKT2_SA_S7_PKT4_PKT5_S5_PT6_21rocsparse_index_base_b ; -- Begin function _ZN9rocsparseL18bsrxmvn_3x3_kernelILj256ELj64EdiidddEEvT3_20rocsparse_direction_NS_24const_host_device_scalarIT1_EES1_PKS1_PKT2_SA_S7_PKT4_PKT5_S5_PT6_21rocsparse_index_base_b
	.p2align	8
	.type	_ZN9rocsparseL18bsrxmvn_3x3_kernelILj256ELj64EdiidddEEvT3_20rocsparse_direction_NS_24const_host_device_scalarIT1_EES1_PKS1_PKT2_SA_S7_PKT4_PKT5_S5_PT6_21rocsparse_index_base_b,@function
_ZN9rocsparseL18bsrxmvn_3x3_kernelILj256ELj64EdiidddEEvT3_20rocsparse_direction_NS_24const_host_device_scalarIT1_EES1_PKS1_PKT2_SA_S7_PKT4_PKT5_S5_PT6_21rocsparse_index_base_b: ; @_ZN9rocsparseL18bsrxmvn_3x3_kernelILj256ELj64EdiidddEEvT3_20rocsparse_direction_NS_24const_host_device_scalarIT1_EES1_PKS1_PKT2_SA_S7_PKT4_PKT5_S5_PT6_21rocsparse_index_base_b
; %bb.0:
	s_clause 0x2
	s_load_b64 s[12:13], s[0:1], 0x58
	s_load_b64 s[4:5], s[0:1], 0x8
	;; [unrolled: 1-line block ×3, first 2 shown]
	s_wait_kmcnt 0x0
	s_bitcmp1_b32 s13, 0
	v_dual_mov_b32 v7, s5 :: v_dual_mov_b32 v6, s4
	s_cselect_b32 s6, -1, 0
	s_delay_alu instid0(SALU_CYCLE_1)
	s_and_b32 vcc_lo, exec_lo, s6
	s_xor_b32 s6, s6, -1
	s_cbranch_vccnz .LBB9_2
; %bb.1:
	v_dual_mov_b32 v1, s4 :: v_dual_mov_b32 v2, s5
	flat_load_b64 v[6:7], v[1:2]
.LBB9_2:
	v_dual_mov_b32 v5, s3 :: v_dual_mov_b32 v4, s2
	s_and_not1_b32 vcc_lo, exec_lo, s6
	s_cbranch_vccnz .LBB9_4
; %bb.3:
	v_dual_mov_b32 v1, s2 :: v_dual_mov_b32 v2, s3
	flat_load_b64 v[4:5], v[1:2]
.LBB9_4:
	s_wait_loadcnt_dscnt 0x0
	v_cmp_neq_f64_e32 vcc_lo, 0, v[6:7]
	v_cmp_neq_f64_e64 s2, 1.0, v[4:5]
	s_or_b32 s2, vcc_lo, s2
	s_wait_alu 0xfffe
	s_and_saveexec_b32 s3, s2
	s_cbranch_execz .LBB9_10
; %bb.5:
	s_clause 0x1
	s_load_b64 s[4:5], s[0:1], 0x18
	s_load_b64 s[2:3], s[0:1], 0x0
	v_lshrrev_b32_e32 v1, 6, v0
	s_delay_alu instid0(VALU_DEP_1)
	v_lshl_or_b32 v8, ttmp9, 2, v1
	s_wait_kmcnt 0x0
	s_cmp_lg_u64 s[4:5], 0
	s_cbranch_scc0 .LBB9_11
; %bb.6:
	s_load_b32 s6, s[0:1], 0x10
	s_mov_b32 s7, 0
                                        ; implicit-def: $vgpr1
	s_wait_kmcnt 0x0
	v_cmp_gt_i32_e32 vcc_lo, s6, v8
	s_mov_b32 s6, 0
	s_and_saveexec_b32 s8, vcc_lo
	s_delay_alu instid0(SALU_CYCLE_1)
	s_xor_b32 s8, exec_lo, s8
	s_cbranch_execz .LBB9_8
; %bb.7:
	v_ashrrev_i32_e32 v9, 31, v8
	s_mov_b32 s6, exec_lo
	s_delay_alu instid0(VALU_DEP_1) | instskip(NEXT) | instid1(VALU_DEP_1)
	v_lshlrev_b64_e32 v[1:2], 2, v[8:9]
	v_add_co_u32 v1, vcc_lo, s4, v1
	s_delay_alu instid0(VALU_DEP_1)
	v_add_co_ci_u32_e64 v2, null, s5, v2, vcc_lo
	global_load_b32 v1, v[1:2], off
	s_wait_loadcnt 0x0
	v_subrev_nc_u32_e32 v1, s12, v1
.LBB9_8:
	s_or_b32 exec_lo, exec_lo, s8
	s_delay_alu instid0(SALU_CYCLE_1)
	s_and_b32 vcc_lo, exec_lo, s7
	s_wait_alu 0xfffe
	s_cbranch_vccz .LBB9_12
.LBB9_9:
	v_cmp_gt_i32_e32 vcc_lo, s2, v8
	s_and_not1_b32 s2, s6, exec_lo
	s_and_b32 s4, vcc_lo, exec_lo
	s_wait_alu 0xfffe
	s_or_b32 s6, s2, s4
	s_wait_alu 0xfffe
	s_and_b32 exec_lo, exec_lo, s6
	s_cbranch_execnz .LBB9_13
.LBB9_10:
	s_endpgm
.LBB9_11:
	s_mov_b32 s6, 0
                                        ; implicit-def: $vgpr1
	s_cbranch_execnz .LBB9_9
.LBB9_12:
	v_mov_b32_e32 v8, v1
	s_and_b32 exec_lo, exec_lo, s6
	s_cbranch_execz .LBB9_10
.LBB9_13:
	s_load_b256 s[4:11], s[0:1], 0x20
	s_delay_alu instid0(VALU_DEP_1) | instskip(SKIP_1) | instid1(VALU_DEP_2)
	v_ashrrev_i32_e32 v9, 31, v8
	v_and_b32_e32 v19, 63, v0
	v_lshlrev_b64_e32 v[1:2], 2, v[8:9]
	s_wait_kmcnt 0x0
	s_delay_alu instid0(VALU_DEP_1) | instskip(SKIP_1) | instid1(VALU_DEP_2)
	v_add_co_u32 v9, vcc_lo, s4, v1
	s_wait_alu 0xfffd
	v_add_co_ci_u32_e64 v10, null, s5, v2, vcc_lo
	v_add_co_u32 v1, vcc_lo, s6, v1
	s_wait_alu 0xfffd
	v_add_co_ci_u32_e64 v2, null, s7, v2, vcc_lo
	v_add_co_u32 v3, vcc_lo, v9, 4
	s_wait_alu 0xfffd
	v_add_co_ci_u32_e64 v11, null, 0, v10, vcc_lo
	s_cmp_eq_u64 s[6:7], 0
	global_load_b32 v9, v[9:10], off
	s_cselect_b32 vcc_lo, -1, 0
	s_load_b64 s[4:5], s[0:1], 0x40
	v_cndmask_b32_e32 v2, v2, v11, vcc_lo
	v_cndmask_b32_e32 v1, v1, v3, vcc_lo
	s_cmp_eq_u32 s3, 1
	global_load_b32 v1, v[1:2], off
	s_wait_loadcnt 0x1
	v_subrev_nc_u32_e32 v0, s12, v9
	s_delay_alu instid0(VALU_DEP_1) | instskip(SKIP_2) | instid1(VALU_DEP_2)
	v_add_nc_u32_e32 v11, v0, v19
	s_wait_loadcnt 0x0
	v_subrev_nc_u32_e32 v20, s12, v1
	v_mad_co_i64_i32 v[13:14], null, 0x48, v11, s[10:11]
	s_delay_alu instid0(VALU_DEP_2)
	v_cmp_lt_i32_e64 s2, v11, v20
	s_cbranch_scc1 .LBB9_19
; %bb.14:
	v_mov_b32_e32 v0, 0
	v_dual_mov_b32 v1, 0 :: v_dual_mov_b32 v2, 0
	v_mov_b32_e32 v9, 0
	v_dual_mov_b32 v3, 0 :: v_dual_mov_b32 v10, 0
	s_and_saveexec_b32 s6, s2
	s_cbranch_execz .LBB9_18
; %bb.15:
	v_mov_b32_e32 v0, 0
	v_dual_mov_b32 v1, 0 :: v_dual_mov_b32 v16, v14
	v_dual_mov_b32 v2, 0 :: v_dual_mov_b32 v9, 0
	v_mov_b32_e32 v15, v13
	v_dual_mov_b32 v3, 0 :: v_dual_mov_b32 v10, 0
	v_mov_b32_e32 v17, v11
	s_mov_b32 s7, 0
.LBB9_16:                               ; =>This Inner Loop Header: Depth=1
	s_delay_alu instid0(VALU_DEP_1) | instskip(NEXT) | instid1(VALU_DEP_1)
	v_ashrrev_i32_e32 v18, 31, v17
	v_lshlrev_b64_e32 v[21:22], 2, v[17:18]
	v_add_nc_u32_e32 v17, 64, v17
	s_delay_alu instid0(VALU_DEP_2) | instskip(SKIP_1) | instid1(VALU_DEP_3)
	v_add_co_u32 v21, vcc_lo, s8, v21
	s_wait_alu 0xfffd
	v_add_co_ci_u32_e64 v22, null, s9, v22, vcc_lo
	global_load_b32 v12, v[21:22], off
	global_load_b128 v[21:24], v[15:16], off offset:48
	s_wait_loadcnt 0x1
	v_subrev_nc_u32_e32 v12, s12, v12
	s_delay_alu instid0(VALU_DEP_1) | instskip(NEXT) | instid1(VALU_DEP_1)
	v_lshl_add_u32 v25, v12, 1, v12
	v_ashrrev_i32_e32 v26, 31, v25
	s_delay_alu instid0(VALU_DEP_1) | instskip(SKIP_1) | instid1(VALU_DEP_1)
	v_lshlrev_b64_e32 v[25:26], 3, v[25:26]
	s_wait_kmcnt 0x0
	v_add_co_u32 v37, vcc_lo, s4, v25
	s_wait_alu 0xfffd
	s_delay_alu instid0(VALU_DEP_2)
	v_add_co_ci_u32_e64 v38, null, s5, v26, vcc_lo
	v_cmp_ge_i32_e32 vcc_lo, v17, v20
	s_clause 0x1
	global_load_b128 v[25:28], v[15:16], off offset:16
	global_load_b128 v[29:32], v[15:16], off
	s_clause 0x1
	global_load_b128 v[33:36], v[37:38], off
	global_load_b64 v[41:42], v[37:38], off offset:16
	s_clause 0x1
	global_load_b128 v[37:40], v[15:16], off offset:32
	global_load_b64 v[43:44], v[15:16], off offset:64
	v_add_co_u32 v15, s3, 0x1200, v15
	s_wait_alu 0xf1ff
	v_add_co_ci_u32_e64 v16, null, 0, v16, s3
	s_wait_alu 0xfffe
	s_or_b32 s7, vcc_lo, s7
	s_wait_loadcnt 0x3
	v_fma_f64 v[9:10], v[29:30], v[33:34], v[9:10]
	v_fma_f64 v[2:3], v[27:28], v[33:34], v[2:3]
	v_fma_f64 v[0:1], v[21:22], v[33:34], v[0:1]
	s_delay_alu instid0(VALU_DEP_3) | instskip(SKIP_1) | instid1(VALU_DEP_3)
	v_fma_f64 v[9:10], v[31:32], v[35:36], v[9:10]
	s_wait_loadcnt 0x1
	v_fma_f64 v[2:3], v[37:38], v[35:36], v[2:3]
	s_delay_alu instid0(VALU_DEP_3) | instskip(NEXT) | instid1(VALU_DEP_3)
	v_fma_f64 v[0:1], v[23:24], v[35:36], v[0:1]
	v_fma_f64 v[9:10], v[25:26], v[41:42], v[9:10]
	s_delay_alu instid0(VALU_DEP_3) | instskip(SKIP_1) | instid1(VALU_DEP_3)
	v_fma_f64 v[2:3], v[39:40], v[41:42], v[2:3]
	s_wait_loadcnt 0x0
	v_fma_f64 v[0:1], v[43:44], v[41:42], v[0:1]
	s_wait_alu 0xfffe
	s_and_not1_b32 exec_lo, exec_lo, s7
	s_cbranch_execnz .LBB9_16
; %bb.17:
	s_or_b32 exec_lo, exec_lo, s7
.LBB9_18:
	s_wait_alu 0xfffe
	s_or_b32 exec_lo, exec_lo, s6
	s_cbranch_execz .LBB9_20
	s_branch .LBB9_25
.LBB9_19:
                                        ; implicit-def: $vgpr0_vgpr1
                                        ; implicit-def: $vgpr2_vgpr3
                                        ; implicit-def: $vgpr9_vgpr10
.LBB9_20:
	v_mov_b32_e32 v0, 0
	v_dual_mov_b32 v1, 0 :: v_dual_mov_b32 v2, 0
	v_mov_b32_e32 v9, 0
	v_dual_mov_b32 v3, 0 :: v_dual_mov_b32 v10, 0
	s_and_saveexec_b32 s3, s2
	s_cbranch_execz .LBB9_24
; %bb.21:
	v_mov_b32_e32 v0, 0
	v_dual_mov_b32 v1, 0 :: v_dual_mov_b32 v2, 0
	v_mov_b32_e32 v9, 0
	v_dual_mov_b32 v3, 0 :: v_dual_mov_b32 v10, 0
	s_mov_b32 s6, 0
.LBB9_22:                               ; =>This Inner Loop Header: Depth=1
	v_ashrrev_i32_e32 v12, 31, v11
	s_delay_alu instid0(VALU_DEP_1) | instskip(SKIP_1) | instid1(VALU_DEP_2)
	v_lshlrev_b64_e32 v[15:16], 2, v[11:12]
	v_add_nc_u32_e32 v11, 64, v11
	v_add_co_u32 v15, vcc_lo, s8, v15
	s_wait_alu 0xfffd
	s_delay_alu instid0(VALU_DEP_3) | instskip(SKIP_3) | instid1(VALU_DEP_1)
	v_add_co_ci_u32_e64 v16, null, s9, v16, vcc_lo
	global_load_b32 v12, v[15:16], off
	s_wait_loadcnt 0x0
	v_subrev_nc_u32_e32 v12, s12, v12
	v_lshl_add_u32 v15, v12, 1, v12
	s_delay_alu instid0(VALU_DEP_1) | instskip(NEXT) | instid1(VALU_DEP_1)
	v_ashrrev_i32_e32 v16, 31, v15
	v_lshlrev_b64_e32 v[15:16], 3, v[15:16]
	s_wait_kmcnt 0x0
	s_delay_alu instid0(VALU_DEP_1) | instskip(SKIP_1) | instid1(VALU_DEP_2)
	v_add_co_u32 v29, vcc_lo, s4, v15
	s_wait_alu 0xfffd
	v_add_co_ci_u32_e64 v30, null, s5, v16, vcc_lo
	v_cmp_ge_i32_e32 vcc_lo, v11, v20
	s_clause 0x1
	global_load_b128 v[15:18], v[13:14], off offset:16
	global_load_b128 v[21:24], v[13:14], off
	s_clause 0x1
	global_load_b128 v[25:28], v[29:30], off
	global_load_b64 v[37:38], v[29:30], off offset:16
	s_clause 0x2
	global_load_b128 v[29:32], v[13:14], off offset:32
	global_load_b128 v[33:36], v[13:14], off offset:48
	global_load_b64 v[39:40], v[13:14], off offset:64
	v_add_co_u32 v13, s2, 0x1200, v13
	s_wait_alu 0xf1ff
	v_add_co_ci_u32_e64 v14, null, 0, v14, s2
	s_wait_alu 0xfffe
	s_or_b32 s6, vcc_lo, s6
	s_wait_loadcnt 0x4
	v_fma_f64 v[9:10], v[21:22], v[25:26], v[9:10]
	v_fma_f64 v[2:3], v[23:24], v[25:26], v[2:3]
	v_fma_f64 v[0:1], v[15:16], v[25:26], v[0:1]
	s_delay_alu instid0(VALU_DEP_3) | instskip(SKIP_1) | instid1(VALU_DEP_3)
	v_fma_f64 v[9:10], v[17:18], v[27:28], v[9:10]
	s_wait_loadcnt 0x2
	v_fma_f64 v[2:3], v[29:30], v[27:28], v[2:3]
	s_delay_alu instid0(VALU_DEP_3) | instskip(SKIP_1) | instid1(VALU_DEP_3)
	v_fma_f64 v[0:1], v[31:32], v[27:28], v[0:1]
	s_wait_loadcnt 0x1
	v_fma_f64 v[9:10], v[33:34], v[37:38], v[9:10]
	;; [unrolled: 4-line block ×3, first 2 shown]
	s_wait_alu 0xfffe
	s_and_not1_b32 exec_lo, exec_lo, s6
	s_cbranch_execnz .LBB9_22
; %bb.23:
	s_or_b32 exec_lo, exec_lo, s6
.LBB9_24:
	s_wait_alu 0xfffe
	s_or_b32 exec_lo, exec_lo, s3
.LBB9_25:
	v_mbcnt_lo_u32_b32 v17, -1, 0
	s_delay_alu instid0(VALU_DEP_1) | instskip(NEXT) | instid1(VALU_DEP_1)
	v_or_b32_e32 v11, 32, v17
	v_cmp_gt_i32_e32 vcc_lo, 32, v11
	s_wait_alu 0xfffd
	v_cndmask_b32_e32 v11, v17, v11, vcc_lo
	s_delay_alu instid0(VALU_DEP_1)
	v_lshlrev_b32_e32 v16, 2, v11
	ds_bpermute_b32 v11, v16, v9
	ds_bpermute_b32 v12, v16, v10
	ds_bpermute_b32 v13, v16, v2
	ds_bpermute_b32 v14, v16, v3
	ds_bpermute_b32 v15, v16, v0
	ds_bpermute_b32 v16, v16, v1
	s_wait_dscnt 0x4
	v_add_f64_e32 v[9:10], v[9:10], v[11:12]
	v_xor_b32_e32 v11, 16, v17
	s_wait_dscnt 0x2
	v_add_f64_e32 v[2:3], v[2:3], v[13:14]
	s_wait_dscnt 0x0
	v_add_f64_e32 v[0:1], v[0:1], v[15:16]
	v_cmp_gt_i32_e32 vcc_lo, 32, v11
	s_wait_alu 0xfffd
	v_cndmask_b32_e32 v11, v17, v11, vcc_lo
	s_delay_alu instid0(VALU_DEP_1)
	v_lshlrev_b32_e32 v16, 2, v11
	ds_bpermute_b32 v11, v16, v9
	ds_bpermute_b32 v12, v16, v10
	ds_bpermute_b32 v13, v16, v2
	ds_bpermute_b32 v14, v16, v3
	ds_bpermute_b32 v15, v16, v0
	ds_bpermute_b32 v16, v16, v1
	s_wait_dscnt 0x4
	v_add_f64_e32 v[9:10], v[9:10], v[11:12]
	v_xor_b32_e32 v11, 8, v17
	s_wait_dscnt 0x2
	v_add_f64_e32 v[2:3], v[2:3], v[13:14]
	s_wait_dscnt 0x0
	v_add_f64_e32 v[0:1], v[0:1], v[15:16]
	;; [unrolled: 18-line block ×3, first 2 shown]
	v_cmp_gt_i32_e32 vcc_lo, 32, v11
	s_wait_alu 0xfffd
	v_cndmask_b32_e32 v11, v17, v11, vcc_lo
	s_delay_alu instid0(VALU_DEP_1)
	v_lshlrev_b32_e32 v16, 2, v11
	ds_bpermute_b32 v11, v16, v9
	ds_bpermute_b32 v12, v16, v10
	;; [unrolled: 1-line block ×6, first 2 shown]
	s_wait_dscnt 0x4
	v_add_f64_e32 v[9:10], v[9:10], v[11:12]
	s_wait_dscnt 0x2
	v_add_f64_e32 v[2:3], v[2:3], v[13:14]
	;; [unrolled: 2-line block ×3, first 2 shown]
	v_xor_b32_e32 v0, 2, v17
	s_delay_alu instid0(VALU_DEP_1) | instskip(SKIP_2) | instid1(VALU_DEP_1)
	v_cmp_gt_i32_e32 vcc_lo, 32, v0
	s_wait_alu 0xfffd
	v_cndmask_b32_e32 v0, v17, v0, vcc_lo
	v_lshlrev_b32_e32 v16, 2, v0
	ds_bpermute_b32 v0, v16, v9
	ds_bpermute_b32 v1, v16, v10
	;; [unrolled: 1-line block ×6, first 2 shown]
	s_wait_dscnt 0x4
	v_add_f64_e32 v[9:10], v[9:10], v[0:1]
	s_wait_dscnt 0x2
	v_add_f64_e32 v[0:1], v[2:3], v[13:14]
	;; [unrolled: 2-line block ×3, first 2 shown]
	v_xor_b32_e32 v11, 1, v17
	s_delay_alu instid0(VALU_DEP_1) | instskip(SKIP_3) | instid1(VALU_DEP_2)
	v_cmp_gt_i32_e32 vcc_lo, 32, v11
	s_wait_alu 0xfffd
	v_cndmask_b32_e32 v11, v17, v11, vcc_lo
	v_cmp_eq_u32_e32 vcc_lo, 63, v19
	v_lshlrev_b32_e32 v12, 2, v11
	ds_bpermute_b32 v15, v12, v9
	ds_bpermute_b32 v16, v12, v10
	;; [unrolled: 1-line block ×6, first 2 shown]
	s_and_b32 exec_lo, exec_lo, vcc_lo
	s_cbranch_execz .LBB9_10
; %bb.26:
	s_wait_dscnt 0x4
	v_add_f64_e32 v[9:10], v[9:10], v[15:16]
	s_wait_dscnt 0x2
	v_add_f64_e32 v[13:14], v[0:1], v[13:14]
	;; [unrolled: 2-line block ×3, first 2 shown]
	s_load_b64 s[0:1], s[0:1], 0x50
	v_lshl_add_u32 v8, v8, 1, v8
	s_mov_b32 s2, exec_lo
	s_delay_alu instid0(VALU_DEP_4) | instskip(NEXT) | instid1(VALU_DEP_4)
	v_mul_f64_e32 v[0:1], v[6:7], v[9:10]
	v_mul_f64_e32 v[2:3], v[6:7], v[13:14]
	s_delay_alu instid0(VALU_DEP_4)
	v_mul_f64_e32 v[6:7], v[6:7], v[11:12]
	v_ashrrev_i32_e32 v9, 31, v8
	v_cmpx_eq_f64_e32 0, v[4:5]
	s_wait_alu 0xfffe
	s_xor_b32 s2, exec_lo, s2
	s_cbranch_execz .LBB9_28
; %bb.27:
	v_lshlrev_b64_e32 v[4:5], 3, v[8:9]
                                        ; implicit-def: $vgpr8
	s_wait_kmcnt 0x0
	s_delay_alu instid0(VALU_DEP_1) | instskip(SKIP_1) | instid1(VALU_DEP_2)
	v_add_co_u32 v4, vcc_lo, s0, v4
	s_wait_alu 0xfffd
	v_add_co_ci_u32_e64 v5, null, s1, v5, vcc_lo
	s_clause 0x1
	global_store_b128 v[4:5], v[0:3], off
	global_store_b64 v[4:5], v[6:7], off offset:16
                                        ; implicit-def: $vgpr4_vgpr5
                                        ; implicit-def: $vgpr0_vgpr1
                                        ; implicit-def: $vgpr6_vgpr7
.LBB9_28:
	s_wait_alu 0xfffe
	s_and_not1_saveexec_b32 s2, s2
	s_cbranch_execz .LBB9_10
; %bb.29:
	v_lshlrev_b64_e32 v[8:9], 3, v[8:9]
	s_wait_kmcnt 0x0
	s_delay_alu instid0(VALU_DEP_1) | instskip(SKIP_1) | instid1(VALU_DEP_2)
	v_add_co_u32 v12, vcc_lo, s0, v8
	s_wait_alu 0xfffd
	v_add_co_ci_u32_e64 v13, null, s1, v9, vcc_lo
	s_clause 0x1
	global_load_b128 v[8:11], v[12:13], off
	global_load_b64 v[14:15], v[12:13], off offset:16
	s_wait_loadcnt 0x1
	v_fma_f64 v[0:1], v[4:5], v[8:9], v[0:1]
	v_fma_f64 v[2:3], v[4:5], v[10:11], v[2:3]
	s_wait_loadcnt 0x0
	v_fma_f64 v[4:5], v[4:5], v[14:15], v[6:7]
	s_clause 0x1
	global_store_b128 v[12:13], v[0:3], off
	global_store_b64 v[12:13], v[4:5], off offset:16
	s_endpgm
	.section	.rodata,"a",@progbits
	.p2align	6, 0x0
	.amdhsa_kernel _ZN9rocsparseL18bsrxmvn_3x3_kernelILj256ELj64EdiidddEEvT3_20rocsparse_direction_NS_24const_host_device_scalarIT1_EES1_PKS1_PKT2_SA_S7_PKT4_PKT5_S5_PT6_21rocsparse_index_base_b
		.amdhsa_group_segment_fixed_size 0
		.amdhsa_private_segment_fixed_size 0
		.amdhsa_kernarg_size 96
		.amdhsa_user_sgpr_count 2
		.amdhsa_user_sgpr_dispatch_ptr 0
		.amdhsa_user_sgpr_queue_ptr 0
		.amdhsa_user_sgpr_kernarg_segment_ptr 1
		.amdhsa_user_sgpr_dispatch_id 0
		.amdhsa_user_sgpr_private_segment_size 0
		.amdhsa_wavefront_size32 1
		.amdhsa_uses_dynamic_stack 0
		.amdhsa_enable_private_segment 0
		.amdhsa_system_sgpr_workgroup_id_x 1
		.amdhsa_system_sgpr_workgroup_id_y 0
		.amdhsa_system_sgpr_workgroup_id_z 0
		.amdhsa_system_sgpr_workgroup_info 0
		.amdhsa_system_vgpr_workitem_id 0
		.amdhsa_next_free_vgpr 45
		.amdhsa_next_free_sgpr 14
		.amdhsa_reserve_vcc 1
		.amdhsa_float_round_mode_32 0
		.amdhsa_float_round_mode_16_64 0
		.amdhsa_float_denorm_mode_32 3
		.amdhsa_float_denorm_mode_16_64 3
		.amdhsa_fp16_overflow 0
		.amdhsa_workgroup_processor_mode 1
		.amdhsa_memory_ordered 1
		.amdhsa_forward_progress 1
		.amdhsa_inst_pref_size 18
		.amdhsa_round_robin_scheduling 0
		.amdhsa_exception_fp_ieee_invalid_op 0
		.amdhsa_exception_fp_denorm_src 0
		.amdhsa_exception_fp_ieee_div_zero 0
		.amdhsa_exception_fp_ieee_overflow 0
		.amdhsa_exception_fp_ieee_underflow 0
		.amdhsa_exception_fp_ieee_inexact 0
		.amdhsa_exception_int_div_zero 0
	.end_amdhsa_kernel
	.section	.text._ZN9rocsparseL18bsrxmvn_3x3_kernelILj256ELj64EdiidddEEvT3_20rocsparse_direction_NS_24const_host_device_scalarIT1_EES1_PKS1_PKT2_SA_S7_PKT4_PKT5_S5_PT6_21rocsparse_index_base_b,"axG",@progbits,_ZN9rocsparseL18bsrxmvn_3x3_kernelILj256ELj64EdiidddEEvT3_20rocsparse_direction_NS_24const_host_device_scalarIT1_EES1_PKS1_PKT2_SA_S7_PKT4_PKT5_S5_PT6_21rocsparse_index_base_b,comdat
.Lfunc_end9:
	.size	_ZN9rocsparseL18bsrxmvn_3x3_kernelILj256ELj64EdiidddEEvT3_20rocsparse_direction_NS_24const_host_device_scalarIT1_EES1_PKS1_PKT2_SA_S7_PKT4_PKT5_S5_PT6_21rocsparse_index_base_b, .Lfunc_end9-_ZN9rocsparseL18bsrxmvn_3x3_kernelILj256ELj64EdiidddEEvT3_20rocsparse_direction_NS_24const_host_device_scalarIT1_EES1_PKS1_PKT2_SA_S7_PKT4_PKT5_S5_PT6_21rocsparse_index_base_b
                                        ; -- End function
	.set _ZN9rocsparseL18bsrxmvn_3x3_kernelILj256ELj64EdiidddEEvT3_20rocsparse_direction_NS_24const_host_device_scalarIT1_EES1_PKS1_PKT2_SA_S7_PKT4_PKT5_S5_PT6_21rocsparse_index_base_b.num_vgpr, 45
	.set _ZN9rocsparseL18bsrxmvn_3x3_kernelILj256ELj64EdiidddEEvT3_20rocsparse_direction_NS_24const_host_device_scalarIT1_EES1_PKS1_PKT2_SA_S7_PKT4_PKT5_S5_PT6_21rocsparse_index_base_b.num_agpr, 0
	.set _ZN9rocsparseL18bsrxmvn_3x3_kernelILj256ELj64EdiidddEEvT3_20rocsparse_direction_NS_24const_host_device_scalarIT1_EES1_PKS1_PKT2_SA_S7_PKT4_PKT5_S5_PT6_21rocsparse_index_base_b.numbered_sgpr, 14
	.set _ZN9rocsparseL18bsrxmvn_3x3_kernelILj256ELj64EdiidddEEvT3_20rocsparse_direction_NS_24const_host_device_scalarIT1_EES1_PKS1_PKT2_SA_S7_PKT4_PKT5_S5_PT6_21rocsparse_index_base_b.num_named_barrier, 0
	.set _ZN9rocsparseL18bsrxmvn_3x3_kernelILj256ELj64EdiidddEEvT3_20rocsparse_direction_NS_24const_host_device_scalarIT1_EES1_PKS1_PKT2_SA_S7_PKT4_PKT5_S5_PT6_21rocsparse_index_base_b.private_seg_size, 0
	.set _ZN9rocsparseL18bsrxmvn_3x3_kernelILj256ELj64EdiidddEEvT3_20rocsparse_direction_NS_24const_host_device_scalarIT1_EES1_PKS1_PKT2_SA_S7_PKT4_PKT5_S5_PT6_21rocsparse_index_base_b.uses_vcc, 1
	.set _ZN9rocsparseL18bsrxmvn_3x3_kernelILj256ELj64EdiidddEEvT3_20rocsparse_direction_NS_24const_host_device_scalarIT1_EES1_PKS1_PKT2_SA_S7_PKT4_PKT5_S5_PT6_21rocsparse_index_base_b.uses_flat_scratch, 0
	.set _ZN9rocsparseL18bsrxmvn_3x3_kernelILj256ELj64EdiidddEEvT3_20rocsparse_direction_NS_24const_host_device_scalarIT1_EES1_PKS1_PKT2_SA_S7_PKT4_PKT5_S5_PT6_21rocsparse_index_base_b.has_dyn_sized_stack, 0
	.set _ZN9rocsparseL18bsrxmvn_3x3_kernelILj256ELj64EdiidddEEvT3_20rocsparse_direction_NS_24const_host_device_scalarIT1_EES1_PKS1_PKT2_SA_S7_PKT4_PKT5_S5_PT6_21rocsparse_index_base_b.has_recursion, 0
	.set _ZN9rocsparseL18bsrxmvn_3x3_kernelILj256ELj64EdiidddEEvT3_20rocsparse_direction_NS_24const_host_device_scalarIT1_EES1_PKS1_PKT2_SA_S7_PKT4_PKT5_S5_PT6_21rocsparse_index_base_b.has_indirect_call, 0
	.section	.AMDGPU.csdata,"",@progbits
; Kernel info:
; codeLenInByte = 2292
; TotalNumSgprs: 16
; NumVgprs: 45
; ScratchSize: 0
; MemoryBound: 1
; FloatMode: 240
; IeeeMode: 1
; LDSByteSize: 0 bytes/workgroup (compile time only)
; SGPRBlocks: 0
; VGPRBlocks: 5
; NumSGPRsForWavesPerEU: 16
; NumVGPRsForWavesPerEU: 45
; Occupancy: 16
; WaveLimiterHint : 1
; COMPUTE_PGM_RSRC2:SCRATCH_EN: 0
; COMPUTE_PGM_RSRC2:USER_SGPR: 2
; COMPUTE_PGM_RSRC2:TRAP_HANDLER: 0
; COMPUTE_PGM_RSRC2:TGID_X_EN: 1
; COMPUTE_PGM_RSRC2:TGID_Y_EN: 0
; COMPUTE_PGM_RSRC2:TGID_Z_EN: 0
; COMPUTE_PGM_RSRC2:TIDIG_COMP_CNT: 0
	.section	.text._ZN9rocsparseL18bsrxmvn_3x3_kernelILj256ELj4E21rocsparse_complex_numIfEiiS2_S2_S2_EEvT3_20rocsparse_direction_NS_24const_host_device_scalarIT1_EES3_PKS3_PKT2_SC_S9_PKT4_PKT5_S7_PT6_21rocsparse_index_base_b,"axG",@progbits,_ZN9rocsparseL18bsrxmvn_3x3_kernelILj256ELj4E21rocsparse_complex_numIfEiiS2_S2_S2_EEvT3_20rocsparse_direction_NS_24const_host_device_scalarIT1_EES3_PKS3_PKT2_SC_S9_PKT4_PKT5_S7_PT6_21rocsparse_index_base_b,comdat
	.globl	_ZN9rocsparseL18bsrxmvn_3x3_kernelILj256ELj4E21rocsparse_complex_numIfEiiS2_S2_S2_EEvT3_20rocsparse_direction_NS_24const_host_device_scalarIT1_EES3_PKS3_PKT2_SC_S9_PKT4_PKT5_S7_PT6_21rocsparse_index_base_b ; -- Begin function _ZN9rocsparseL18bsrxmvn_3x3_kernelILj256ELj4E21rocsparse_complex_numIfEiiS2_S2_S2_EEvT3_20rocsparse_direction_NS_24const_host_device_scalarIT1_EES3_PKS3_PKT2_SC_S9_PKT4_PKT5_S7_PT6_21rocsparse_index_base_b
	.p2align	8
	.type	_ZN9rocsparseL18bsrxmvn_3x3_kernelILj256ELj4E21rocsparse_complex_numIfEiiS2_S2_S2_EEvT3_20rocsparse_direction_NS_24const_host_device_scalarIT1_EES3_PKS3_PKT2_SC_S9_PKT4_PKT5_S7_PT6_21rocsparse_index_base_b,@function
_ZN9rocsparseL18bsrxmvn_3x3_kernelILj256ELj4E21rocsparse_complex_numIfEiiS2_S2_S2_EEvT3_20rocsparse_direction_NS_24const_host_device_scalarIT1_EES3_PKS3_PKT2_SC_S9_PKT4_PKT5_S7_PT6_21rocsparse_index_base_b: ; @_ZN9rocsparseL18bsrxmvn_3x3_kernelILj256ELj4E21rocsparse_complex_numIfEiiS2_S2_S2_EEvT3_20rocsparse_direction_NS_24const_host_device_scalarIT1_EES3_PKS3_PKT2_SC_S9_PKT4_PKT5_S7_PT6_21rocsparse_index_base_b
; %bb.0:
	s_clause 0x2
	s_load_b64 s[12:13], s[0:1], 0x58
	s_load_b64 s[2:3], s[0:1], 0x8
	;; [unrolled: 1-line block ×3, first 2 shown]
	s_add_nc_u64 s[6:7], s[0:1], 8
	s_wait_kmcnt 0x0
	s_bitcmp1_b32 s13, 0
	s_cselect_b32 s2, s6, s2
	s_cselect_b32 s3, s7, s3
	s_delay_alu instid0(SALU_CYCLE_1)
	v_dual_mov_b32 v1, s2 :: v_dual_mov_b32 v2, s3
	s_add_nc_u64 s[2:3], s[0:1], 0x48
	s_wait_alu 0xfffe
	s_cselect_b32 s2, s2, s4
	s_cselect_b32 s3, s3, s5
	flat_load_b64 v[6:7], v[1:2]
	s_wait_alu 0xfffe
	v_dual_mov_b32 v1, s2 :: v_dual_mov_b32 v2, s3
	flat_load_b64 v[4:5], v[1:2]
	s_wait_loadcnt_dscnt 0x101
	v_cmp_eq_f32_e32 vcc_lo, 0, v6
	v_cmp_eq_f32_e64 s2, 0, v7
	s_and_b32 s4, vcc_lo, s2
	s_mov_b32 s2, -1
	s_and_saveexec_b32 s3, s4
	s_cbranch_execz .LBB10_2
; %bb.1:
	s_wait_loadcnt_dscnt 0x0
	v_cmp_neq_f32_e32 vcc_lo, 1.0, v4
	v_cmp_neq_f32_e64 s2, 0, v5
	s_wait_alu 0xfffe
	s_or_b32 s2, vcc_lo, s2
	s_wait_alu 0xfffe
	s_or_not1_b32 s2, s2, exec_lo
.LBB10_2:
	s_wait_alu 0xfffe
	s_or_b32 exec_lo, exec_lo, s3
	s_and_saveexec_b32 s3, s2
	s_cbranch_execz .LBB10_8
; %bb.3:
	s_clause 0x1
	s_load_b64 s[4:5], s[0:1], 0x18
	s_load_b64 s[2:3], s[0:1], 0x0
	v_lshrrev_b32_e32 v1, 2, v0
	s_delay_alu instid0(VALU_DEP_1)
	v_lshl_or_b32 v2, ttmp9, 6, v1
	s_wait_kmcnt 0x0
	s_cmp_lg_u64 s[4:5], 0
	s_cbranch_scc0 .LBB10_9
; %bb.4:
	s_load_b32 s6, s[0:1], 0x10
	s_mov_b32 s7, 0
                                        ; implicit-def: $vgpr1
	s_wait_kmcnt 0x0
	v_cmp_gt_i32_e32 vcc_lo, s6, v2
	s_mov_b32 s6, 0
	s_and_saveexec_b32 s8, vcc_lo
	s_delay_alu instid0(SALU_CYCLE_1)
	s_xor_b32 s8, exec_lo, s8
	s_cbranch_execz .LBB10_6
; %bb.5:
	v_ashrrev_i32_e32 v3, 31, v2
	s_mov_b32 s6, exec_lo
	s_delay_alu instid0(VALU_DEP_1) | instskip(NEXT) | instid1(VALU_DEP_1)
	v_lshlrev_b64_e32 v[8:9], 2, v[2:3]
	v_add_co_u32 v8, vcc_lo, s4, v8
	s_delay_alu instid0(VALU_DEP_1)
	v_add_co_ci_u32_e64 v9, null, s5, v9, vcc_lo
	global_load_b32 v1, v[8:9], off
	s_wait_loadcnt 0x0
	v_subrev_nc_u32_e32 v1, s12, v1
.LBB10_6:
	s_or_b32 exec_lo, exec_lo, s8
	s_delay_alu instid0(SALU_CYCLE_1)
	s_and_b32 vcc_lo, exec_lo, s7
	s_wait_alu 0xfffe
	s_cbranch_vccz .LBB10_10
.LBB10_7:
	v_cmp_gt_i32_e32 vcc_lo, s2, v2
	s_and_not1_b32 s2, s6, exec_lo
	s_and_b32 s4, vcc_lo, exec_lo
	s_wait_alu 0xfffe
	s_or_b32 s6, s2, s4
	s_wait_alu 0xfffe
	s_and_b32 exec_lo, exec_lo, s6
	s_cbranch_execnz .LBB10_11
.LBB10_8:
	s_endpgm
.LBB10_9:
	s_mov_b32 s6, 0
                                        ; implicit-def: $vgpr1
	s_cbranch_execnz .LBB10_7
.LBB10_10:
	v_mov_b32_e32 v2, v1
	s_and_b32 exec_lo, exec_lo, s6
	s_cbranch_execz .LBB10_8
.LBB10_11:
	s_load_b256 s[4:11], s[0:1], 0x20
	s_delay_alu instid0(VALU_DEP_1) | instskip(NEXT) | instid1(VALU_DEP_1)
	v_ashrrev_i32_e32 v3, 31, v2
	v_lshlrev_b64_e32 v[8:9], 2, v[2:3]
	s_wait_kmcnt 0x0
	s_delay_alu instid0(VALU_DEP_1) | instskip(SKIP_1) | instid1(VALU_DEP_2)
	v_add_co_u32 v10, vcc_lo, s4, v8
	s_wait_alu 0xfffd
	v_add_co_ci_u32_e64 v11, null, s5, v9, vcc_lo
	v_add_co_u32 v1, vcc_lo, s6, v8
	s_wait_alu 0xfffd
	v_add_co_ci_u32_e64 v3, null, s7, v9, vcc_lo
	;; [unrolled: 3-line block ×3, first 2 shown]
	s_cmp_eq_u64 s[6:7], 0
	global_load_b32 v10, v[10:11], off
	s_cselect_b32 vcc_lo, -1, 0
	s_load_b64 s[4:5], s[0:1], 0x40
	v_dual_cndmask_b32 v9, v3, v9 :: v_dual_cndmask_b32 v8, v1, v8
	v_and_b32_e32 v3, 3, v0
	s_cmp_eq_u32 s3, 1
	global_load_b32 v1, v[8:9], off
	s_wait_loadcnt 0x1
	v_subrev_nc_u32_e32 v0, s12, v10
	s_delay_alu instid0(VALU_DEP_1) | instskip(SKIP_2) | instid1(VALU_DEP_2)
	v_add_nc_u32_e32 v0, v0, v3
	s_wait_loadcnt 0x0
	v_subrev_nc_u32_e32 v17, s12, v1
	v_mad_co_i64_i32 v[8:9], null, 0x48, v0, s[10:11]
	s_delay_alu instid0(VALU_DEP_2)
	v_cmp_lt_i32_e64 s2, v0, v17
	s_cbranch_scc1 .LBB10_17
; %bb.12:
	v_dual_mov_b32 v14, 0 :: v_dual_mov_b32 v19, 0
	v_dual_mov_b32 v18, 0 :: v_dual_mov_b32 v15, 0
	v_mov_b32_e32 v20, 0
	v_mov_b32_e32 v16, 0
	s_and_saveexec_b32 s3, s2
	s_cbranch_execz .LBB10_16
; %bb.13:
	v_dual_mov_b32 v14, 0 :: v_dual_mov_b32 v13, v9
	v_dual_mov_b32 v10, v0 :: v_dual_mov_b32 v19, 0
	;; [unrolled: 1-line block ×3, first 2 shown]
	v_mov_b32_e32 v18, 0
	v_mov_b32_e32 v20, 0
	v_mov_b32_e32 v16, 0
	s_mov_b32 s6, 0
.LBB10_14:                              ; =>This Inner Loop Header: Depth=1
	v_ashrrev_i32_e32 v11, 31, v10
	s_delay_alu instid0(VALU_DEP_1) | instskip(NEXT) | instid1(VALU_DEP_1)
	v_lshlrev_b64_e32 v[21:22], 2, v[10:11]
	v_add_co_u32 v21, vcc_lo, s8, v21
	s_wait_alu 0xfffd
	s_delay_alu instid0(VALU_DEP_2)
	v_add_co_ci_u32_e64 v22, null, s9, v22, vcc_lo
	global_load_b32 v1, v[21:22], off
	s_clause 0x2
	global_load_b128 v[21:24], v[12:13], off offset:48
	global_load_b128 v[25:28], v[12:13], off offset:16
	global_load_b128 v[29:32], v[12:13], off
	s_wait_loadcnt 0x3
	v_subrev_nc_u32_e32 v1, s12, v1
	s_delay_alu instid0(VALU_DEP_1) | instskip(NEXT) | instid1(VALU_DEP_1)
	v_lshl_add_u32 v33, v1, 1, v1
	v_ashrrev_i32_e32 v34, 31, v33
	s_delay_alu instid0(VALU_DEP_1) | instskip(SKIP_1) | instid1(VALU_DEP_1)
	v_lshlrev_b64_e32 v[33:34], 3, v[33:34]
	s_wait_kmcnt 0x0
	v_add_co_u32 v37, vcc_lo, s4, v33
	s_wait_alu 0xfffd
	s_delay_alu instid0(VALU_DEP_2)
	v_add_co_ci_u32_e64 v38, null, s5, v34, vcc_lo
	s_clause 0x1
	global_load_b128 v[33:36], v[37:38], off
	global_load_b64 v[41:42], v[37:38], off offset:16
	s_clause 0x1
	global_load_b128 v[37:40], v[12:13], off offset:32
	global_load_b64 v[43:44], v[12:13], off offset:64
	v_add_nc_u32_e32 v10, 4, v10
	v_add_co_u32 v12, vcc_lo, 0x120, v12
	s_wait_alu 0xfffd
	v_add_co_ci_u32_e64 v13, null, 0, v13, vcc_lo
	s_wait_loadcnt 0x3
	v_fmac_f32_e32 v20, v27, v33
	v_fmac_f32_e32 v15, v22, v33
	;; [unrolled: 1-line block ×5, first 2 shown]
	v_fma_f32 v11, -v28, v34, v20
	v_fmac_f32_e32 v15, v21, v34
	v_fmac_f32_e32 v14, v29, v34
	v_fma_f32 v1, -v30, v34, v18
	v_fma_f32 v18, -v22, v34, v19
	s_wait_loadcnt 0x1
	v_fmac_f32_e32 v11, v37, v35
	v_cmp_ge_i32_e32 vcc_lo, v10, v17
	v_fmac_f32_e32 v1, v31, v35
	s_delay_alu instid0(VALU_DEP_3)
	v_fma_f32 v11, -v38, v36, v11
	v_fmac_f32_e32 v14, v32, v35
	s_wait_alu 0xfffe
	s_or_b32 s6, vcc_lo, s6
	v_fma_f32 v1, -v32, v36, v1
	v_fmac_f32_e32 v11, v39, v41
	v_dual_fmac_f32 v15, v24, v35 :: v_dual_fmac_f32 v14, v31, v36
	v_fmac_f32_e32 v16, v28, v33
	s_delay_alu instid0(VALU_DEP_4) | instskip(NEXT) | instid1(VALU_DEP_4)
	v_fmac_f32_e32 v1, v25, v41
	v_fma_f32 v20, -v40, v42, v11
	s_delay_alu instid0(VALU_DEP_4)
	v_fmac_f32_e32 v15, v23, v36
	v_fmac_f32_e32 v18, v23, v35
	;; [unrolled: 1-line block ×4, first 2 shown]
	s_wait_loadcnt 0x0
	v_fmac_f32_e32 v15, v44, v41
	v_fma_f32 v19, -v24, v36, v18
	v_fmac_f32_e32 v16, v38, v35
	v_fma_f32 v18, -v26, v42, v1
	v_fmac_f32_e32 v14, v25, v42
	v_fmac_f32_e32 v15, v43, v42
	s_delay_alu instid0(VALU_DEP_4) | instskip(NEXT) | instid1(VALU_DEP_1)
	v_dual_fmac_f32 v19, v43, v41 :: v_dual_fmac_f32 v16, v37, v36
	v_fma_f32 v19, -v44, v42, v19
	s_delay_alu instid0(VALU_DEP_2) | instskip(NEXT) | instid1(VALU_DEP_1)
	v_fmac_f32_e32 v16, v40, v41
	v_fmac_f32_e32 v16, v39, v42
	s_wait_alu 0xfffe
	s_and_not1_b32 exec_lo, exec_lo, s6
	s_cbranch_execnz .LBB10_14
; %bb.15:
	s_or_b32 exec_lo, exec_lo, s6
.LBB10_16:
	s_wait_alu 0xfffe
	s_or_b32 exec_lo, exec_lo, s3
	s_cbranch_execz .LBB10_18
	s_branch .LBB10_23
.LBB10_17:
                                        ; implicit-def: $vgpr14
                                        ; implicit-def: $vgpr18
                                        ; implicit-def: $vgpr19
                                        ; implicit-def: $vgpr15
                                        ; implicit-def: $vgpr20
                                        ; implicit-def: $vgpr16
.LBB10_18:
	v_dual_mov_b32 v14, 0 :: v_dual_mov_b32 v19, 0
	v_dual_mov_b32 v18, 0 :: v_dual_mov_b32 v15, 0
	v_mov_b32_e32 v20, 0
	v_mov_b32_e32 v16, 0
	s_and_saveexec_b32 s3, s2
	s_cbranch_execz .LBB10_22
; %bb.19:
	v_dual_mov_b32 v14, 0 :: v_dual_mov_b32 v19, 0
	v_dual_mov_b32 v18, 0 :: v_dual_mov_b32 v15, 0
	v_mov_b32_e32 v20, 0
	v_mov_b32_e32 v16, 0
	s_mov_b32 s2, 0
.LBB10_20:                              ; =>This Inner Loop Header: Depth=1
	v_ashrrev_i32_e32 v1, 31, v0
	s_delay_alu instid0(VALU_DEP_1) | instskip(NEXT) | instid1(VALU_DEP_1)
	v_lshlrev_b64_e32 v[10:11], 2, v[0:1]
	v_add_co_u32 v10, vcc_lo, s8, v10
	s_wait_alu 0xfffd
	s_delay_alu instid0(VALU_DEP_2)
	v_add_co_ci_u32_e64 v11, null, s9, v11, vcc_lo
	global_load_b32 v1, v[10:11], off
	s_clause 0x1
	global_load_b128 v[10:13], v[8:9], off offset:16
	global_load_b128 v[21:24], v[8:9], off
	s_wait_loadcnt 0x2
	v_subrev_nc_u32_e32 v1, s12, v1
	s_delay_alu instid0(VALU_DEP_1) | instskip(NEXT) | instid1(VALU_DEP_1)
	v_lshl_add_u32 v25, v1, 1, v1
	v_ashrrev_i32_e32 v26, 31, v25
	s_delay_alu instid0(VALU_DEP_1) | instskip(SKIP_1) | instid1(VALU_DEP_1)
	v_lshlrev_b64_e32 v[25:26], 3, v[25:26]
	s_wait_kmcnt 0x0
	v_add_co_u32 v29, vcc_lo, s4, v25
	s_wait_alu 0xfffd
	s_delay_alu instid0(VALU_DEP_2)
	v_add_co_ci_u32_e64 v30, null, s5, v26, vcc_lo
	s_clause 0x1
	global_load_b128 v[25:28], v[29:30], off
	global_load_b64 v[37:38], v[29:30], off offset:16
	s_clause 0x2
	global_load_b128 v[29:32], v[8:9], off offset:32
	global_load_b128 v[33:36], v[8:9], off offset:48
	global_load_b64 v[39:40], v[8:9], off offset:64
	v_add_nc_u32_e32 v0, 4, v0
	v_add_co_u32 v8, vcc_lo, 0x120, v8
	s_wait_alu 0xfffd
	v_add_co_ci_u32_e64 v9, null, 0, v9, vcc_lo
	s_wait_loadcnt 0x4
	v_fmac_f32_e32 v15, v11, v25
	v_fmac_f32_e32 v18, v21, v25
	v_fmac_f32_e32 v19, v10, v25
	v_cmp_ge_i32_e32 vcc_lo, v0, v17
	s_delay_alu instid0(VALU_DEP_4) | instskip(NEXT) | instid1(VALU_DEP_4)
	v_fmac_f32_e32 v15, v10, v26
	v_fma_f32 v1, -v22, v26, v18
	v_fmac_f32_e32 v14, v22, v25
	v_fmac_f32_e32 v20, v23, v25
	v_fma_f32 v11, -v11, v26, v19
	v_fmac_f32_e32 v16, v24, v25
	s_delay_alu instid0(VALU_DEP_4)
	v_dual_fmac_f32 v1, v12, v27 :: v_dual_fmac_f32 v14, v21, v26
	s_wait_loadcnt 0x2
	v_fmac_f32_e32 v15, v32, v27
	v_fma_f32 v18, -v24, v26, v20
	v_fmac_f32_e32 v11, v31, v27
	v_fma_f32 v1, -v13, v28, v1
	v_fmac_f32_e32 v16, v23, v26
	v_dual_fmac_f32 v14, v13, v27 :: v_dual_fmac_f32 v15, v31, v28
	s_delay_alu instid0(VALU_DEP_4)
	v_fma_f32 v11, -v32, v28, v11
	v_fmac_f32_e32 v18, v29, v27
	s_wait_loadcnt 0x1
	v_dual_fmac_f32 v1, v33, v37 :: v_dual_fmac_f32 v16, v30, v27
	s_wait_loadcnt 0x0
	v_fmac_f32_e32 v15, v40, v37
	v_dual_fmac_f32 v14, v12, v28 :: v_dual_fmac_f32 v11, v39, v37
	v_fma_f32 v10, -v30, v28, v18
	s_delay_alu instid0(VALU_DEP_3) | instskip(NEXT) | instid1(VALU_DEP_3)
	v_dual_fmac_f32 v16, v29, v28 :: v_dual_fmac_f32 v15, v39, v38
	v_fmac_f32_e32 v14, v34, v37
	v_fma_f32 v18, -v34, v38, v1
	s_delay_alu instid0(VALU_DEP_4) | instskip(NEXT) | instid1(VALU_DEP_4)
	v_fmac_f32_e32 v10, v35, v37
	v_fmac_f32_e32 v16, v36, v37
	v_fma_f32 v19, -v40, v38, v11
	v_fmac_f32_e32 v14, v33, v38
	s_wait_alu 0xfffe
	s_or_b32 s2, vcc_lo, s2
	v_fma_f32 v20, -v36, v38, v10
	v_fmac_f32_e32 v16, v35, v38
	s_wait_alu 0xfffe
	s_and_not1_b32 exec_lo, exec_lo, s2
	s_cbranch_execnz .LBB10_20
; %bb.21:
	s_or_b32 exec_lo, exec_lo, s2
.LBB10_22:
	s_wait_alu 0xfffe
	s_or_b32 exec_lo, exec_lo, s3
.LBB10_23:
	v_mbcnt_lo_u32_b32 v0, -1, 0
	s_delay_alu instid0(VALU_DEP_1) | instskip(NEXT) | instid1(VALU_DEP_1)
	v_xor_b32_e32 v1, 2, v0
	v_cmp_gt_i32_e32 vcc_lo, 32, v1
	s_wait_alu 0xfffd
	v_cndmask_b32_e32 v1, v0, v1, vcc_lo
	s_delay_alu instid0(VALU_DEP_1)
	v_lshlrev_b32_e32 v1, 2, v1
	ds_bpermute_b32 v8, v1, v18
	ds_bpermute_b32 v9, v1, v14
	;; [unrolled: 1-line block ×6, first 2 shown]
	v_xor_b32_e32 v1, 1, v0
	s_delay_alu instid0(VALU_DEP_1) | instskip(SKIP_3) | instid1(VALU_DEP_2)
	v_cmp_gt_i32_e32 vcc_lo, 32, v1
	s_wait_alu 0xfffd
	v_cndmask_b32_e32 v0, v0, v1, vcc_lo
	v_cmp_eq_u32_e32 vcc_lo, 3, v3
	v_lshlrev_b32_e32 v17, 2, v0
	s_wait_dscnt 0x5
	v_add_f32_e32 v0, v18, v8
	s_wait_dscnt 0x3
	v_dual_add_f32 v1, v14, v9 :: v_dual_add_f32 v8, v20, v10
	s_wait_dscnt 0x1
	v_dual_add_f32 v9, v16, v11 :: v_dual_add_f32 v10, v19, v12
	s_wait_dscnt 0x0
	v_add_f32_e32 v11, v15, v13
	ds_bpermute_b32 v12, v17, v0
	ds_bpermute_b32 v13, v17, v1
	;; [unrolled: 1-line block ×6, first 2 shown]
	s_and_b32 exec_lo, exec_lo, vcc_lo
	s_cbranch_execz .LBB10_8
; %bb.24:
	s_wait_dscnt 0x4
	v_dual_add_f32 v12, v0, v12 :: v_dual_add_f32 v1, v1, v13
	s_load_b64 s[2:3], s[0:1], 0x50
	s_wait_dscnt 0x1
	v_dual_add_f32 v13, v8, v14 :: v_dual_add_f32 v14, v10, v16
	v_lshl_add_u32 v10, v2, 1, v2
	v_mul_f32_e64 v0, v1, -v7
	v_add_f32_e32 v3, v9, v15
	s_wait_dscnt 0x0
	v_add_f32_e32 v9, v11, v17
	v_mul_f32_e32 v1, v6, v1
	v_cmp_eq_f32_e32 vcc_lo, 0, v4
	v_fmac_f32_e32 v0, v6, v12
	v_mul_f32_e64 v2, v3, -v7
	v_mul_f32_e64 v8, v9, -v7
	v_mul_f32_e32 v3, v6, v3
	v_cmp_eq_f32_e64 s0, 0, v5
	s_delay_alu instid0(VALU_DEP_4) | instskip(NEXT) | instid1(VALU_DEP_4)
	v_dual_fmac_f32 v1, v7, v12 :: v_dual_fmac_f32 v2, v6, v13
	v_fmac_f32_e32 v8, v6, v14
	v_mul_f32_e32 v9, v6, v9
	v_ashrrev_i32_e32 v11, 31, v10
	v_fmac_f32_e32 v3, v7, v13
	s_and_b32 s0, vcc_lo, s0
	s_delay_alu instid0(VALU_DEP_3)
	v_fmac_f32_e32 v9, v7, v14
	s_wait_alu 0xfffe
	s_and_saveexec_b32 s1, s0
	s_wait_alu 0xfffe
	s_xor_b32 s0, exec_lo, s1
	s_cbranch_execz .LBB10_26
; %bb.25:
	v_lshlrev_b64_e32 v[4:5], 3, v[10:11]
                                        ; implicit-def: $vgpr10
	s_wait_kmcnt 0x0
	s_delay_alu instid0(VALU_DEP_1) | instskip(SKIP_1) | instid1(VALU_DEP_2)
	v_add_co_u32 v4, vcc_lo, s2, v4
	s_wait_alu 0xfffd
	v_add_co_ci_u32_e64 v5, null, s3, v5, vcc_lo
	s_clause 0x1
	global_store_b128 v[4:5], v[0:3], off
	global_store_b64 v[4:5], v[8:9], off offset:16
                                        ; implicit-def: $vgpr4_vgpr5
                                        ; implicit-def: $vgpr0
                                        ; implicit-def: $vgpr8
.LBB10_26:
	s_wait_alu 0xfffe
	s_and_not1_saveexec_b32 s0, s0
	s_cbranch_execz .LBB10_8
; %bb.27:
	v_lshlrev_b64_e32 v[6:7], 3, v[10:11]
	s_wait_kmcnt 0x0
	s_delay_alu instid0(VALU_DEP_1) | instskip(SKIP_1) | instid1(VALU_DEP_2)
	v_add_co_u32 v6, vcc_lo, s2, v6
	s_wait_alu 0xfffd
	v_add_co_ci_u32_e64 v7, null, s3, v7, vcc_lo
	s_clause 0x1
	global_load_b128 v[10:13], v[6:7], off
	global_load_b64 v[14:15], v[6:7], off offset:16
	s_wait_loadcnt 0x1
	v_dual_fmac_f32 v0, v4, v10 :: v_dual_fmac_f32 v3, v5, v12
	v_dual_fmac_f32 v1, v5, v10 :: v_dual_fmac_f32 v2, v4, v12
	s_wait_loadcnt 0x0
	v_fmac_f32_e32 v8, v4, v14
	v_fmac_f32_e32 v9, v5, v14
	v_fma_f32 v0, -v5, v11, v0
	v_fmac_f32_e32 v1, v4, v11
	v_fma_f32 v2, -v5, v13, v2
	;; [unrolled: 2-line block ×3, first 2 shown]
	v_fmac_f32_e32 v9, v4, v15
	s_clause 0x1
	global_store_b128 v[6:7], v[0:3], off
	global_store_b64 v[6:7], v[8:9], off offset:16
	s_endpgm
	.section	.rodata,"a",@progbits
	.p2align	6, 0x0
	.amdhsa_kernel _ZN9rocsparseL18bsrxmvn_3x3_kernelILj256ELj4E21rocsparse_complex_numIfEiiS2_S2_S2_EEvT3_20rocsparse_direction_NS_24const_host_device_scalarIT1_EES3_PKS3_PKT2_SC_S9_PKT4_PKT5_S7_PT6_21rocsparse_index_base_b
		.amdhsa_group_segment_fixed_size 0
		.amdhsa_private_segment_fixed_size 0
		.amdhsa_kernarg_size 96
		.amdhsa_user_sgpr_count 2
		.amdhsa_user_sgpr_dispatch_ptr 0
		.amdhsa_user_sgpr_queue_ptr 0
		.amdhsa_user_sgpr_kernarg_segment_ptr 1
		.amdhsa_user_sgpr_dispatch_id 0
		.amdhsa_user_sgpr_private_segment_size 0
		.amdhsa_wavefront_size32 1
		.amdhsa_uses_dynamic_stack 0
		.amdhsa_enable_private_segment 0
		.amdhsa_system_sgpr_workgroup_id_x 1
		.amdhsa_system_sgpr_workgroup_id_y 0
		.amdhsa_system_sgpr_workgroup_id_z 0
		.amdhsa_system_sgpr_workgroup_info 0
		.amdhsa_system_vgpr_workitem_id 0
		.amdhsa_next_free_vgpr 45
		.amdhsa_next_free_sgpr 14
		.amdhsa_reserve_vcc 1
		.amdhsa_float_round_mode_32 0
		.amdhsa_float_round_mode_16_64 0
		.amdhsa_float_denorm_mode_32 3
		.amdhsa_float_denorm_mode_16_64 3
		.amdhsa_fp16_overflow 0
		.amdhsa_workgroup_processor_mode 1
		.amdhsa_memory_ordered 1
		.amdhsa_forward_progress 1
		.amdhsa_inst_pref_size 19
		.amdhsa_round_robin_scheduling 0
		.amdhsa_exception_fp_ieee_invalid_op 0
		.amdhsa_exception_fp_denorm_src 0
		.amdhsa_exception_fp_ieee_div_zero 0
		.amdhsa_exception_fp_ieee_overflow 0
		.amdhsa_exception_fp_ieee_underflow 0
		.amdhsa_exception_fp_ieee_inexact 0
		.amdhsa_exception_int_div_zero 0
	.end_amdhsa_kernel
	.section	.text._ZN9rocsparseL18bsrxmvn_3x3_kernelILj256ELj4E21rocsparse_complex_numIfEiiS2_S2_S2_EEvT3_20rocsparse_direction_NS_24const_host_device_scalarIT1_EES3_PKS3_PKT2_SC_S9_PKT4_PKT5_S7_PT6_21rocsparse_index_base_b,"axG",@progbits,_ZN9rocsparseL18bsrxmvn_3x3_kernelILj256ELj4E21rocsparse_complex_numIfEiiS2_S2_S2_EEvT3_20rocsparse_direction_NS_24const_host_device_scalarIT1_EES3_PKS3_PKT2_SC_S9_PKT4_PKT5_S7_PT6_21rocsparse_index_base_b,comdat
.Lfunc_end10:
	.size	_ZN9rocsparseL18bsrxmvn_3x3_kernelILj256ELj4E21rocsparse_complex_numIfEiiS2_S2_S2_EEvT3_20rocsparse_direction_NS_24const_host_device_scalarIT1_EES3_PKS3_PKT2_SC_S9_PKT4_PKT5_S7_PT6_21rocsparse_index_base_b, .Lfunc_end10-_ZN9rocsparseL18bsrxmvn_3x3_kernelILj256ELj4E21rocsparse_complex_numIfEiiS2_S2_S2_EEvT3_20rocsparse_direction_NS_24const_host_device_scalarIT1_EES3_PKS3_PKT2_SC_S9_PKT4_PKT5_S7_PT6_21rocsparse_index_base_b
                                        ; -- End function
	.set _ZN9rocsparseL18bsrxmvn_3x3_kernelILj256ELj4E21rocsparse_complex_numIfEiiS2_S2_S2_EEvT3_20rocsparse_direction_NS_24const_host_device_scalarIT1_EES3_PKS3_PKT2_SC_S9_PKT4_PKT5_S7_PT6_21rocsparse_index_base_b.num_vgpr, 45
	.set _ZN9rocsparseL18bsrxmvn_3x3_kernelILj256ELj4E21rocsparse_complex_numIfEiiS2_S2_S2_EEvT3_20rocsparse_direction_NS_24const_host_device_scalarIT1_EES3_PKS3_PKT2_SC_S9_PKT4_PKT5_S7_PT6_21rocsparse_index_base_b.num_agpr, 0
	.set _ZN9rocsparseL18bsrxmvn_3x3_kernelILj256ELj4E21rocsparse_complex_numIfEiiS2_S2_S2_EEvT3_20rocsparse_direction_NS_24const_host_device_scalarIT1_EES3_PKS3_PKT2_SC_S9_PKT4_PKT5_S7_PT6_21rocsparse_index_base_b.numbered_sgpr, 14
	.set _ZN9rocsparseL18bsrxmvn_3x3_kernelILj256ELj4E21rocsparse_complex_numIfEiiS2_S2_S2_EEvT3_20rocsparse_direction_NS_24const_host_device_scalarIT1_EES3_PKS3_PKT2_SC_S9_PKT4_PKT5_S7_PT6_21rocsparse_index_base_b.num_named_barrier, 0
	.set _ZN9rocsparseL18bsrxmvn_3x3_kernelILj256ELj4E21rocsparse_complex_numIfEiiS2_S2_S2_EEvT3_20rocsparse_direction_NS_24const_host_device_scalarIT1_EES3_PKS3_PKT2_SC_S9_PKT4_PKT5_S7_PT6_21rocsparse_index_base_b.private_seg_size, 0
	.set _ZN9rocsparseL18bsrxmvn_3x3_kernelILj256ELj4E21rocsparse_complex_numIfEiiS2_S2_S2_EEvT3_20rocsparse_direction_NS_24const_host_device_scalarIT1_EES3_PKS3_PKT2_SC_S9_PKT4_PKT5_S7_PT6_21rocsparse_index_base_b.uses_vcc, 1
	.set _ZN9rocsparseL18bsrxmvn_3x3_kernelILj256ELj4E21rocsparse_complex_numIfEiiS2_S2_S2_EEvT3_20rocsparse_direction_NS_24const_host_device_scalarIT1_EES3_PKS3_PKT2_SC_S9_PKT4_PKT5_S7_PT6_21rocsparse_index_base_b.uses_flat_scratch, 0
	.set _ZN9rocsparseL18bsrxmvn_3x3_kernelILj256ELj4E21rocsparse_complex_numIfEiiS2_S2_S2_EEvT3_20rocsparse_direction_NS_24const_host_device_scalarIT1_EES3_PKS3_PKT2_SC_S9_PKT4_PKT5_S7_PT6_21rocsparse_index_base_b.has_dyn_sized_stack, 0
	.set _ZN9rocsparseL18bsrxmvn_3x3_kernelILj256ELj4E21rocsparse_complex_numIfEiiS2_S2_S2_EEvT3_20rocsparse_direction_NS_24const_host_device_scalarIT1_EES3_PKS3_PKT2_SC_S9_PKT4_PKT5_S7_PT6_21rocsparse_index_base_b.has_recursion, 0
	.set _ZN9rocsparseL18bsrxmvn_3x3_kernelILj256ELj4E21rocsparse_complex_numIfEiiS2_S2_S2_EEvT3_20rocsparse_direction_NS_24const_host_device_scalarIT1_EES3_PKS3_PKT2_SC_S9_PKT4_PKT5_S7_PT6_21rocsparse_index_base_b.has_indirect_call, 0
	.section	.AMDGPU.csdata,"",@progbits
; Kernel info:
; codeLenInByte = 2316
; TotalNumSgprs: 16
; NumVgprs: 45
; ScratchSize: 0
; MemoryBound: 0
; FloatMode: 240
; IeeeMode: 1
; LDSByteSize: 0 bytes/workgroup (compile time only)
; SGPRBlocks: 0
; VGPRBlocks: 5
; NumSGPRsForWavesPerEU: 16
; NumVGPRsForWavesPerEU: 45
; Occupancy: 16
; WaveLimiterHint : 1
; COMPUTE_PGM_RSRC2:SCRATCH_EN: 0
; COMPUTE_PGM_RSRC2:USER_SGPR: 2
; COMPUTE_PGM_RSRC2:TRAP_HANDLER: 0
; COMPUTE_PGM_RSRC2:TGID_X_EN: 1
; COMPUTE_PGM_RSRC2:TGID_Y_EN: 0
; COMPUTE_PGM_RSRC2:TGID_Z_EN: 0
; COMPUTE_PGM_RSRC2:TIDIG_COMP_CNT: 0
	.section	.text._ZN9rocsparseL18bsrxmvn_3x3_kernelILj256ELj8E21rocsparse_complex_numIfEiiS2_S2_S2_EEvT3_20rocsparse_direction_NS_24const_host_device_scalarIT1_EES3_PKS3_PKT2_SC_S9_PKT4_PKT5_S7_PT6_21rocsparse_index_base_b,"axG",@progbits,_ZN9rocsparseL18bsrxmvn_3x3_kernelILj256ELj8E21rocsparse_complex_numIfEiiS2_S2_S2_EEvT3_20rocsparse_direction_NS_24const_host_device_scalarIT1_EES3_PKS3_PKT2_SC_S9_PKT4_PKT5_S7_PT6_21rocsparse_index_base_b,comdat
	.globl	_ZN9rocsparseL18bsrxmvn_3x3_kernelILj256ELj8E21rocsparse_complex_numIfEiiS2_S2_S2_EEvT3_20rocsparse_direction_NS_24const_host_device_scalarIT1_EES3_PKS3_PKT2_SC_S9_PKT4_PKT5_S7_PT6_21rocsparse_index_base_b ; -- Begin function _ZN9rocsparseL18bsrxmvn_3x3_kernelILj256ELj8E21rocsparse_complex_numIfEiiS2_S2_S2_EEvT3_20rocsparse_direction_NS_24const_host_device_scalarIT1_EES3_PKS3_PKT2_SC_S9_PKT4_PKT5_S7_PT6_21rocsparse_index_base_b
	.p2align	8
	.type	_ZN9rocsparseL18bsrxmvn_3x3_kernelILj256ELj8E21rocsparse_complex_numIfEiiS2_S2_S2_EEvT3_20rocsparse_direction_NS_24const_host_device_scalarIT1_EES3_PKS3_PKT2_SC_S9_PKT4_PKT5_S7_PT6_21rocsparse_index_base_b,@function
_ZN9rocsparseL18bsrxmvn_3x3_kernelILj256ELj8E21rocsparse_complex_numIfEiiS2_S2_S2_EEvT3_20rocsparse_direction_NS_24const_host_device_scalarIT1_EES3_PKS3_PKT2_SC_S9_PKT4_PKT5_S7_PT6_21rocsparse_index_base_b: ; @_ZN9rocsparseL18bsrxmvn_3x3_kernelILj256ELj8E21rocsparse_complex_numIfEiiS2_S2_S2_EEvT3_20rocsparse_direction_NS_24const_host_device_scalarIT1_EES3_PKS3_PKT2_SC_S9_PKT4_PKT5_S7_PT6_21rocsparse_index_base_b
; %bb.0:
	s_clause 0x2
	s_load_b64 s[12:13], s[0:1], 0x58
	s_load_b64 s[2:3], s[0:1], 0x8
	;; [unrolled: 1-line block ×3, first 2 shown]
	s_add_nc_u64 s[6:7], s[0:1], 8
	s_wait_kmcnt 0x0
	s_bitcmp1_b32 s13, 0
	s_cselect_b32 s2, s6, s2
	s_cselect_b32 s3, s7, s3
	s_delay_alu instid0(SALU_CYCLE_1)
	v_dual_mov_b32 v1, s2 :: v_dual_mov_b32 v2, s3
	s_add_nc_u64 s[2:3], s[0:1], 0x48
	s_wait_alu 0xfffe
	s_cselect_b32 s2, s2, s4
	s_cselect_b32 s3, s3, s5
	flat_load_b64 v[6:7], v[1:2]
	s_wait_alu 0xfffe
	v_dual_mov_b32 v1, s2 :: v_dual_mov_b32 v2, s3
	flat_load_b64 v[4:5], v[1:2]
	s_wait_loadcnt_dscnt 0x101
	v_cmp_eq_f32_e32 vcc_lo, 0, v6
	v_cmp_eq_f32_e64 s2, 0, v7
	s_and_b32 s4, vcc_lo, s2
	s_mov_b32 s2, -1
	s_and_saveexec_b32 s3, s4
	s_cbranch_execz .LBB11_2
; %bb.1:
	s_wait_loadcnt_dscnt 0x0
	v_cmp_neq_f32_e32 vcc_lo, 1.0, v4
	v_cmp_neq_f32_e64 s2, 0, v5
	s_wait_alu 0xfffe
	s_or_b32 s2, vcc_lo, s2
	s_wait_alu 0xfffe
	s_or_not1_b32 s2, s2, exec_lo
.LBB11_2:
	s_wait_alu 0xfffe
	s_or_b32 exec_lo, exec_lo, s3
	s_and_saveexec_b32 s3, s2
	s_cbranch_execz .LBB11_8
; %bb.3:
	s_clause 0x1
	s_load_b64 s[4:5], s[0:1], 0x18
	s_load_b64 s[2:3], s[0:1], 0x0
	v_lshrrev_b32_e32 v1, 3, v0
	s_delay_alu instid0(VALU_DEP_1)
	v_lshl_or_b32 v2, ttmp9, 5, v1
	s_wait_kmcnt 0x0
	s_cmp_lg_u64 s[4:5], 0
	s_cbranch_scc0 .LBB11_9
; %bb.4:
	s_load_b32 s6, s[0:1], 0x10
	s_mov_b32 s7, 0
                                        ; implicit-def: $vgpr1
	s_wait_kmcnt 0x0
	v_cmp_gt_i32_e32 vcc_lo, s6, v2
	s_mov_b32 s6, 0
	s_and_saveexec_b32 s8, vcc_lo
	s_delay_alu instid0(SALU_CYCLE_1)
	s_xor_b32 s8, exec_lo, s8
	s_cbranch_execz .LBB11_6
; %bb.5:
	v_ashrrev_i32_e32 v3, 31, v2
	s_mov_b32 s6, exec_lo
	s_delay_alu instid0(VALU_DEP_1) | instskip(NEXT) | instid1(VALU_DEP_1)
	v_lshlrev_b64_e32 v[8:9], 2, v[2:3]
	v_add_co_u32 v8, vcc_lo, s4, v8
	s_delay_alu instid0(VALU_DEP_1)
	v_add_co_ci_u32_e64 v9, null, s5, v9, vcc_lo
	global_load_b32 v1, v[8:9], off
	s_wait_loadcnt 0x0
	v_subrev_nc_u32_e32 v1, s12, v1
.LBB11_6:
	s_or_b32 exec_lo, exec_lo, s8
	s_delay_alu instid0(SALU_CYCLE_1)
	s_and_b32 vcc_lo, exec_lo, s7
	s_wait_alu 0xfffe
	s_cbranch_vccz .LBB11_10
.LBB11_7:
	v_cmp_gt_i32_e32 vcc_lo, s2, v2
	s_and_not1_b32 s2, s6, exec_lo
	s_and_b32 s4, vcc_lo, exec_lo
	s_wait_alu 0xfffe
	s_or_b32 s6, s2, s4
	s_wait_alu 0xfffe
	s_and_b32 exec_lo, exec_lo, s6
	s_cbranch_execnz .LBB11_11
.LBB11_8:
	s_endpgm
.LBB11_9:
	s_mov_b32 s6, 0
                                        ; implicit-def: $vgpr1
	s_cbranch_execnz .LBB11_7
.LBB11_10:
	v_mov_b32_e32 v2, v1
	s_and_b32 exec_lo, exec_lo, s6
	s_cbranch_execz .LBB11_8
.LBB11_11:
	s_load_b256 s[4:11], s[0:1], 0x20
	s_delay_alu instid0(VALU_DEP_1) | instskip(NEXT) | instid1(VALU_DEP_1)
	v_ashrrev_i32_e32 v3, 31, v2
	v_lshlrev_b64_e32 v[8:9], 2, v[2:3]
	s_wait_kmcnt 0x0
	s_delay_alu instid0(VALU_DEP_1) | instskip(SKIP_1) | instid1(VALU_DEP_2)
	v_add_co_u32 v10, vcc_lo, s4, v8
	s_wait_alu 0xfffd
	v_add_co_ci_u32_e64 v11, null, s5, v9, vcc_lo
	v_add_co_u32 v1, vcc_lo, s6, v8
	s_wait_alu 0xfffd
	v_add_co_ci_u32_e64 v3, null, s7, v9, vcc_lo
	;; [unrolled: 3-line block ×3, first 2 shown]
	s_cmp_eq_u64 s[6:7], 0
	global_load_b32 v10, v[10:11], off
	s_cselect_b32 vcc_lo, -1, 0
	s_load_b64 s[4:5], s[0:1], 0x40
	v_dual_cndmask_b32 v9, v3, v9 :: v_dual_cndmask_b32 v8, v1, v8
	v_and_b32_e32 v3, 7, v0
	s_cmp_eq_u32 s3, 1
	global_load_b32 v1, v[8:9], off
	s_wait_loadcnt 0x1
	v_subrev_nc_u32_e32 v0, s12, v10
	s_delay_alu instid0(VALU_DEP_1) | instskip(SKIP_2) | instid1(VALU_DEP_2)
	v_add_nc_u32_e32 v0, v0, v3
	s_wait_loadcnt 0x0
	v_subrev_nc_u32_e32 v17, s12, v1
	v_mad_co_i64_i32 v[8:9], null, 0x48, v0, s[10:11]
	s_delay_alu instid0(VALU_DEP_2)
	v_cmp_lt_i32_e64 s2, v0, v17
	s_cbranch_scc1 .LBB11_17
; %bb.12:
	v_dual_mov_b32 v14, 0 :: v_dual_mov_b32 v19, 0
	v_dual_mov_b32 v18, 0 :: v_dual_mov_b32 v15, 0
	v_mov_b32_e32 v20, 0
	v_mov_b32_e32 v16, 0
	s_and_saveexec_b32 s3, s2
	s_cbranch_execz .LBB11_16
; %bb.13:
	v_dual_mov_b32 v14, 0 :: v_dual_mov_b32 v13, v9
	v_dual_mov_b32 v10, v0 :: v_dual_mov_b32 v19, 0
	;; [unrolled: 1-line block ×3, first 2 shown]
	v_mov_b32_e32 v18, 0
	v_mov_b32_e32 v20, 0
	v_mov_b32_e32 v16, 0
	s_mov_b32 s6, 0
.LBB11_14:                              ; =>This Inner Loop Header: Depth=1
	v_ashrrev_i32_e32 v11, 31, v10
	s_delay_alu instid0(VALU_DEP_1) | instskip(NEXT) | instid1(VALU_DEP_1)
	v_lshlrev_b64_e32 v[21:22], 2, v[10:11]
	v_add_co_u32 v21, vcc_lo, s8, v21
	s_wait_alu 0xfffd
	s_delay_alu instid0(VALU_DEP_2)
	v_add_co_ci_u32_e64 v22, null, s9, v22, vcc_lo
	global_load_b32 v1, v[21:22], off
	s_clause 0x2
	global_load_b128 v[21:24], v[12:13], off offset:48
	global_load_b128 v[25:28], v[12:13], off offset:16
	global_load_b128 v[29:32], v[12:13], off
	s_wait_loadcnt 0x3
	v_subrev_nc_u32_e32 v1, s12, v1
	s_delay_alu instid0(VALU_DEP_1) | instskip(NEXT) | instid1(VALU_DEP_1)
	v_lshl_add_u32 v33, v1, 1, v1
	v_ashrrev_i32_e32 v34, 31, v33
	s_delay_alu instid0(VALU_DEP_1) | instskip(SKIP_1) | instid1(VALU_DEP_1)
	v_lshlrev_b64_e32 v[33:34], 3, v[33:34]
	s_wait_kmcnt 0x0
	v_add_co_u32 v37, vcc_lo, s4, v33
	s_wait_alu 0xfffd
	s_delay_alu instid0(VALU_DEP_2)
	v_add_co_ci_u32_e64 v38, null, s5, v34, vcc_lo
	s_clause 0x1
	global_load_b128 v[33:36], v[37:38], off
	global_load_b64 v[41:42], v[37:38], off offset:16
	s_clause 0x1
	global_load_b128 v[37:40], v[12:13], off offset:32
	global_load_b64 v[43:44], v[12:13], off offset:64
	v_add_nc_u32_e32 v10, 8, v10
	v_add_co_u32 v12, vcc_lo, 0x240, v12
	s_wait_alu 0xfffd
	v_add_co_ci_u32_e64 v13, null, 0, v13, vcc_lo
	s_wait_loadcnt 0x3
	v_fmac_f32_e32 v20, v27, v33
	v_fmac_f32_e32 v15, v22, v33
	;; [unrolled: 1-line block ×5, first 2 shown]
	v_fma_f32 v11, -v28, v34, v20
	v_fmac_f32_e32 v15, v21, v34
	v_fmac_f32_e32 v14, v29, v34
	v_fma_f32 v1, -v30, v34, v18
	v_fma_f32 v18, -v22, v34, v19
	s_wait_loadcnt 0x1
	v_fmac_f32_e32 v11, v37, v35
	v_cmp_ge_i32_e32 vcc_lo, v10, v17
	v_fmac_f32_e32 v1, v31, v35
	s_delay_alu instid0(VALU_DEP_3)
	v_fma_f32 v11, -v38, v36, v11
	v_fmac_f32_e32 v14, v32, v35
	s_wait_alu 0xfffe
	s_or_b32 s6, vcc_lo, s6
	v_fma_f32 v1, -v32, v36, v1
	v_fmac_f32_e32 v11, v39, v41
	v_dual_fmac_f32 v15, v24, v35 :: v_dual_fmac_f32 v14, v31, v36
	v_fmac_f32_e32 v16, v28, v33
	s_delay_alu instid0(VALU_DEP_4) | instskip(NEXT) | instid1(VALU_DEP_4)
	v_fmac_f32_e32 v1, v25, v41
	v_fma_f32 v20, -v40, v42, v11
	s_delay_alu instid0(VALU_DEP_4)
	v_fmac_f32_e32 v15, v23, v36
	v_fmac_f32_e32 v18, v23, v35
	;; [unrolled: 1-line block ×4, first 2 shown]
	s_wait_loadcnt 0x0
	v_fmac_f32_e32 v15, v44, v41
	v_fma_f32 v19, -v24, v36, v18
	v_fmac_f32_e32 v16, v38, v35
	v_fma_f32 v18, -v26, v42, v1
	v_fmac_f32_e32 v14, v25, v42
	v_fmac_f32_e32 v15, v43, v42
	s_delay_alu instid0(VALU_DEP_4) | instskip(NEXT) | instid1(VALU_DEP_1)
	v_dual_fmac_f32 v19, v43, v41 :: v_dual_fmac_f32 v16, v37, v36
	v_fma_f32 v19, -v44, v42, v19
	s_delay_alu instid0(VALU_DEP_2) | instskip(NEXT) | instid1(VALU_DEP_1)
	v_fmac_f32_e32 v16, v40, v41
	v_fmac_f32_e32 v16, v39, v42
	s_wait_alu 0xfffe
	s_and_not1_b32 exec_lo, exec_lo, s6
	s_cbranch_execnz .LBB11_14
; %bb.15:
	s_or_b32 exec_lo, exec_lo, s6
.LBB11_16:
	s_wait_alu 0xfffe
	s_or_b32 exec_lo, exec_lo, s3
	s_cbranch_execz .LBB11_18
	s_branch .LBB11_23
.LBB11_17:
                                        ; implicit-def: $vgpr14
                                        ; implicit-def: $vgpr18
                                        ; implicit-def: $vgpr19
                                        ; implicit-def: $vgpr15
                                        ; implicit-def: $vgpr20
                                        ; implicit-def: $vgpr16
.LBB11_18:
	v_dual_mov_b32 v14, 0 :: v_dual_mov_b32 v19, 0
	v_dual_mov_b32 v18, 0 :: v_dual_mov_b32 v15, 0
	v_mov_b32_e32 v20, 0
	v_mov_b32_e32 v16, 0
	s_and_saveexec_b32 s3, s2
	s_cbranch_execz .LBB11_22
; %bb.19:
	v_dual_mov_b32 v14, 0 :: v_dual_mov_b32 v19, 0
	v_dual_mov_b32 v18, 0 :: v_dual_mov_b32 v15, 0
	v_mov_b32_e32 v20, 0
	v_mov_b32_e32 v16, 0
	s_mov_b32 s2, 0
.LBB11_20:                              ; =>This Inner Loop Header: Depth=1
	v_ashrrev_i32_e32 v1, 31, v0
	s_delay_alu instid0(VALU_DEP_1) | instskip(NEXT) | instid1(VALU_DEP_1)
	v_lshlrev_b64_e32 v[10:11], 2, v[0:1]
	v_add_co_u32 v10, vcc_lo, s8, v10
	s_wait_alu 0xfffd
	s_delay_alu instid0(VALU_DEP_2)
	v_add_co_ci_u32_e64 v11, null, s9, v11, vcc_lo
	global_load_b32 v1, v[10:11], off
	s_clause 0x1
	global_load_b128 v[10:13], v[8:9], off offset:16
	global_load_b128 v[21:24], v[8:9], off
	s_wait_loadcnt 0x2
	v_subrev_nc_u32_e32 v1, s12, v1
	s_delay_alu instid0(VALU_DEP_1) | instskip(NEXT) | instid1(VALU_DEP_1)
	v_lshl_add_u32 v25, v1, 1, v1
	v_ashrrev_i32_e32 v26, 31, v25
	s_delay_alu instid0(VALU_DEP_1) | instskip(SKIP_1) | instid1(VALU_DEP_1)
	v_lshlrev_b64_e32 v[25:26], 3, v[25:26]
	s_wait_kmcnt 0x0
	v_add_co_u32 v29, vcc_lo, s4, v25
	s_wait_alu 0xfffd
	s_delay_alu instid0(VALU_DEP_2)
	v_add_co_ci_u32_e64 v30, null, s5, v26, vcc_lo
	s_clause 0x1
	global_load_b128 v[25:28], v[29:30], off
	global_load_b64 v[37:38], v[29:30], off offset:16
	s_clause 0x2
	global_load_b128 v[29:32], v[8:9], off offset:32
	global_load_b128 v[33:36], v[8:9], off offset:48
	global_load_b64 v[39:40], v[8:9], off offset:64
	v_add_nc_u32_e32 v0, 8, v0
	v_add_co_u32 v8, vcc_lo, 0x240, v8
	s_wait_alu 0xfffd
	v_add_co_ci_u32_e64 v9, null, 0, v9, vcc_lo
	s_wait_loadcnt 0x4
	v_fmac_f32_e32 v15, v11, v25
	v_fmac_f32_e32 v18, v21, v25
	;; [unrolled: 1-line block ×3, first 2 shown]
	v_cmp_ge_i32_e32 vcc_lo, v0, v17
	s_delay_alu instid0(VALU_DEP_4) | instskip(NEXT) | instid1(VALU_DEP_4)
	v_fmac_f32_e32 v15, v10, v26
	v_fma_f32 v1, -v22, v26, v18
	v_fmac_f32_e32 v14, v22, v25
	v_fmac_f32_e32 v20, v23, v25
	v_fma_f32 v11, -v11, v26, v19
	v_fmac_f32_e32 v16, v24, v25
	s_delay_alu instid0(VALU_DEP_4)
	v_dual_fmac_f32 v1, v12, v27 :: v_dual_fmac_f32 v14, v21, v26
	s_wait_loadcnt 0x2
	v_fmac_f32_e32 v15, v32, v27
	v_fma_f32 v18, -v24, v26, v20
	v_fmac_f32_e32 v11, v31, v27
	v_fma_f32 v1, -v13, v28, v1
	v_fmac_f32_e32 v16, v23, v26
	v_dual_fmac_f32 v14, v13, v27 :: v_dual_fmac_f32 v15, v31, v28
	s_delay_alu instid0(VALU_DEP_4)
	v_fma_f32 v11, -v32, v28, v11
	v_fmac_f32_e32 v18, v29, v27
	s_wait_loadcnt 0x1
	v_dual_fmac_f32 v1, v33, v37 :: v_dual_fmac_f32 v16, v30, v27
	s_wait_loadcnt 0x0
	v_fmac_f32_e32 v15, v40, v37
	v_dual_fmac_f32 v14, v12, v28 :: v_dual_fmac_f32 v11, v39, v37
	v_fma_f32 v10, -v30, v28, v18
	s_delay_alu instid0(VALU_DEP_3) | instskip(NEXT) | instid1(VALU_DEP_3)
	v_dual_fmac_f32 v16, v29, v28 :: v_dual_fmac_f32 v15, v39, v38
	v_fmac_f32_e32 v14, v34, v37
	v_fma_f32 v18, -v34, v38, v1
	s_delay_alu instid0(VALU_DEP_4) | instskip(NEXT) | instid1(VALU_DEP_4)
	v_fmac_f32_e32 v10, v35, v37
	v_fmac_f32_e32 v16, v36, v37
	v_fma_f32 v19, -v40, v38, v11
	v_fmac_f32_e32 v14, v33, v38
	s_wait_alu 0xfffe
	s_or_b32 s2, vcc_lo, s2
	v_fma_f32 v20, -v36, v38, v10
	v_fmac_f32_e32 v16, v35, v38
	s_wait_alu 0xfffe
	s_and_not1_b32 exec_lo, exec_lo, s2
	s_cbranch_execnz .LBB11_20
; %bb.21:
	s_or_b32 exec_lo, exec_lo, s2
.LBB11_22:
	s_wait_alu 0xfffe
	s_or_b32 exec_lo, exec_lo, s3
.LBB11_23:
	v_mbcnt_lo_u32_b32 v0, -1, 0
	s_delay_alu instid0(VALU_DEP_1) | instskip(SKIP_1) | instid1(VALU_DEP_2)
	v_xor_b32_e32 v1, 4, v0
	v_xor_b32_e32 v13, 2, v0
	v_cmp_gt_i32_e32 vcc_lo, 32, v1
	s_wait_alu 0xfffd
	v_cndmask_b32_e32 v1, v0, v1, vcc_lo
	s_delay_alu instid0(VALU_DEP_3) | instskip(NEXT) | instid1(VALU_DEP_2)
	v_cmp_gt_i32_e32 vcc_lo, 32, v13
	v_lshlrev_b32_e32 v1, 2, v1
	ds_bpermute_b32 v10, v1, v20
	s_wait_dscnt 0x0
	v_add_f32_e32 v10, v20, v10
	ds_bpermute_b32 v12, v1, v19
	ds_bpermute_b32 v8, v1, v18
	;; [unrolled: 1-line block ×5, first 2 shown]
	s_wait_dscnt 0x4
	s_wait_alu 0xfffd
	v_dual_cndmask_b32 v13, v0, v13 :: v_dual_add_f32 v12, v19, v12
	v_xor_b32_e32 v19, 1, v0
	s_wait_dscnt 0x1
	v_dual_add_f32 v8, v18, v8 :: v_dual_add_f32 v11, v16, v11
	s_delay_alu instid0(VALU_DEP_2)
	v_cmp_gt_i32_e32 vcc_lo, 32, v19
	s_wait_alu 0xfffd
	v_dual_cndmask_b32 v0, v0, v19 :: v_dual_lshlrev_b32 v13, 2, v13
	ds_bpermute_b32 v16, v13, v10
	ds_bpermute_b32 v18, v13, v12
	v_add_f32_e32 v9, v14, v9
	s_wait_dscnt 0x2
	v_add_f32_e32 v14, v15, v1
	ds_bpermute_b32 v1, v13, v8
	ds_bpermute_b32 v17, v13, v11
	v_lshlrev_b32_e32 v19, 2, v0
	v_cmp_eq_u32_e32 vcc_lo, 7, v3
	s_wait_dscnt 0x1
	v_add_f32_e32 v0, v8, v1
	v_add_f32_e32 v8, v10, v16
	;; [unrolled: 1-line block ×3, first 2 shown]
	ds_bpermute_b32 v15, v13, v9
	ds_bpermute_b32 v13, v13, v14
	;; [unrolled: 1-line block ×4, first 2 shown]
	s_wait_dscnt 0x3
	v_add_f32_e32 v1, v9, v15
	v_add_f32_e32 v9, v11, v17
	s_wait_dscnt 0x2
	v_add_f32_e32 v11, v14, v13
	ds_bpermute_b32 v14, v19, v8
	ds_bpermute_b32 v13, v19, v1
	;; [unrolled: 1-line block ×4, first 2 shown]
	s_and_b32 exec_lo, exec_lo, vcc_lo
	s_cbranch_execz .LBB11_8
; %bb.24:
	s_wait_dscnt 0x2
	v_dual_add_f32 v12, v0, v12 :: v_dual_add_f32 v1, v1, v13
	s_load_b64 s[2:3], s[0:1], 0x50
	v_dual_add_f32 v13, v8, v14 :: v_dual_add_f32 v14, v10, v16
	v_lshl_add_u32 v10, v2, 1, v2
	s_delay_alu instid0(VALU_DEP_3)
	v_mul_f32_e64 v0, v1, -v7
	s_wait_dscnt 0x1
	v_add_f32_e32 v3, v9, v15
	s_wait_dscnt 0x0
	v_add_f32_e32 v9, v11, v17
	v_mul_f32_e32 v1, v6, v1
	v_cmp_eq_f32_e32 vcc_lo, 0, v4
	v_fmac_f32_e32 v0, v6, v12
	v_mul_f32_e64 v2, v3, -v7
	v_mul_f32_e64 v8, v9, -v7
	v_mul_f32_e32 v3, v6, v3
	v_cmp_eq_f32_e64 s0, 0, v5
	s_delay_alu instid0(VALU_DEP_4) | instskip(NEXT) | instid1(VALU_DEP_4)
	v_dual_fmac_f32 v1, v7, v12 :: v_dual_fmac_f32 v2, v6, v13
	v_fmac_f32_e32 v8, v6, v14
	v_mul_f32_e32 v9, v6, v9
	v_ashrrev_i32_e32 v11, 31, v10
	v_fmac_f32_e32 v3, v7, v13
	s_and_b32 s0, vcc_lo, s0
	s_delay_alu instid0(VALU_DEP_3)
	v_fmac_f32_e32 v9, v7, v14
	s_wait_alu 0xfffe
	s_and_saveexec_b32 s1, s0
	s_wait_alu 0xfffe
	s_xor_b32 s0, exec_lo, s1
	s_cbranch_execz .LBB11_26
; %bb.25:
	v_lshlrev_b64_e32 v[4:5], 3, v[10:11]
                                        ; implicit-def: $vgpr10
	s_wait_kmcnt 0x0
	s_delay_alu instid0(VALU_DEP_1) | instskip(SKIP_1) | instid1(VALU_DEP_2)
	v_add_co_u32 v4, vcc_lo, s2, v4
	s_wait_alu 0xfffd
	v_add_co_ci_u32_e64 v5, null, s3, v5, vcc_lo
	s_clause 0x1
	global_store_b128 v[4:5], v[0:3], off
	global_store_b64 v[4:5], v[8:9], off offset:16
                                        ; implicit-def: $vgpr4_vgpr5
                                        ; implicit-def: $vgpr0
                                        ; implicit-def: $vgpr8
.LBB11_26:
	s_wait_alu 0xfffe
	s_and_not1_saveexec_b32 s0, s0
	s_cbranch_execz .LBB11_8
; %bb.27:
	v_lshlrev_b64_e32 v[6:7], 3, v[10:11]
	s_wait_kmcnt 0x0
	s_delay_alu instid0(VALU_DEP_1) | instskip(SKIP_1) | instid1(VALU_DEP_2)
	v_add_co_u32 v6, vcc_lo, s2, v6
	s_wait_alu 0xfffd
	v_add_co_ci_u32_e64 v7, null, s3, v7, vcc_lo
	s_clause 0x1
	global_load_b128 v[10:13], v[6:7], off
	global_load_b64 v[14:15], v[6:7], off offset:16
	s_wait_loadcnt 0x1
	v_dual_fmac_f32 v0, v4, v10 :: v_dual_fmac_f32 v3, v5, v12
	v_dual_fmac_f32 v1, v5, v10 :: v_dual_fmac_f32 v2, v4, v12
	s_wait_loadcnt 0x0
	v_fmac_f32_e32 v8, v4, v14
	v_fmac_f32_e32 v9, v5, v14
	v_fma_f32 v0, -v5, v11, v0
	v_fmac_f32_e32 v1, v4, v11
	v_fma_f32 v2, -v5, v13, v2
	;; [unrolled: 2-line block ×3, first 2 shown]
	v_fmac_f32_e32 v9, v4, v15
	s_clause 0x1
	global_store_b128 v[6:7], v[0:3], off
	global_store_b64 v[6:7], v[8:9], off offset:16
	s_endpgm
	.section	.rodata,"a",@progbits
	.p2align	6, 0x0
	.amdhsa_kernel _ZN9rocsparseL18bsrxmvn_3x3_kernelILj256ELj8E21rocsparse_complex_numIfEiiS2_S2_S2_EEvT3_20rocsparse_direction_NS_24const_host_device_scalarIT1_EES3_PKS3_PKT2_SC_S9_PKT4_PKT5_S7_PT6_21rocsparse_index_base_b
		.amdhsa_group_segment_fixed_size 0
		.amdhsa_private_segment_fixed_size 0
		.amdhsa_kernarg_size 96
		.amdhsa_user_sgpr_count 2
		.amdhsa_user_sgpr_dispatch_ptr 0
		.amdhsa_user_sgpr_queue_ptr 0
		.amdhsa_user_sgpr_kernarg_segment_ptr 1
		.amdhsa_user_sgpr_dispatch_id 0
		.amdhsa_user_sgpr_private_segment_size 0
		.amdhsa_wavefront_size32 1
		.amdhsa_uses_dynamic_stack 0
		.amdhsa_enable_private_segment 0
		.amdhsa_system_sgpr_workgroup_id_x 1
		.amdhsa_system_sgpr_workgroup_id_y 0
		.amdhsa_system_sgpr_workgroup_id_z 0
		.amdhsa_system_sgpr_workgroup_info 0
		.amdhsa_system_vgpr_workitem_id 0
		.amdhsa_next_free_vgpr 45
		.amdhsa_next_free_sgpr 14
		.amdhsa_reserve_vcc 1
		.amdhsa_float_round_mode_32 0
		.amdhsa_float_round_mode_16_64 0
		.amdhsa_float_denorm_mode_32 3
		.amdhsa_float_denorm_mode_16_64 3
		.amdhsa_fp16_overflow 0
		.amdhsa_workgroup_processor_mode 1
		.amdhsa_memory_ordered 1
		.amdhsa_forward_progress 1
		.amdhsa_inst_pref_size 19
		.amdhsa_round_robin_scheduling 0
		.amdhsa_exception_fp_ieee_invalid_op 0
		.amdhsa_exception_fp_denorm_src 0
		.amdhsa_exception_fp_ieee_div_zero 0
		.amdhsa_exception_fp_ieee_overflow 0
		.amdhsa_exception_fp_ieee_underflow 0
		.amdhsa_exception_fp_ieee_inexact 0
		.amdhsa_exception_int_div_zero 0
	.end_amdhsa_kernel
	.section	.text._ZN9rocsparseL18bsrxmvn_3x3_kernelILj256ELj8E21rocsparse_complex_numIfEiiS2_S2_S2_EEvT3_20rocsparse_direction_NS_24const_host_device_scalarIT1_EES3_PKS3_PKT2_SC_S9_PKT4_PKT5_S7_PT6_21rocsparse_index_base_b,"axG",@progbits,_ZN9rocsparseL18bsrxmvn_3x3_kernelILj256ELj8E21rocsparse_complex_numIfEiiS2_S2_S2_EEvT3_20rocsparse_direction_NS_24const_host_device_scalarIT1_EES3_PKS3_PKT2_SC_S9_PKT4_PKT5_S7_PT6_21rocsparse_index_base_b,comdat
.Lfunc_end11:
	.size	_ZN9rocsparseL18bsrxmvn_3x3_kernelILj256ELj8E21rocsparse_complex_numIfEiiS2_S2_S2_EEvT3_20rocsparse_direction_NS_24const_host_device_scalarIT1_EES3_PKS3_PKT2_SC_S9_PKT4_PKT5_S7_PT6_21rocsparse_index_base_b, .Lfunc_end11-_ZN9rocsparseL18bsrxmvn_3x3_kernelILj256ELj8E21rocsparse_complex_numIfEiiS2_S2_S2_EEvT3_20rocsparse_direction_NS_24const_host_device_scalarIT1_EES3_PKS3_PKT2_SC_S9_PKT4_PKT5_S7_PT6_21rocsparse_index_base_b
                                        ; -- End function
	.set _ZN9rocsparseL18bsrxmvn_3x3_kernelILj256ELj8E21rocsparse_complex_numIfEiiS2_S2_S2_EEvT3_20rocsparse_direction_NS_24const_host_device_scalarIT1_EES3_PKS3_PKT2_SC_S9_PKT4_PKT5_S7_PT6_21rocsparse_index_base_b.num_vgpr, 45
	.set _ZN9rocsparseL18bsrxmvn_3x3_kernelILj256ELj8E21rocsparse_complex_numIfEiiS2_S2_S2_EEvT3_20rocsparse_direction_NS_24const_host_device_scalarIT1_EES3_PKS3_PKT2_SC_S9_PKT4_PKT5_S7_PT6_21rocsparse_index_base_b.num_agpr, 0
	.set _ZN9rocsparseL18bsrxmvn_3x3_kernelILj256ELj8E21rocsparse_complex_numIfEiiS2_S2_S2_EEvT3_20rocsparse_direction_NS_24const_host_device_scalarIT1_EES3_PKS3_PKT2_SC_S9_PKT4_PKT5_S7_PT6_21rocsparse_index_base_b.numbered_sgpr, 14
	.set _ZN9rocsparseL18bsrxmvn_3x3_kernelILj256ELj8E21rocsparse_complex_numIfEiiS2_S2_S2_EEvT3_20rocsparse_direction_NS_24const_host_device_scalarIT1_EES3_PKS3_PKT2_SC_S9_PKT4_PKT5_S7_PT6_21rocsparse_index_base_b.num_named_barrier, 0
	.set _ZN9rocsparseL18bsrxmvn_3x3_kernelILj256ELj8E21rocsparse_complex_numIfEiiS2_S2_S2_EEvT3_20rocsparse_direction_NS_24const_host_device_scalarIT1_EES3_PKS3_PKT2_SC_S9_PKT4_PKT5_S7_PT6_21rocsparse_index_base_b.private_seg_size, 0
	.set _ZN9rocsparseL18bsrxmvn_3x3_kernelILj256ELj8E21rocsparse_complex_numIfEiiS2_S2_S2_EEvT3_20rocsparse_direction_NS_24const_host_device_scalarIT1_EES3_PKS3_PKT2_SC_S9_PKT4_PKT5_S7_PT6_21rocsparse_index_base_b.uses_vcc, 1
	.set _ZN9rocsparseL18bsrxmvn_3x3_kernelILj256ELj8E21rocsparse_complex_numIfEiiS2_S2_S2_EEvT3_20rocsparse_direction_NS_24const_host_device_scalarIT1_EES3_PKS3_PKT2_SC_S9_PKT4_PKT5_S7_PT6_21rocsparse_index_base_b.uses_flat_scratch, 0
	.set _ZN9rocsparseL18bsrxmvn_3x3_kernelILj256ELj8E21rocsparse_complex_numIfEiiS2_S2_S2_EEvT3_20rocsparse_direction_NS_24const_host_device_scalarIT1_EES3_PKS3_PKT2_SC_S9_PKT4_PKT5_S7_PT6_21rocsparse_index_base_b.has_dyn_sized_stack, 0
	.set _ZN9rocsparseL18bsrxmvn_3x3_kernelILj256ELj8E21rocsparse_complex_numIfEiiS2_S2_S2_EEvT3_20rocsparse_direction_NS_24const_host_device_scalarIT1_EES3_PKS3_PKT2_SC_S9_PKT4_PKT5_S7_PT6_21rocsparse_index_base_b.has_recursion, 0
	.set _ZN9rocsparseL18bsrxmvn_3x3_kernelILj256ELj8E21rocsparse_complex_numIfEiiS2_S2_S2_EEvT3_20rocsparse_direction_NS_24const_host_device_scalarIT1_EES3_PKS3_PKT2_SC_S9_PKT4_PKT5_S7_PT6_21rocsparse_index_base_b.has_indirect_call, 0
	.section	.AMDGPU.csdata,"",@progbits
; Kernel info:
; codeLenInByte = 2424
; TotalNumSgprs: 16
; NumVgprs: 45
; ScratchSize: 0
; MemoryBound: 0
; FloatMode: 240
; IeeeMode: 1
; LDSByteSize: 0 bytes/workgroup (compile time only)
; SGPRBlocks: 0
; VGPRBlocks: 5
; NumSGPRsForWavesPerEU: 16
; NumVGPRsForWavesPerEU: 45
; Occupancy: 16
; WaveLimiterHint : 1
; COMPUTE_PGM_RSRC2:SCRATCH_EN: 0
; COMPUTE_PGM_RSRC2:USER_SGPR: 2
; COMPUTE_PGM_RSRC2:TRAP_HANDLER: 0
; COMPUTE_PGM_RSRC2:TGID_X_EN: 1
; COMPUTE_PGM_RSRC2:TGID_Y_EN: 0
; COMPUTE_PGM_RSRC2:TGID_Z_EN: 0
; COMPUTE_PGM_RSRC2:TIDIG_COMP_CNT: 0
	.section	.text._ZN9rocsparseL18bsrxmvn_3x3_kernelILj256ELj16E21rocsparse_complex_numIfEiiS2_S2_S2_EEvT3_20rocsparse_direction_NS_24const_host_device_scalarIT1_EES3_PKS3_PKT2_SC_S9_PKT4_PKT5_S7_PT6_21rocsparse_index_base_b,"axG",@progbits,_ZN9rocsparseL18bsrxmvn_3x3_kernelILj256ELj16E21rocsparse_complex_numIfEiiS2_S2_S2_EEvT3_20rocsparse_direction_NS_24const_host_device_scalarIT1_EES3_PKS3_PKT2_SC_S9_PKT4_PKT5_S7_PT6_21rocsparse_index_base_b,comdat
	.globl	_ZN9rocsparseL18bsrxmvn_3x3_kernelILj256ELj16E21rocsparse_complex_numIfEiiS2_S2_S2_EEvT3_20rocsparse_direction_NS_24const_host_device_scalarIT1_EES3_PKS3_PKT2_SC_S9_PKT4_PKT5_S7_PT6_21rocsparse_index_base_b ; -- Begin function _ZN9rocsparseL18bsrxmvn_3x3_kernelILj256ELj16E21rocsparse_complex_numIfEiiS2_S2_S2_EEvT3_20rocsparse_direction_NS_24const_host_device_scalarIT1_EES3_PKS3_PKT2_SC_S9_PKT4_PKT5_S7_PT6_21rocsparse_index_base_b
	.p2align	8
	.type	_ZN9rocsparseL18bsrxmvn_3x3_kernelILj256ELj16E21rocsparse_complex_numIfEiiS2_S2_S2_EEvT3_20rocsparse_direction_NS_24const_host_device_scalarIT1_EES3_PKS3_PKT2_SC_S9_PKT4_PKT5_S7_PT6_21rocsparse_index_base_b,@function
_ZN9rocsparseL18bsrxmvn_3x3_kernelILj256ELj16E21rocsparse_complex_numIfEiiS2_S2_S2_EEvT3_20rocsparse_direction_NS_24const_host_device_scalarIT1_EES3_PKS3_PKT2_SC_S9_PKT4_PKT5_S7_PT6_21rocsparse_index_base_b: ; @_ZN9rocsparseL18bsrxmvn_3x3_kernelILj256ELj16E21rocsparse_complex_numIfEiiS2_S2_S2_EEvT3_20rocsparse_direction_NS_24const_host_device_scalarIT1_EES3_PKS3_PKT2_SC_S9_PKT4_PKT5_S7_PT6_21rocsparse_index_base_b
; %bb.0:
	s_clause 0x2
	s_load_b64 s[12:13], s[0:1], 0x58
	s_load_b64 s[2:3], s[0:1], 0x8
	;; [unrolled: 1-line block ×3, first 2 shown]
	s_add_nc_u64 s[6:7], s[0:1], 8
	s_wait_kmcnt 0x0
	s_bitcmp1_b32 s13, 0
	s_cselect_b32 s2, s6, s2
	s_cselect_b32 s3, s7, s3
	s_delay_alu instid0(SALU_CYCLE_1)
	v_dual_mov_b32 v1, s2 :: v_dual_mov_b32 v2, s3
	s_add_nc_u64 s[2:3], s[0:1], 0x48
	s_wait_alu 0xfffe
	s_cselect_b32 s2, s2, s4
	s_cselect_b32 s3, s3, s5
	flat_load_b64 v[6:7], v[1:2]
	s_wait_alu 0xfffe
	v_dual_mov_b32 v1, s2 :: v_dual_mov_b32 v2, s3
	flat_load_b64 v[4:5], v[1:2]
	s_wait_loadcnt_dscnt 0x101
	v_cmp_eq_f32_e32 vcc_lo, 0, v6
	v_cmp_eq_f32_e64 s2, 0, v7
	s_and_b32 s4, vcc_lo, s2
	s_mov_b32 s2, -1
	s_and_saveexec_b32 s3, s4
	s_cbranch_execz .LBB12_2
; %bb.1:
	s_wait_loadcnt_dscnt 0x0
	v_cmp_neq_f32_e32 vcc_lo, 1.0, v4
	v_cmp_neq_f32_e64 s2, 0, v5
	s_wait_alu 0xfffe
	s_or_b32 s2, vcc_lo, s2
	s_wait_alu 0xfffe
	s_or_not1_b32 s2, s2, exec_lo
.LBB12_2:
	s_wait_alu 0xfffe
	s_or_b32 exec_lo, exec_lo, s3
	s_and_saveexec_b32 s3, s2
	s_cbranch_execz .LBB12_8
; %bb.3:
	s_clause 0x1
	s_load_b64 s[4:5], s[0:1], 0x18
	s_load_b64 s[2:3], s[0:1], 0x0
	v_lshrrev_b32_e32 v1, 4, v0
	s_delay_alu instid0(VALU_DEP_1)
	v_lshl_or_b32 v2, ttmp9, 4, v1
	s_wait_kmcnt 0x0
	s_cmp_lg_u64 s[4:5], 0
	s_cbranch_scc0 .LBB12_9
; %bb.4:
	s_load_b32 s6, s[0:1], 0x10
	s_mov_b32 s7, 0
                                        ; implicit-def: $vgpr1
	s_wait_kmcnt 0x0
	v_cmp_gt_i32_e32 vcc_lo, s6, v2
	s_mov_b32 s6, 0
	s_and_saveexec_b32 s8, vcc_lo
	s_delay_alu instid0(SALU_CYCLE_1)
	s_xor_b32 s8, exec_lo, s8
	s_cbranch_execz .LBB12_6
; %bb.5:
	v_ashrrev_i32_e32 v3, 31, v2
	s_mov_b32 s6, exec_lo
	s_delay_alu instid0(VALU_DEP_1) | instskip(NEXT) | instid1(VALU_DEP_1)
	v_lshlrev_b64_e32 v[8:9], 2, v[2:3]
	v_add_co_u32 v8, vcc_lo, s4, v8
	s_delay_alu instid0(VALU_DEP_1)
	v_add_co_ci_u32_e64 v9, null, s5, v9, vcc_lo
	global_load_b32 v1, v[8:9], off
	s_wait_loadcnt 0x0
	v_subrev_nc_u32_e32 v1, s12, v1
.LBB12_6:
	s_or_b32 exec_lo, exec_lo, s8
	s_delay_alu instid0(SALU_CYCLE_1)
	s_and_b32 vcc_lo, exec_lo, s7
	s_wait_alu 0xfffe
	s_cbranch_vccz .LBB12_10
.LBB12_7:
	v_cmp_gt_i32_e32 vcc_lo, s2, v2
	s_and_not1_b32 s2, s6, exec_lo
	s_and_b32 s4, vcc_lo, exec_lo
	s_wait_alu 0xfffe
	s_or_b32 s6, s2, s4
	s_wait_alu 0xfffe
	s_and_b32 exec_lo, exec_lo, s6
	s_cbranch_execnz .LBB12_11
.LBB12_8:
	s_endpgm
.LBB12_9:
	s_mov_b32 s6, 0
                                        ; implicit-def: $vgpr1
	s_cbranch_execnz .LBB12_7
.LBB12_10:
	v_mov_b32_e32 v2, v1
	s_and_b32 exec_lo, exec_lo, s6
	s_cbranch_execz .LBB12_8
.LBB12_11:
	s_load_b256 s[4:11], s[0:1], 0x20
	s_delay_alu instid0(VALU_DEP_1) | instskip(NEXT) | instid1(VALU_DEP_1)
	v_ashrrev_i32_e32 v3, 31, v2
	v_lshlrev_b64_e32 v[8:9], 2, v[2:3]
	s_wait_kmcnt 0x0
	s_delay_alu instid0(VALU_DEP_1) | instskip(SKIP_1) | instid1(VALU_DEP_2)
	v_add_co_u32 v10, vcc_lo, s4, v8
	s_wait_alu 0xfffd
	v_add_co_ci_u32_e64 v11, null, s5, v9, vcc_lo
	v_add_co_u32 v1, vcc_lo, s6, v8
	s_wait_alu 0xfffd
	v_add_co_ci_u32_e64 v3, null, s7, v9, vcc_lo
	;; [unrolled: 3-line block ×3, first 2 shown]
	s_cmp_eq_u64 s[6:7], 0
	global_load_b32 v10, v[10:11], off
	s_cselect_b32 vcc_lo, -1, 0
	s_load_b64 s[4:5], s[0:1], 0x40
	v_dual_cndmask_b32 v9, v3, v9 :: v_dual_cndmask_b32 v8, v1, v8
	v_and_b32_e32 v3, 15, v0
	s_cmp_eq_u32 s3, 1
	global_load_b32 v1, v[8:9], off
	s_wait_loadcnt 0x1
	v_subrev_nc_u32_e32 v0, s12, v10
	s_delay_alu instid0(VALU_DEP_1) | instskip(SKIP_2) | instid1(VALU_DEP_2)
	v_add_nc_u32_e32 v0, v0, v3
	s_wait_loadcnt 0x0
	v_subrev_nc_u32_e32 v19, s12, v1
	v_mad_co_i64_i32 v[8:9], null, 0x48, v0, s[10:11]
	s_delay_alu instid0(VALU_DEP_2)
	v_cmp_lt_i32_e64 s2, v0, v19
	s_cbranch_scc1 .LBB12_17
; %bb.12:
	v_dual_mov_b32 v14, 0 :: v_dual_mov_b32 v17, 0
	v_dual_mov_b32 v18, 0 :: v_dual_mov_b32 v15, 0
	v_mov_b32_e32 v20, 0
	v_mov_b32_e32 v16, 0
	s_and_saveexec_b32 s3, s2
	s_cbranch_execz .LBB12_16
; %bb.13:
	v_dual_mov_b32 v14, 0 :: v_dual_mov_b32 v13, v9
	v_dual_mov_b32 v10, v0 :: v_dual_mov_b32 v17, 0
	;; [unrolled: 1-line block ×3, first 2 shown]
	v_mov_b32_e32 v18, 0
	v_mov_b32_e32 v20, 0
	;; [unrolled: 1-line block ×3, first 2 shown]
	s_mov_b32 s6, 0
.LBB12_14:                              ; =>This Inner Loop Header: Depth=1
	v_ashrrev_i32_e32 v11, 31, v10
	s_delay_alu instid0(VALU_DEP_1) | instskip(NEXT) | instid1(VALU_DEP_1)
	v_lshlrev_b64_e32 v[21:22], 2, v[10:11]
	v_add_co_u32 v21, vcc_lo, s8, v21
	s_wait_alu 0xfffd
	s_delay_alu instid0(VALU_DEP_2)
	v_add_co_ci_u32_e64 v22, null, s9, v22, vcc_lo
	global_load_b32 v1, v[21:22], off
	s_clause 0x2
	global_load_b128 v[21:24], v[12:13], off offset:48
	global_load_b128 v[25:28], v[12:13], off offset:16
	global_load_b128 v[29:32], v[12:13], off
	s_wait_loadcnt 0x3
	v_subrev_nc_u32_e32 v1, s12, v1
	s_delay_alu instid0(VALU_DEP_1) | instskip(NEXT) | instid1(VALU_DEP_1)
	v_lshl_add_u32 v33, v1, 1, v1
	v_ashrrev_i32_e32 v34, 31, v33
	s_delay_alu instid0(VALU_DEP_1) | instskip(SKIP_1) | instid1(VALU_DEP_1)
	v_lshlrev_b64_e32 v[33:34], 3, v[33:34]
	s_wait_kmcnt 0x0
	v_add_co_u32 v37, vcc_lo, s4, v33
	s_wait_alu 0xfffd
	s_delay_alu instid0(VALU_DEP_2)
	v_add_co_ci_u32_e64 v38, null, s5, v34, vcc_lo
	s_clause 0x1
	global_load_b128 v[33:36], v[37:38], off
	global_load_b64 v[41:42], v[37:38], off offset:16
	s_clause 0x1
	global_load_b128 v[37:40], v[12:13], off offset:32
	global_load_b64 v[43:44], v[12:13], off offset:64
	v_add_nc_u32_e32 v10, 16, v10
	v_add_co_u32 v12, vcc_lo, 0x480, v12
	s_wait_alu 0xfffd
	v_add_co_ci_u32_e64 v13, null, 0, v13, vcc_lo
	s_wait_loadcnt 0x3
	v_fmac_f32_e32 v17, v29, v33
	v_fmac_f32_e32 v20, v27, v33
	;; [unrolled: 1-line block ×5, first 2 shown]
	v_fma_f32 v1, -v30, v34, v17
	v_fmac_f32_e32 v16, v28, v33
	v_fma_f32 v11, -v28, v34, v20
	v_fma_f32 v17, -v22, v34, v18
	v_fmac_f32_e32 v15, v21, v34
	v_dual_fmac_f32 v14, v29, v34 :: v_dual_fmac_f32 v1, v31, v35
	s_wait_loadcnt 0x1
	v_dual_fmac_f32 v16, v27, v34 :: v_dual_fmac_f32 v11, v37, v35
	v_fmac_f32_e32 v17, v23, v35
	v_fmac_f32_e32 v15, v24, v35
	;; [unrolled: 1-line block ×3, first 2 shown]
	v_fma_f32 v1, -v32, v36, v1
	v_fmac_f32_e32 v16, v38, v35
	v_fma_f32 v11, -v38, v36, v11
	v_fma_f32 v18, -v24, v36, v17
	v_fmac_f32_e32 v15, v23, v36
	v_dual_fmac_f32 v14, v31, v36 :: v_dual_fmac_f32 v1, v25, v41
	s_delay_alu instid0(VALU_DEP_4)
	v_dual_fmac_f32 v16, v37, v36 :: v_dual_fmac_f32 v11, v39, v41
	s_wait_loadcnt 0x0
	v_fmac_f32_e32 v18, v43, v41
	v_fmac_f32_e32 v15, v44, v41
	;; [unrolled: 1-line block ×4, first 2 shown]
	v_cmp_ge_i32_e32 vcc_lo, v10, v19
	v_fma_f32 v17, -v26, v42, v1
	v_fma_f32 v20, -v40, v42, v11
	;; [unrolled: 1-line block ×3, first 2 shown]
	v_fmac_f32_e32 v16, v39, v42
	v_fmac_f32_e32 v15, v43, v42
	;; [unrolled: 1-line block ×3, first 2 shown]
	s_wait_alu 0xfffe
	s_or_b32 s6, vcc_lo, s6
	s_wait_alu 0xfffe
	s_and_not1_b32 exec_lo, exec_lo, s6
	s_cbranch_execnz .LBB12_14
; %bb.15:
	s_or_b32 exec_lo, exec_lo, s6
.LBB12_16:
	s_wait_alu 0xfffe
	s_or_b32 exec_lo, exec_lo, s3
	s_cbranch_execz .LBB12_18
	s_branch .LBB12_23
.LBB12_17:
                                        ; implicit-def: $vgpr14
                                        ; implicit-def: $vgpr17
                                        ; implicit-def: $vgpr18
                                        ; implicit-def: $vgpr15
                                        ; implicit-def: $vgpr20
                                        ; implicit-def: $vgpr16
.LBB12_18:
	v_dual_mov_b32 v14, 0 :: v_dual_mov_b32 v17, 0
	v_dual_mov_b32 v18, 0 :: v_dual_mov_b32 v15, 0
	v_mov_b32_e32 v20, 0
	v_mov_b32_e32 v16, 0
	s_and_saveexec_b32 s3, s2
	s_cbranch_execz .LBB12_22
; %bb.19:
	v_dual_mov_b32 v14, 0 :: v_dual_mov_b32 v17, 0
	v_dual_mov_b32 v18, 0 :: v_dual_mov_b32 v15, 0
	v_mov_b32_e32 v20, 0
	v_mov_b32_e32 v16, 0
	s_mov_b32 s2, 0
.LBB12_20:                              ; =>This Inner Loop Header: Depth=1
	v_ashrrev_i32_e32 v1, 31, v0
	s_delay_alu instid0(VALU_DEP_1) | instskip(NEXT) | instid1(VALU_DEP_1)
	v_lshlrev_b64_e32 v[10:11], 2, v[0:1]
	v_add_co_u32 v10, vcc_lo, s8, v10
	s_wait_alu 0xfffd
	s_delay_alu instid0(VALU_DEP_2)
	v_add_co_ci_u32_e64 v11, null, s9, v11, vcc_lo
	global_load_b32 v1, v[10:11], off
	s_clause 0x1
	global_load_b128 v[10:13], v[8:9], off offset:16
	global_load_b128 v[21:24], v[8:9], off
	s_wait_loadcnt 0x2
	v_subrev_nc_u32_e32 v1, s12, v1
	s_delay_alu instid0(VALU_DEP_1) | instskip(NEXT) | instid1(VALU_DEP_1)
	v_lshl_add_u32 v25, v1, 1, v1
	v_ashrrev_i32_e32 v26, 31, v25
	s_delay_alu instid0(VALU_DEP_1) | instskip(SKIP_1) | instid1(VALU_DEP_1)
	v_lshlrev_b64_e32 v[25:26], 3, v[25:26]
	s_wait_kmcnt 0x0
	v_add_co_u32 v29, vcc_lo, s4, v25
	s_wait_alu 0xfffd
	s_delay_alu instid0(VALU_DEP_2)
	v_add_co_ci_u32_e64 v30, null, s5, v26, vcc_lo
	s_clause 0x1
	global_load_b128 v[25:28], v[29:30], off
	global_load_b64 v[37:38], v[29:30], off offset:16
	s_clause 0x2
	global_load_b128 v[29:32], v[8:9], off offset:32
	global_load_b128 v[33:36], v[8:9], off offset:48
	global_load_b64 v[39:40], v[8:9], off offset:64
	v_add_nc_u32_e32 v0, 16, v0
	v_add_co_u32 v8, vcc_lo, 0x480, v8
	s_wait_alu 0xfffd
	v_add_co_ci_u32_e64 v9, null, 0, v9, vcc_lo
	s_wait_loadcnt 0x4
	v_fmac_f32_e32 v17, v21, v25
	v_fmac_f32_e32 v18, v10, v25
	v_cmp_ge_i32_e32 vcc_lo, v0, v19
	s_delay_alu instid0(VALU_DEP_3) | instskip(SKIP_3) | instid1(VALU_DEP_2)
	v_fma_f32 v1, -v22, v26, v17
	v_fmac_f32_e32 v14, v22, v25
	s_wait_alu 0xfffe
	s_or_b32 s2, vcc_lo, s2
	v_fmac_f32_e32 v1, v12, v27
	s_delay_alu instid0(VALU_DEP_2) | instskip(SKIP_2) | instid1(VALU_DEP_4)
	v_dual_fmac_f32 v15, v11, v25 :: v_dual_fmac_f32 v14, v21, v26
	v_fmac_f32_e32 v20, v23, v25
	v_fma_f32 v11, -v11, v26, v18
	v_fma_f32 v1, -v13, v28, v1
	s_delay_alu instid0(VALU_DEP_4) | instskip(NEXT) | instid1(VALU_DEP_4)
	v_fmac_f32_e32 v15, v10, v26
	v_fma_f32 v17, -v24, v26, v20
	s_wait_loadcnt 0x2
	v_dual_fmac_f32 v16, v24, v25 :: v_dual_fmac_f32 v11, v31, v27
	s_delay_alu instid0(VALU_DEP_3) | instskip(SKIP_1) | instid1(VALU_DEP_3)
	v_fmac_f32_e32 v15, v32, v27
	v_fmac_f32_e32 v14, v13, v27
	v_dual_fmac_f32 v17, v29, v27 :: v_dual_fmac_f32 v16, v23, v26
	s_delay_alu instid0(VALU_DEP_4) | instskip(NEXT) | instid1(VALU_DEP_4)
	v_fma_f32 v11, -v32, v28, v11
	v_fmac_f32_e32 v15, v31, v28
	s_delay_alu instid0(VALU_DEP_4) | instskip(NEXT) | instid1(VALU_DEP_4)
	v_fmac_f32_e32 v14, v12, v28
	v_fma_f32 v10, -v30, v28, v17
	s_wait_loadcnt 0x1
	v_dual_fmac_f32 v16, v30, v27 :: v_dual_fmac_f32 v1, v33, v37
	s_wait_loadcnt 0x0
	v_fmac_f32_e32 v11, v39, v37
	v_fmac_f32_e32 v15, v40, v37
	v_fmac_f32_e32 v14, v34, v37
	v_fmac_f32_e32 v16, v29, v28
	v_fmac_f32_e32 v10, v35, v37
	v_fma_f32 v17, -v34, v38, v1
	v_fma_f32 v18, -v40, v38, v11
	s_delay_alu instid0(VALU_DEP_4) | instskip(SKIP_2) | instid1(VALU_DEP_3)
	v_dual_fmac_f32 v15, v39, v38 :: v_dual_fmac_f32 v16, v36, v37
	v_fmac_f32_e32 v14, v33, v38
	v_fma_f32 v20, -v36, v38, v10
	v_fmac_f32_e32 v16, v35, v38
	s_wait_alu 0xfffe
	s_and_not1_b32 exec_lo, exec_lo, s2
	s_cbranch_execnz .LBB12_20
; %bb.21:
	s_or_b32 exec_lo, exec_lo, s2
.LBB12_22:
	s_wait_alu 0xfffe
	s_or_b32 exec_lo, exec_lo, s3
.LBB12_23:
	v_mbcnt_lo_u32_b32 v0, -1, 0
	s_delay_alu instid0(VALU_DEP_1) | instskip(SKIP_2) | instid1(VALU_DEP_3)
	v_xor_b32_e32 v1, 8, v0
	v_xor_b32_e32 v13, 4, v0
	;; [unrolled: 1-line block ×3, first 2 shown]
	v_cmp_gt_i32_e32 vcc_lo, 32, v1
	s_wait_alu 0xfffd
	v_cndmask_b32_e32 v1, v0, v1, vcc_lo
	v_cmp_gt_i32_e32 vcc_lo, 32, v13
	s_delay_alu instid0(VALU_DEP_2)
	v_lshlrev_b32_e32 v1, 2, v1
	ds_bpermute_b32 v10, v1, v20
	s_wait_dscnt 0x0
	v_add_f32_e32 v10, v20, v10
	ds_bpermute_b32 v8, v1, v17
	ds_bpermute_b32 v12, v1, v18
	;; [unrolled: 1-line block ×3, first 2 shown]
	s_wait_alu 0xfffd
	v_cndmask_b32_e32 v13, v0, v13, vcc_lo
	ds_bpermute_b32 v11, v1, v16
	ds_bpermute_b32 v1, v1, v15
	v_cmp_gt_i32_e32 vcc_lo, 32, v19
	s_wait_dscnt 0x4
	s_wait_alu 0xfffd
	v_dual_cndmask_b32 v19, v0, v19 :: v_dual_add_f32 v8, v17, v8
	s_wait_dscnt 0x3
	v_dual_add_f32 v12, v18, v12 :: v_dual_lshlrev_b32 v13, 2, v13
	s_wait_dscnt 0x2
	v_add_f32_e32 v9, v14, v9
	s_wait_dscnt 0x1
	v_add_f32_e32 v11, v16, v11
	;; [unrolled: 2-line block ×3, first 2 shown]
	ds_bpermute_b32 v14, v13, v8
	s_wait_dscnt 0x0
	v_add_f32_e32 v8, v8, v14
	ds_bpermute_b32 v16, v13, v10
	ds_bpermute_b32 v18, v13, v12
	s_wait_dscnt 0x1
	v_dual_add_f32 v10, v10, v16 :: v_dual_lshlrev_b32 v19, 2, v19
	ds_bpermute_b32 v17, v13, v11
	s_wait_dscnt 0x1
	v_add_f32_e32 v12, v12, v18
	ds_bpermute_b32 v15, v13, v9
	ds_bpermute_b32 v13, v13, v1
	s_wait_dscnt 0x2
	v_add_f32_e32 v11, v11, v17
	ds_bpermute_b32 v17, v19, v12
	s_wait_dscnt 0x2
	v_add_f32_e32 v9, v9, v15
	s_wait_dscnt 0x1
	v_add_f32_e32 v13, v1, v13
	ds_bpermute_b32 v1, v19, v8
	ds_bpermute_b32 v15, v19, v10
	;; [unrolled: 1-line block ×5, first 2 shown]
	v_xor_b32_e32 v19, 1, v0
	s_delay_alu instid0(VALU_DEP_1) | instskip(SKIP_4) | instid1(VALU_DEP_2)
	v_cmp_gt_i32_e32 vcc_lo, 32, v19
	s_wait_alu 0xfffd
	v_cndmask_b32_e32 v0, v0, v19, vcc_lo
	v_cmp_eq_u32_e32 vcc_lo, 15, v3
	s_wait_dscnt 0x4
	v_dual_add_f32 v0, v8, v1 :: v_dual_lshlrev_b32 v19, 2, v0
	s_wait_dscnt 0x3
	v_add_f32_e32 v8, v10, v15
	s_wait_dscnt 0x1
	v_dual_add_f32 v10, v12, v17 :: v_dual_add_f32 v1, v9, v14
	v_add_f32_e32 v9, v11, v16
	s_wait_dscnt 0x0
	v_add_f32_e32 v11, v13, v18
	ds_bpermute_b32 v12, v19, v0
	ds_bpermute_b32 v14, v19, v8
	;; [unrolled: 1-line block ×6, first 2 shown]
	s_and_b32 exec_lo, exec_lo, vcc_lo
	s_cbranch_execz .LBB12_8
; %bb.24:
	s_wait_dscnt 0x3
	v_dual_add_f32 v12, v0, v12 :: v_dual_add_f32 v1, v1, v13
	s_load_b64 s[2:3], s[0:1], 0x50
	s_wait_dscnt 0x1
	v_dual_add_f32 v13, v8, v14 :: v_dual_add_f32 v14, v10, v16
	v_lshl_add_u32 v10, v2, 1, v2
	v_mul_f32_e64 v0, v1, -v7
	v_add_f32_e32 v3, v9, v15
	s_wait_dscnt 0x0
	v_add_f32_e32 v9, v11, v17
	v_mul_f32_e32 v1, v6, v1
	v_cmp_eq_f32_e32 vcc_lo, 0, v4
	v_fmac_f32_e32 v0, v6, v12
	v_mul_f32_e64 v2, v3, -v7
	v_mul_f32_e64 v8, v9, -v7
	v_mul_f32_e32 v3, v6, v3
	v_cmp_eq_f32_e64 s0, 0, v5
	s_delay_alu instid0(VALU_DEP_4) | instskip(NEXT) | instid1(VALU_DEP_4)
	v_dual_fmac_f32 v1, v7, v12 :: v_dual_fmac_f32 v2, v6, v13
	v_fmac_f32_e32 v8, v6, v14
	v_mul_f32_e32 v9, v6, v9
	v_ashrrev_i32_e32 v11, 31, v10
	v_fmac_f32_e32 v3, v7, v13
	s_and_b32 s0, vcc_lo, s0
	s_delay_alu instid0(VALU_DEP_3)
	v_fmac_f32_e32 v9, v7, v14
	s_wait_alu 0xfffe
	s_and_saveexec_b32 s1, s0
	s_wait_alu 0xfffe
	s_xor_b32 s0, exec_lo, s1
	s_cbranch_execz .LBB12_26
; %bb.25:
	v_lshlrev_b64_e32 v[4:5], 3, v[10:11]
                                        ; implicit-def: $vgpr10
	s_wait_kmcnt 0x0
	s_delay_alu instid0(VALU_DEP_1) | instskip(SKIP_1) | instid1(VALU_DEP_2)
	v_add_co_u32 v4, vcc_lo, s2, v4
	s_wait_alu 0xfffd
	v_add_co_ci_u32_e64 v5, null, s3, v5, vcc_lo
	s_clause 0x1
	global_store_b128 v[4:5], v[0:3], off
	global_store_b64 v[4:5], v[8:9], off offset:16
                                        ; implicit-def: $vgpr4_vgpr5
                                        ; implicit-def: $vgpr0
                                        ; implicit-def: $vgpr8
.LBB12_26:
	s_wait_alu 0xfffe
	s_and_not1_saveexec_b32 s0, s0
	s_cbranch_execz .LBB12_8
; %bb.27:
	v_lshlrev_b64_e32 v[6:7], 3, v[10:11]
	s_wait_kmcnt 0x0
	s_delay_alu instid0(VALU_DEP_1) | instskip(SKIP_1) | instid1(VALU_DEP_2)
	v_add_co_u32 v6, vcc_lo, s2, v6
	s_wait_alu 0xfffd
	v_add_co_ci_u32_e64 v7, null, s3, v7, vcc_lo
	s_clause 0x1
	global_load_b128 v[10:13], v[6:7], off
	global_load_b64 v[14:15], v[6:7], off offset:16
	s_wait_loadcnt 0x1
	v_dual_fmac_f32 v0, v4, v10 :: v_dual_fmac_f32 v3, v5, v12
	v_dual_fmac_f32 v1, v5, v10 :: v_dual_fmac_f32 v2, v4, v12
	s_wait_loadcnt 0x0
	v_fmac_f32_e32 v8, v4, v14
	v_fmac_f32_e32 v9, v5, v14
	v_fma_f32 v0, -v5, v11, v0
	v_fmac_f32_e32 v1, v4, v11
	v_fma_f32 v2, -v5, v13, v2
	;; [unrolled: 2-line block ×3, first 2 shown]
	v_fmac_f32_e32 v9, v4, v15
	s_clause 0x1
	global_store_b128 v[6:7], v[0:3], off
	global_store_b64 v[6:7], v[8:9], off offset:16
	s_endpgm
	.section	.rodata,"a",@progbits
	.p2align	6, 0x0
	.amdhsa_kernel _ZN9rocsparseL18bsrxmvn_3x3_kernelILj256ELj16E21rocsparse_complex_numIfEiiS2_S2_S2_EEvT3_20rocsparse_direction_NS_24const_host_device_scalarIT1_EES3_PKS3_PKT2_SC_S9_PKT4_PKT5_S7_PT6_21rocsparse_index_base_b
		.amdhsa_group_segment_fixed_size 0
		.amdhsa_private_segment_fixed_size 0
		.amdhsa_kernarg_size 96
		.amdhsa_user_sgpr_count 2
		.amdhsa_user_sgpr_dispatch_ptr 0
		.amdhsa_user_sgpr_queue_ptr 0
		.amdhsa_user_sgpr_kernarg_segment_ptr 1
		.amdhsa_user_sgpr_dispatch_id 0
		.amdhsa_user_sgpr_private_segment_size 0
		.amdhsa_wavefront_size32 1
		.amdhsa_uses_dynamic_stack 0
		.amdhsa_enable_private_segment 0
		.amdhsa_system_sgpr_workgroup_id_x 1
		.amdhsa_system_sgpr_workgroup_id_y 0
		.amdhsa_system_sgpr_workgroup_id_z 0
		.amdhsa_system_sgpr_workgroup_info 0
		.amdhsa_system_vgpr_workitem_id 0
		.amdhsa_next_free_vgpr 45
		.amdhsa_next_free_sgpr 14
		.amdhsa_reserve_vcc 1
		.amdhsa_float_round_mode_32 0
		.amdhsa_float_round_mode_16_64 0
		.amdhsa_float_denorm_mode_32 3
		.amdhsa_float_denorm_mode_16_64 3
		.amdhsa_fp16_overflow 0
		.amdhsa_workgroup_processor_mode 1
		.amdhsa_memory_ordered 1
		.amdhsa_forward_progress 1
		.amdhsa_inst_pref_size 20
		.amdhsa_round_robin_scheduling 0
		.amdhsa_exception_fp_ieee_invalid_op 0
		.amdhsa_exception_fp_denorm_src 0
		.amdhsa_exception_fp_ieee_div_zero 0
		.amdhsa_exception_fp_ieee_overflow 0
		.amdhsa_exception_fp_ieee_underflow 0
		.amdhsa_exception_fp_ieee_inexact 0
		.amdhsa_exception_int_div_zero 0
	.end_amdhsa_kernel
	.section	.text._ZN9rocsparseL18bsrxmvn_3x3_kernelILj256ELj16E21rocsparse_complex_numIfEiiS2_S2_S2_EEvT3_20rocsparse_direction_NS_24const_host_device_scalarIT1_EES3_PKS3_PKT2_SC_S9_PKT4_PKT5_S7_PT6_21rocsparse_index_base_b,"axG",@progbits,_ZN9rocsparseL18bsrxmvn_3x3_kernelILj256ELj16E21rocsparse_complex_numIfEiiS2_S2_S2_EEvT3_20rocsparse_direction_NS_24const_host_device_scalarIT1_EES3_PKS3_PKT2_SC_S9_PKT4_PKT5_S7_PT6_21rocsparse_index_base_b,comdat
.Lfunc_end12:
	.size	_ZN9rocsparseL18bsrxmvn_3x3_kernelILj256ELj16E21rocsparse_complex_numIfEiiS2_S2_S2_EEvT3_20rocsparse_direction_NS_24const_host_device_scalarIT1_EES3_PKS3_PKT2_SC_S9_PKT4_PKT5_S7_PT6_21rocsparse_index_base_b, .Lfunc_end12-_ZN9rocsparseL18bsrxmvn_3x3_kernelILj256ELj16E21rocsparse_complex_numIfEiiS2_S2_S2_EEvT3_20rocsparse_direction_NS_24const_host_device_scalarIT1_EES3_PKS3_PKT2_SC_S9_PKT4_PKT5_S7_PT6_21rocsparse_index_base_b
                                        ; -- End function
	.set _ZN9rocsparseL18bsrxmvn_3x3_kernelILj256ELj16E21rocsparse_complex_numIfEiiS2_S2_S2_EEvT3_20rocsparse_direction_NS_24const_host_device_scalarIT1_EES3_PKS3_PKT2_SC_S9_PKT4_PKT5_S7_PT6_21rocsparse_index_base_b.num_vgpr, 45
	.set _ZN9rocsparseL18bsrxmvn_3x3_kernelILj256ELj16E21rocsparse_complex_numIfEiiS2_S2_S2_EEvT3_20rocsparse_direction_NS_24const_host_device_scalarIT1_EES3_PKS3_PKT2_SC_S9_PKT4_PKT5_S7_PT6_21rocsparse_index_base_b.num_agpr, 0
	.set _ZN9rocsparseL18bsrxmvn_3x3_kernelILj256ELj16E21rocsparse_complex_numIfEiiS2_S2_S2_EEvT3_20rocsparse_direction_NS_24const_host_device_scalarIT1_EES3_PKS3_PKT2_SC_S9_PKT4_PKT5_S7_PT6_21rocsparse_index_base_b.numbered_sgpr, 14
	.set _ZN9rocsparseL18bsrxmvn_3x3_kernelILj256ELj16E21rocsparse_complex_numIfEiiS2_S2_S2_EEvT3_20rocsparse_direction_NS_24const_host_device_scalarIT1_EES3_PKS3_PKT2_SC_S9_PKT4_PKT5_S7_PT6_21rocsparse_index_base_b.num_named_barrier, 0
	.set _ZN9rocsparseL18bsrxmvn_3x3_kernelILj256ELj16E21rocsparse_complex_numIfEiiS2_S2_S2_EEvT3_20rocsparse_direction_NS_24const_host_device_scalarIT1_EES3_PKS3_PKT2_SC_S9_PKT4_PKT5_S7_PT6_21rocsparse_index_base_b.private_seg_size, 0
	.set _ZN9rocsparseL18bsrxmvn_3x3_kernelILj256ELj16E21rocsparse_complex_numIfEiiS2_S2_S2_EEvT3_20rocsparse_direction_NS_24const_host_device_scalarIT1_EES3_PKS3_PKT2_SC_S9_PKT4_PKT5_S7_PT6_21rocsparse_index_base_b.uses_vcc, 1
	.set _ZN9rocsparseL18bsrxmvn_3x3_kernelILj256ELj16E21rocsparse_complex_numIfEiiS2_S2_S2_EEvT3_20rocsparse_direction_NS_24const_host_device_scalarIT1_EES3_PKS3_PKT2_SC_S9_PKT4_PKT5_S7_PT6_21rocsparse_index_base_b.uses_flat_scratch, 0
	.set _ZN9rocsparseL18bsrxmvn_3x3_kernelILj256ELj16E21rocsparse_complex_numIfEiiS2_S2_S2_EEvT3_20rocsparse_direction_NS_24const_host_device_scalarIT1_EES3_PKS3_PKT2_SC_S9_PKT4_PKT5_S7_PT6_21rocsparse_index_base_b.has_dyn_sized_stack, 0
	.set _ZN9rocsparseL18bsrxmvn_3x3_kernelILj256ELj16E21rocsparse_complex_numIfEiiS2_S2_S2_EEvT3_20rocsparse_direction_NS_24const_host_device_scalarIT1_EES3_PKS3_PKT2_SC_S9_PKT4_PKT5_S7_PT6_21rocsparse_index_base_b.has_recursion, 0
	.set _ZN9rocsparseL18bsrxmvn_3x3_kernelILj256ELj16E21rocsparse_complex_numIfEiiS2_S2_S2_EEvT3_20rocsparse_direction_NS_24const_host_device_scalarIT1_EES3_PKS3_PKT2_SC_S9_PKT4_PKT5_S7_PT6_21rocsparse_index_base_b.has_indirect_call, 0
	.section	.AMDGPU.csdata,"",@progbits
; Kernel info:
; codeLenInByte = 2540
; TotalNumSgprs: 16
; NumVgprs: 45
; ScratchSize: 0
; MemoryBound: 0
; FloatMode: 240
; IeeeMode: 1
; LDSByteSize: 0 bytes/workgroup (compile time only)
; SGPRBlocks: 0
; VGPRBlocks: 5
; NumSGPRsForWavesPerEU: 16
; NumVGPRsForWavesPerEU: 45
; Occupancy: 16
; WaveLimiterHint : 1
; COMPUTE_PGM_RSRC2:SCRATCH_EN: 0
; COMPUTE_PGM_RSRC2:USER_SGPR: 2
; COMPUTE_PGM_RSRC2:TRAP_HANDLER: 0
; COMPUTE_PGM_RSRC2:TGID_X_EN: 1
; COMPUTE_PGM_RSRC2:TGID_Y_EN: 0
; COMPUTE_PGM_RSRC2:TGID_Z_EN: 0
; COMPUTE_PGM_RSRC2:TIDIG_COMP_CNT: 0
	.section	.text._ZN9rocsparseL18bsrxmvn_3x3_kernelILj256ELj32E21rocsparse_complex_numIfEiiS2_S2_S2_EEvT3_20rocsparse_direction_NS_24const_host_device_scalarIT1_EES3_PKS3_PKT2_SC_S9_PKT4_PKT5_S7_PT6_21rocsparse_index_base_b,"axG",@progbits,_ZN9rocsparseL18bsrxmvn_3x3_kernelILj256ELj32E21rocsparse_complex_numIfEiiS2_S2_S2_EEvT3_20rocsparse_direction_NS_24const_host_device_scalarIT1_EES3_PKS3_PKT2_SC_S9_PKT4_PKT5_S7_PT6_21rocsparse_index_base_b,comdat
	.globl	_ZN9rocsparseL18bsrxmvn_3x3_kernelILj256ELj32E21rocsparse_complex_numIfEiiS2_S2_S2_EEvT3_20rocsparse_direction_NS_24const_host_device_scalarIT1_EES3_PKS3_PKT2_SC_S9_PKT4_PKT5_S7_PT6_21rocsparse_index_base_b ; -- Begin function _ZN9rocsparseL18bsrxmvn_3x3_kernelILj256ELj32E21rocsparse_complex_numIfEiiS2_S2_S2_EEvT3_20rocsparse_direction_NS_24const_host_device_scalarIT1_EES3_PKS3_PKT2_SC_S9_PKT4_PKT5_S7_PT6_21rocsparse_index_base_b
	.p2align	8
	.type	_ZN9rocsparseL18bsrxmvn_3x3_kernelILj256ELj32E21rocsparse_complex_numIfEiiS2_S2_S2_EEvT3_20rocsparse_direction_NS_24const_host_device_scalarIT1_EES3_PKS3_PKT2_SC_S9_PKT4_PKT5_S7_PT6_21rocsparse_index_base_b,@function
_ZN9rocsparseL18bsrxmvn_3x3_kernelILj256ELj32E21rocsparse_complex_numIfEiiS2_S2_S2_EEvT3_20rocsparse_direction_NS_24const_host_device_scalarIT1_EES3_PKS3_PKT2_SC_S9_PKT4_PKT5_S7_PT6_21rocsparse_index_base_b: ; @_ZN9rocsparseL18bsrxmvn_3x3_kernelILj256ELj32E21rocsparse_complex_numIfEiiS2_S2_S2_EEvT3_20rocsparse_direction_NS_24const_host_device_scalarIT1_EES3_PKS3_PKT2_SC_S9_PKT4_PKT5_S7_PT6_21rocsparse_index_base_b
; %bb.0:
	s_clause 0x2
	s_load_b64 s[12:13], s[0:1], 0x58
	s_load_b64 s[2:3], s[0:1], 0x8
	;; [unrolled: 1-line block ×3, first 2 shown]
	s_add_nc_u64 s[6:7], s[0:1], 8
	s_wait_kmcnt 0x0
	s_bitcmp1_b32 s13, 0
	s_cselect_b32 s2, s6, s2
	s_cselect_b32 s3, s7, s3
	s_delay_alu instid0(SALU_CYCLE_1)
	v_dual_mov_b32 v1, s2 :: v_dual_mov_b32 v2, s3
	s_add_nc_u64 s[2:3], s[0:1], 0x48
	s_wait_alu 0xfffe
	s_cselect_b32 s2, s2, s4
	s_cselect_b32 s3, s3, s5
	flat_load_b64 v[6:7], v[1:2]
	s_wait_alu 0xfffe
	v_dual_mov_b32 v1, s2 :: v_dual_mov_b32 v2, s3
	flat_load_b64 v[4:5], v[1:2]
	s_wait_loadcnt_dscnt 0x101
	v_cmp_eq_f32_e32 vcc_lo, 0, v6
	v_cmp_eq_f32_e64 s2, 0, v7
	s_and_b32 s4, vcc_lo, s2
	s_mov_b32 s2, -1
	s_and_saveexec_b32 s3, s4
	s_cbranch_execz .LBB13_2
; %bb.1:
	s_wait_loadcnt_dscnt 0x0
	v_cmp_neq_f32_e32 vcc_lo, 1.0, v4
	v_cmp_neq_f32_e64 s2, 0, v5
	s_wait_alu 0xfffe
	s_or_b32 s2, vcc_lo, s2
	s_wait_alu 0xfffe
	s_or_not1_b32 s2, s2, exec_lo
.LBB13_2:
	s_wait_alu 0xfffe
	s_or_b32 exec_lo, exec_lo, s3
	s_and_saveexec_b32 s3, s2
	s_cbranch_execz .LBB13_8
; %bb.3:
	s_clause 0x1
	s_load_b64 s[4:5], s[0:1], 0x18
	s_load_b64 s[2:3], s[0:1], 0x0
	v_lshrrev_b32_e32 v1, 5, v0
	s_delay_alu instid0(VALU_DEP_1)
	v_lshl_or_b32 v2, ttmp9, 3, v1
	s_wait_kmcnt 0x0
	s_cmp_lg_u64 s[4:5], 0
	s_cbranch_scc0 .LBB13_9
; %bb.4:
	s_load_b32 s6, s[0:1], 0x10
	s_mov_b32 s7, 0
                                        ; implicit-def: $vgpr1
	s_wait_kmcnt 0x0
	v_cmp_gt_i32_e32 vcc_lo, s6, v2
	s_mov_b32 s6, 0
	s_and_saveexec_b32 s8, vcc_lo
	s_delay_alu instid0(SALU_CYCLE_1)
	s_xor_b32 s8, exec_lo, s8
	s_cbranch_execz .LBB13_6
; %bb.5:
	v_ashrrev_i32_e32 v3, 31, v2
	s_mov_b32 s6, exec_lo
	s_delay_alu instid0(VALU_DEP_1) | instskip(NEXT) | instid1(VALU_DEP_1)
	v_lshlrev_b64_e32 v[8:9], 2, v[2:3]
	v_add_co_u32 v8, vcc_lo, s4, v8
	s_delay_alu instid0(VALU_DEP_1)
	v_add_co_ci_u32_e64 v9, null, s5, v9, vcc_lo
	global_load_b32 v1, v[8:9], off
	s_wait_loadcnt 0x0
	v_subrev_nc_u32_e32 v1, s12, v1
.LBB13_6:
	s_or_b32 exec_lo, exec_lo, s8
	s_delay_alu instid0(SALU_CYCLE_1)
	s_and_b32 vcc_lo, exec_lo, s7
	s_wait_alu 0xfffe
	s_cbranch_vccz .LBB13_10
.LBB13_7:
	v_cmp_gt_i32_e32 vcc_lo, s2, v2
	s_and_not1_b32 s2, s6, exec_lo
	s_and_b32 s4, vcc_lo, exec_lo
	s_wait_alu 0xfffe
	s_or_b32 s6, s2, s4
	s_wait_alu 0xfffe
	s_and_b32 exec_lo, exec_lo, s6
	s_cbranch_execnz .LBB13_11
.LBB13_8:
	s_endpgm
.LBB13_9:
	s_mov_b32 s6, 0
                                        ; implicit-def: $vgpr1
	s_cbranch_execnz .LBB13_7
.LBB13_10:
	v_mov_b32_e32 v2, v1
	s_and_b32 exec_lo, exec_lo, s6
	s_cbranch_execz .LBB13_8
.LBB13_11:
	s_load_b256 s[4:11], s[0:1], 0x20
	s_delay_alu instid0(VALU_DEP_1) | instskip(NEXT) | instid1(VALU_DEP_1)
	v_ashrrev_i32_e32 v3, 31, v2
	v_lshlrev_b64_e32 v[8:9], 2, v[2:3]
	s_wait_kmcnt 0x0
	s_delay_alu instid0(VALU_DEP_1) | instskip(SKIP_1) | instid1(VALU_DEP_2)
	v_add_co_u32 v10, vcc_lo, s4, v8
	s_wait_alu 0xfffd
	v_add_co_ci_u32_e64 v11, null, s5, v9, vcc_lo
	v_add_co_u32 v1, vcc_lo, s6, v8
	s_wait_alu 0xfffd
	v_add_co_ci_u32_e64 v3, null, s7, v9, vcc_lo
	v_add_co_u32 v8, vcc_lo, v10, 4
	s_wait_alu 0xfffd
	v_add_co_ci_u32_e64 v9, null, 0, v11, vcc_lo
	s_cmp_eq_u64 s[6:7], 0
	global_load_b32 v10, v[10:11], off
	s_cselect_b32 vcc_lo, -1, 0
	s_load_b64 s[4:5], s[0:1], 0x40
	v_dual_cndmask_b32 v9, v3, v9 :: v_dual_cndmask_b32 v8, v1, v8
	v_and_b32_e32 v3, 31, v0
	s_cmp_eq_u32 s3, 1
	global_load_b32 v1, v[8:9], off
	s_wait_loadcnt 0x1
	v_subrev_nc_u32_e32 v0, s12, v10
	s_delay_alu instid0(VALU_DEP_1) | instskip(SKIP_2) | instid1(VALU_DEP_2)
	v_add_nc_u32_e32 v0, v0, v3
	s_wait_loadcnt 0x0
	v_subrev_nc_u32_e32 v20, s12, v1
	v_mad_co_i64_i32 v[8:9], null, 0x48, v0, s[10:11]
	s_delay_alu instid0(VALU_DEP_2)
	v_cmp_lt_i32_e64 s2, v0, v20
	s_cbranch_scc1 .LBB13_17
; %bb.12:
	v_dual_mov_b32 v14, 0 :: v_dual_mov_b32 v17, 0
	v_dual_mov_b32 v18, 0 :: v_dual_mov_b32 v15, 0
	;; [unrolled: 1-line block ×3, first 2 shown]
	s_and_saveexec_b32 s3, s2
	s_cbranch_execz .LBB13_16
; %bb.13:
	v_dual_mov_b32 v14, 0 :: v_dual_mov_b32 v13, v9
	v_dual_mov_b32 v10, v0 :: v_dual_mov_b32 v17, 0
	;; [unrolled: 1-line block ×4, first 2 shown]
	v_mov_b32_e32 v16, 0
	s_mov_b32 s6, 0
.LBB13_14:                              ; =>This Inner Loop Header: Depth=1
	v_ashrrev_i32_e32 v11, 31, v10
	s_delay_alu instid0(VALU_DEP_1) | instskip(NEXT) | instid1(VALU_DEP_1)
	v_lshlrev_b64_e32 v[21:22], 2, v[10:11]
	v_add_co_u32 v21, vcc_lo, s8, v21
	s_wait_alu 0xfffd
	s_delay_alu instid0(VALU_DEP_2)
	v_add_co_ci_u32_e64 v22, null, s9, v22, vcc_lo
	global_load_b32 v1, v[21:22], off
	s_clause 0x2
	global_load_b128 v[21:24], v[12:13], off offset:48
	global_load_b128 v[25:28], v[12:13], off offset:16
	global_load_b128 v[29:32], v[12:13], off
	s_wait_loadcnt 0x3
	v_subrev_nc_u32_e32 v1, s12, v1
	s_delay_alu instid0(VALU_DEP_1) | instskip(NEXT) | instid1(VALU_DEP_1)
	v_lshl_add_u32 v33, v1, 1, v1
	v_ashrrev_i32_e32 v34, 31, v33
	s_delay_alu instid0(VALU_DEP_1) | instskip(SKIP_1) | instid1(VALU_DEP_1)
	v_lshlrev_b64_e32 v[33:34], 3, v[33:34]
	s_wait_kmcnt 0x0
	v_add_co_u32 v37, vcc_lo, s4, v33
	s_wait_alu 0xfffd
	s_delay_alu instid0(VALU_DEP_2)
	v_add_co_ci_u32_e64 v38, null, s5, v34, vcc_lo
	s_clause 0x1
	global_load_b128 v[33:36], v[37:38], off
	global_load_b64 v[41:42], v[37:38], off offset:16
	s_clause 0x1
	global_load_b128 v[37:40], v[12:13], off offset:32
	global_load_b64 v[43:44], v[12:13], off offset:64
	v_add_nc_u32_e32 v10, 32, v10
	v_add_co_u32 v12, vcc_lo, 0x900, v12
	s_wait_alu 0xfffd
	v_add_co_ci_u32_e64 v13, null, 0, v13, vcc_lo
	s_wait_loadcnt 0x3
	v_fmac_f32_e32 v17, v29, v33
	v_fmac_f32_e32 v18, v21, v33
	v_cmp_ge_i32_e32 vcc_lo, v10, v20
	s_delay_alu instid0(VALU_DEP_3) | instskip(SKIP_1) | instid1(VALU_DEP_4)
	v_fma_f32 v1, -v30, v34, v17
	v_fmac_f32_e32 v16, v28, v33
	v_fma_f32 v17, -v22, v34, v18
	s_wait_alu 0xfffe
	s_or_b32 s6, vcc_lo, s6
	v_fmac_f32_e32 v1, v31, v35
	v_dual_fmac_f32 v15, v22, v33 :: v_dual_fmac_f32 v16, v27, v34
	v_dual_fmac_f32 v14, v30, v33 :: v_dual_fmac_f32 v17, v23, v35
	s_delay_alu instid0(VALU_DEP_3) | instskip(NEXT) | instid1(VALU_DEP_3)
	v_fma_f32 v1, -v32, v36, v1
	v_fmac_f32_e32 v15, v21, v34
	s_delay_alu instid0(VALU_DEP_3) | instskip(SKIP_1) | instid1(VALU_DEP_3)
	v_dual_fmac_f32 v19, v27, v33 :: v_dual_fmac_f32 v14, v29, v34
	s_wait_loadcnt 0x1
	v_dual_fmac_f32 v16, v38, v35 :: v_dual_fmac_f32 v1, v25, v41
	s_delay_alu instid0(VALU_DEP_3) | instskip(NEXT) | instid1(VALU_DEP_3)
	v_fmac_f32_e32 v15, v24, v35
	v_fma_f32 v11, -v28, v34, v19
	v_fma_f32 v18, -v24, v36, v17
	s_delay_alu instid0(VALU_DEP_4) | instskip(NEXT) | instid1(VALU_DEP_4)
	v_fmac_f32_e32 v16, v37, v36
	v_dual_fmac_f32 v14, v32, v35 :: v_dual_fmac_f32 v15, v23, v36
	s_wait_loadcnt 0x0
	s_delay_alu instid0(VALU_DEP_3) | instskip(NEXT) | instid1(VALU_DEP_3)
	v_dual_fmac_f32 v11, v37, v35 :: v_dual_fmac_f32 v18, v43, v41
	v_fmac_f32_e32 v16, v40, v41
	s_delay_alu instid0(VALU_DEP_3) | instskip(NEXT) | instid1(VALU_DEP_3)
	v_dual_fmac_f32 v14, v31, v36 :: v_dual_fmac_f32 v15, v44, v41
	v_fma_f32 v11, -v38, v36, v11
	v_fma_f32 v17, -v26, v42, v1
	s_delay_alu instid0(VALU_DEP_4) | instskip(NEXT) | instid1(VALU_DEP_4)
	v_fmac_f32_e32 v16, v39, v42
	v_dual_fmac_f32 v14, v26, v41 :: v_dual_fmac_f32 v15, v43, v42
	s_delay_alu instid0(VALU_DEP_4) | instskip(SKIP_1) | instid1(VALU_DEP_3)
	v_fmac_f32_e32 v11, v39, v41
	v_fma_f32 v18, -v44, v42, v18
	v_fmac_f32_e32 v14, v25, v42
	s_delay_alu instid0(VALU_DEP_3)
	v_fma_f32 v19, -v40, v42, v11
	s_wait_alu 0xfffe
	s_and_not1_b32 exec_lo, exec_lo, s6
	s_cbranch_execnz .LBB13_14
; %bb.15:
	s_or_b32 exec_lo, exec_lo, s6
.LBB13_16:
	s_wait_alu 0xfffe
	s_or_b32 exec_lo, exec_lo, s3
	s_cbranch_execz .LBB13_18
	s_branch .LBB13_23
.LBB13_17:
                                        ; implicit-def: $vgpr14
                                        ; implicit-def: $vgpr17
                                        ; implicit-def: $vgpr18
                                        ; implicit-def: $vgpr15
                                        ; implicit-def: $vgpr19
                                        ; implicit-def: $vgpr16
.LBB13_18:
	v_dual_mov_b32 v14, 0 :: v_dual_mov_b32 v17, 0
	v_dual_mov_b32 v18, 0 :: v_dual_mov_b32 v15, 0
	;; [unrolled: 1-line block ×3, first 2 shown]
	s_and_saveexec_b32 s3, s2
	s_cbranch_execz .LBB13_22
; %bb.19:
	v_dual_mov_b32 v14, 0 :: v_dual_mov_b32 v17, 0
	v_dual_mov_b32 v18, 0 :: v_dual_mov_b32 v15, 0
	;; [unrolled: 1-line block ×3, first 2 shown]
	s_mov_b32 s2, 0
.LBB13_20:                              ; =>This Inner Loop Header: Depth=1
	v_ashrrev_i32_e32 v1, 31, v0
	s_delay_alu instid0(VALU_DEP_1) | instskip(NEXT) | instid1(VALU_DEP_1)
	v_lshlrev_b64_e32 v[10:11], 2, v[0:1]
	v_add_co_u32 v10, vcc_lo, s8, v10
	s_wait_alu 0xfffd
	s_delay_alu instid0(VALU_DEP_2)
	v_add_co_ci_u32_e64 v11, null, s9, v11, vcc_lo
	global_load_b32 v1, v[10:11], off
	s_clause 0x1
	global_load_b128 v[10:13], v[8:9], off offset:16
	global_load_b128 v[21:24], v[8:9], off
	s_wait_loadcnt 0x2
	v_subrev_nc_u32_e32 v1, s12, v1
	s_delay_alu instid0(VALU_DEP_1) | instskip(NEXT) | instid1(VALU_DEP_1)
	v_lshl_add_u32 v25, v1, 1, v1
	v_ashrrev_i32_e32 v26, 31, v25
	s_delay_alu instid0(VALU_DEP_1) | instskip(SKIP_1) | instid1(VALU_DEP_1)
	v_lshlrev_b64_e32 v[25:26], 3, v[25:26]
	s_wait_kmcnt 0x0
	v_add_co_u32 v29, vcc_lo, s4, v25
	s_wait_alu 0xfffd
	s_delay_alu instid0(VALU_DEP_2)
	v_add_co_ci_u32_e64 v30, null, s5, v26, vcc_lo
	s_clause 0x1
	global_load_b128 v[25:28], v[29:30], off
	global_load_b64 v[37:38], v[29:30], off offset:16
	s_clause 0x2
	global_load_b128 v[29:32], v[8:9], off offset:32
	global_load_b128 v[33:36], v[8:9], off offset:48
	global_load_b64 v[39:40], v[8:9], off offset:64
	v_add_nc_u32_e32 v0, 32, v0
	v_add_co_u32 v8, vcc_lo, 0x900, v8
	s_wait_alu 0xfffd
	v_add_co_ci_u32_e64 v9, null, 0, v9, vcc_lo
	s_wait_loadcnt 0x4
	v_fmac_f32_e32 v17, v21, v25
	v_cmp_ge_i32_e32 vcc_lo, v0, v20
	s_delay_alu instid0(VALU_DEP_2) | instskip(SKIP_3) | instid1(VALU_DEP_2)
	v_fma_f32 v1, -v22, v26, v17
	v_fmac_f32_e32 v14, v22, v25
	s_wait_alu 0xfffe
	s_or_b32 s2, vcc_lo, s2
	v_fmac_f32_e32 v1, v12, v27
	s_delay_alu instid0(VALU_DEP_2) | instskip(SKIP_1) | instid1(VALU_DEP_3)
	v_dual_fmac_f32 v19, v23, v25 :: v_dual_fmac_f32 v14, v21, v26
	v_fmac_f32_e32 v15, v11, v25
	v_fma_f32 v1, -v13, v28, v1
	s_delay_alu instid0(VALU_DEP_3)
	v_fma_f32 v17, -v24, v26, v19
	v_fmac_f32_e32 v18, v10, v25
	v_fmac_f32_e32 v14, v13, v27
	v_dual_fmac_f32 v16, v24, v25 :: v_dual_fmac_f32 v15, v10, v26
	s_wait_loadcnt 0x2
	v_fmac_f32_e32 v17, v29, v27
	v_fma_f32 v11, -v11, v26, v18
	v_fmac_f32_e32 v14, v12, v28
	v_dual_fmac_f32 v16, v23, v26 :: v_dual_fmac_f32 v15, v32, v27
	s_delay_alu instid0(VALU_DEP_4) | instskip(NEXT) | instid1(VALU_DEP_4)
	v_fma_f32 v10, -v30, v28, v17
	v_fmac_f32_e32 v11, v31, v27
	s_delay_alu instid0(VALU_DEP_3) | instskip(SKIP_1) | instid1(VALU_DEP_3)
	v_dual_fmac_f32 v16, v30, v27 :: v_dual_fmac_f32 v15, v31, v28
	s_wait_loadcnt 0x1
	v_fmac_f32_e32 v10, v35, v37
	s_delay_alu instid0(VALU_DEP_3) | instskip(SKIP_3) | instid1(VALU_DEP_3)
	v_fma_f32 v11, -v32, v28, v11
	s_wait_loadcnt 0x0
	v_dual_fmac_f32 v16, v29, v28 :: v_dual_fmac_f32 v15, v40, v37
	v_fmac_f32_e32 v14, v34, v37
	v_fmac_f32_e32 v11, v39, v37
	v_fma_f32 v19, -v36, v38, v10
	s_delay_alu instid0(VALU_DEP_4)
	v_fmac_f32_e32 v16, v36, v37
	v_fmac_f32_e32 v1, v33, v37
	;; [unrolled: 1-line block ×4, first 2 shown]
	v_fma_f32 v18, -v40, v38, v11
	v_fmac_f32_e32 v16, v35, v38
	v_fma_f32 v17, -v34, v38, v1
	s_wait_alu 0xfffe
	s_and_not1_b32 exec_lo, exec_lo, s2
	s_cbranch_execnz .LBB13_20
; %bb.21:
	s_or_b32 exec_lo, exec_lo, s2
.LBB13_22:
	s_wait_alu 0xfffe
	s_or_b32 exec_lo, exec_lo, s3
.LBB13_23:
	v_mbcnt_lo_u32_b32 v0, -1, 0
	s_delay_alu instid0(VALU_DEP_1) | instskip(SKIP_1) | instid1(VALU_DEP_2)
	v_xor_b32_e32 v1, 16, v0
	v_xor_b32_e32 v13, 8, v0
	v_cmp_gt_i32_e32 vcc_lo, 32, v1
	s_wait_alu 0xfffd
	v_cndmask_b32_e32 v1, v0, v1, vcc_lo
	s_delay_alu instid0(VALU_DEP_3) | instskip(NEXT) | instid1(VALU_DEP_2)
	v_cmp_gt_i32_e32 vcc_lo, 32, v13
	v_lshlrev_b32_e32 v1, 2, v1
	ds_bpermute_b32 v10, v1, v19
	s_wait_dscnt 0x0
	v_add_f32_e32 v10, v19, v10
	ds_bpermute_b32 v8, v1, v17
	ds_bpermute_b32 v12, v1, v18
	;; [unrolled: 1-line block ×3, first 2 shown]
	s_wait_alu 0xfffd
	v_cndmask_b32_e32 v13, v0, v13, vcc_lo
	ds_bpermute_b32 v11, v1, v16
	ds_bpermute_b32 v1, v1, v15
	v_xor_b32_e32 v19, 4, v0
	s_delay_alu instid0(VALU_DEP_1)
	v_cmp_gt_i32_e32 vcc_lo, 32, v19
	s_wait_dscnt 0x4
	s_wait_alu 0xfffd
	v_dual_cndmask_b32 v19, v0, v19 :: v_dual_add_f32 v8, v17, v8
	s_wait_dscnt 0x3
	v_dual_add_f32 v12, v18, v12 :: v_dual_lshlrev_b32 v13, 2, v13
	s_wait_dscnt 0x2
	v_add_f32_e32 v9, v14, v9
	s_wait_dscnt 0x1
	v_add_f32_e32 v11, v16, v11
	ds_bpermute_b32 v14, v13, v8
	s_wait_dscnt 0x0
	v_add_f32_e32 v8, v8, v14
	ds_bpermute_b32 v16, v13, v10
	ds_bpermute_b32 v18, v13, v12
	s_wait_dscnt 0x1
	v_dual_add_f32 v10, v10, v16 :: v_dual_lshlrev_b32 v19, 2, v19
	s_wait_dscnt 0x0
	v_dual_add_f32 v1, v15, v1 :: v_dual_add_f32 v12, v12, v18
	ds_bpermute_b32 v15, v13, v9
	ds_bpermute_b32 v17, v13, v11
	s_wait_dscnt 0x1
	v_add_f32_e32 v9, v9, v15
	ds_bpermute_b32 v15, v19, v10
	s_wait_dscnt 0x0
	v_dual_add_f32 v11, v11, v17 :: v_dual_add_f32 v10, v10, v15
	ds_bpermute_b32 v13, v13, v1
	s_wait_dscnt 0x0
	v_add_f32_e32 v1, v1, v13
	ds_bpermute_b32 v13, v19, v8
	s_wait_dscnt 0x0
	v_add_f32_e32 v8, v8, v13
	ds_bpermute_b32 v17, v19, v12
	ds_bpermute_b32 v16, v19, v11
	;; [unrolled: 1-line block ×3, first 2 shown]
	s_wait_dscnt 0x2
	v_add_f32_e32 v12, v12, v17
	ds_bpermute_b32 v14, v19, v9
	v_xor_b32_e32 v19, 2, v0
	s_wait_dscnt 0x2
	v_add_f32_e32 v11, v11, v16
	s_wait_dscnt 0x1
	v_add_f32_e32 v13, v1, v18
	v_cmp_gt_i32_e32 vcc_lo, 32, v19
	s_wait_alu 0xfffd
	v_cndmask_b32_e32 v19, v0, v19, vcc_lo
	s_delay_alu instid0(VALU_DEP_1)
	v_lshlrev_b32_e32 v19, 2, v19
	ds_bpermute_b32 v17, v19, v12
	s_wait_dscnt 0x1
	v_add_f32_e32 v9, v9, v14
	ds_bpermute_b32 v1, v19, v8
	ds_bpermute_b32 v15, v19, v10
	;; [unrolled: 1-line block ×5, first 2 shown]
	v_xor_b32_e32 v19, 1, v0
	s_delay_alu instid0(VALU_DEP_1) | instskip(SKIP_4) | instid1(VALU_DEP_2)
	v_cmp_gt_i32_e32 vcc_lo, 32, v19
	s_wait_alu 0xfffd
	v_cndmask_b32_e32 v0, v0, v19, vcc_lo
	v_cmp_eq_u32_e32 vcc_lo, 31, v3
	s_wait_dscnt 0x4
	v_dual_add_f32 v0, v8, v1 :: v_dual_lshlrev_b32 v19, 2, v0
	s_wait_dscnt 0x3
	v_add_f32_e32 v8, v10, v15
	s_wait_dscnt 0x0
	v_dual_add_f32 v10, v12, v17 :: v_dual_add_f32 v1, v9, v14
	v_add_f32_e32 v9, v11, v16
	v_add_f32_e32 v11, v13, v18
	ds_bpermute_b32 v12, v19, v0
	ds_bpermute_b32 v14, v19, v8
	;; [unrolled: 1-line block ×6, first 2 shown]
	s_and_b32 exec_lo, exec_lo, vcc_lo
	s_cbranch_execz .LBB13_8
; %bb.24:
	s_wait_dscnt 0x3
	v_dual_add_f32 v12, v0, v12 :: v_dual_add_f32 v1, v1, v13
	s_load_b64 s[2:3], s[0:1], 0x50
	s_wait_dscnt 0x1
	v_dual_add_f32 v13, v8, v14 :: v_dual_add_f32 v14, v10, v16
	v_lshl_add_u32 v10, v2, 1, v2
	v_mul_f32_e64 v0, v1, -v7
	v_add_f32_e32 v3, v9, v15
	s_wait_dscnt 0x0
	v_add_f32_e32 v9, v11, v17
	v_mul_f32_e32 v1, v6, v1
	v_cmp_eq_f32_e32 vcc_lo, 0, v4
	v_fmac_f32_e32 v0, v6, v12
	v_mul_f32_e64 v2, v3, -v7
	v_mul_f32_e64 v8, v9, -v7
	v_mul_f32_e32 v3, v6, v3
	v_cmp_eq_f32_e64 s0, 0, v5
	s_delay_alu instid0(VALU_DEP_4) | instskip(NEXT) | instid1(VALU_DEP_4)
	v_dual_fmac_f32 v1, v7, v12 :: v_dual_fmac_f32 v2, v6, v13
	v_fmac_f32_e32 v8, v6, v14
	v_mul_f32_e32 v9, v6, v9
	v_ashrrev_i32_e32 v11, 31, v10
	v_fmac_f32_e32 v3, v7, v13
	s_and_b32 s0, vcc_lo, s0
	s_delay_alu instid0(VALU_DEP_3)
	v_fmac_f32_e32 v9, v7, v14
	s_wait_alu 0xfffe
	s_and_saveexec_b32 s1, s0
	s_wait_alu 0xfffe
	s_xor_b32 s0, exec_lo, s1
	s_cbranch_execz .LBB13_26
; %bb.25:
	v_lshlrev_b64_e32 v[4:5], 3, v[10:11]
                                        ; implicit-def: $vgpr10
	s_wait_kmcnt 0x0
	s_delay_alu instid0(VALU_DEP_1) | instskip(SKIP_1) | instid1(VALU_DEP_2)
	v_add_co_u32 v4, vcc_lo, s2, v4
	s_wait_alu 0xfffd
	v_add_co_ci_u32_e64 v5, null, s3, v5, vcc_lo
	s_clause 0x1
	global_store_b128 v[4:5], v[0:3], off
	global_store_b64 v[4:5], v[8:9], off offset:16
                                        ; implicit-def: $vgpr4_vgpr5
                                        ; implicit-def: $vgpr0
                                        ; implicit-def: $vgpr8
.LBB13_26:
	s_wait_alu 0xfffe
	s_and_not1_saveexec_b32 s0, s0
	s_cbranch_execz .LBB13_8
; %bb.27:
	v_lshlrev_b64_e32 v[6:7], 3, v[10:11]
	s_wait_kmcnt 0x0
	s_delay_alu instid0(VALU_DEP_1) | instskip(SKIP_1) | instid1(VALU_DEP_2)
	v_add_co_u32 v6, vcc_lo, s2, v6
	s_wait_alu 0xfffd
	v_add_co_ci_u32_e64 v7, null, s3, v7, vcc_lo
	s_clause 0x1
	global_load_b128 v[10:13], v[6:7], off
	global_load_b64 v[14:15], v[6:7], off offset:16
	s_wait_loadcnt 0x1
	v_dual_fmac_f32 v0, v4, v10 :: v_dual_fmac_f32 v3, v5, v12
	v_dual_fmac_f32 v1, v5, v10 :: v_dual_fmac_f32 v2, v4, v12
	s_wait_loadcnt 0x0
	v_fmac_f32_e32 v8, v4, v14
	v_fmac_f32_e32 v9, v5, v14
	v_fma_f32 v0, -v5, v11, v0
	v_fmac_f32_e32 v1, v4, v11
	v_fma_f32 v2, -v5, v13, v2
	;; [unrolled: 2-line block ×3, first 2 shown]
	v_fmac_f32_e32 v9, v4, v15
	s_clause 0x1
	global_store_b128 v[6:7], v[0:3], off
	global_store_b64 v[6:7], v[8:9], off offset:16
	s_endpgm
	.section	.rodata,"a",@progbits
	.p2align	6, 0x0
	.amdhsa_kernel _ZN9rocsparseL18bsrxmvn_3x3_kernelILj256ELj32E21rocsparse_complex_numIfEiiS2_S2_S2_EEvT3_20rocsparse_direction_NS_24const_host_device_scalarIT1_EES3_PKS3_PKT2_SC_S9_PKT4_PKT5_S7_PT6_21rocsparse_index_base_b
		.amdhsa_group_segment_fixed_size 0
		.amdhsa_private_segment_fixed_size 0
		.amdhsa_kernarg_size 96
		.amdhsa_user_sgpr_count 2
		.amdhsa_user_sgpr_dispatch_ptr 0
		.amdhsa_user_sgpr_queue_ptr 0
		.amdhsa_user_sgpr_kernarg_segment_ptr 1
		.amdhsa_user_sgpr_dispatch_id 0
		.amdhsa_user_sgpr_private_segment_size 0
		.amdhsa_wavefront_size32 1
		.amdhsa_uses_dynamic_stack 0
		.amdhsa_enable_private_segment 0
		.amdhsa_system_sgpr_workgroup_id_x 1
		.amdhsa_system_sgpr_workgroup_id_y 0
		.amdhsa_system_sgpr_workgroup_id_z 0
		.amdhsa_system_sgpr_workgroup_info 0
		.amdhsa_system_vgpr_workitem_id 0
		.amdhsa_next_free_vgpr 45
		.amdhsa_next_free_sgpr 14
		.amdhsa_reserve_vcc 1
		.amdhsa_float_round_mode_32 0
		.amdhsa_float_round_mode_16_64 0
		.amdhsa_float_denorm_mode_32 3
		.amdhsa_float_denorm_mode_16_64 3
		.amdhsa_fp16_overflow 0
		.amdhsa_workgroup_processor_mode 1
		.amdhsa_memory_ordered 1
		.amdhsa_forward_progress 1
		.amdhsa_inst_pref_size 21
		.amdhsa_round_robin_scheduling 0
		.amdhsa_exception_fp_ieee_invalid_op 0
		.amdhsa_exception_fp_denorm_src 0
		.amdhsa_exception_fp_ieee_div_zero 0
		.amdhsa_exception_fp_ieee_overflow 0
		.amdhsa_exception_fp_ieee_underflow 0
		.amdhsa_exception_fp_ieee_inexact 0
		.amdhsa_exception_int_div_zero 0
	.end_amdhsa_kernel
	.section	.text._ZN9rocsparseL18bsrxmvn_3x3_kernelILj256ELj32E21rocsparse_complex_numIfEiiS2_S2_S2_EEvT3_20rocsparse_direction_NS_24const_host_device_scalarIT1_EES3_PKS3_PKT2_SC_S9_PKT4_PKT5_S7_PT6_21rocsparse_index_base_b,"axG",@progbits,_ZN9rocsparseL18bsrxmvn_3x3_kernelILj256ELj32E21rocsparse_complex_numIfEiiS2_S2_S2_EEvT3_20rocsparse_direction_NS_24const_host_device_scalarIT1_EES3_PKS3_PKT2_SC_S9_PKT4_PKT5_S7_PT6_21rocsparse_index_base_b,comdat
.Lfunc_end13:
	.size	_ZN9rocsparseL18bsrxmvn_3x3_kernelILj256ELj32E21rocsparse_complex_numIfEiiS2_S2_S2_EEvT3_20rocsparse_direction_NS_24const_host_device_scalarIT1_EES3_PKS3_PKT2_SC_S9_PKT4_PKT5_S7_PT6_21rocsparse_index_base_b, .Lfunc_end13-_ZN9rocsparseL18bsrxmvn_3x3_kernelILj256ELj32E21rocsparse_complex_numIfEiiS2_S2_S2_EEvT3_20rocsparse_direction_NS_24const_host_device_scalarIT1_EES3_PKS3_PKT2_SC_S9_PKT4_PKT5_S7_PT6_21rocsparse_index_base_b
                                        ; -- End function
	.set _ZN9rocsparseL18bsrxmvn_3x3_kernelILj256ELj32E21rocsparse_complex_numIfEiiS2_S2_S2_EEvT3_20rocsparse_direction_NS_24const_host_device_scalarIT1_EES3_PKS3_PKT2_SC_S9_PKT4_PKT5_S7_PT6_21rocsparse_index_base_b.num_vgpr, 45
	.set _ZN9rocsparseL18bsrxmvn_3x3_kernelILj256ELj32E21rocsparse_complex_numIfEiiS2_S2_S2_EEvT3_20rocsparse_direction_NS_24const_host_device_scalarIT1_EES3_PKS3_PKT2_SC_S9_PKT4_PKT5_S7_PT6_21rocsparse_index_base_b.num_agpr, 0
	.set _ZN9rocsparseL18bsrxmvn_3x3_kernelILj256ELj32E21rocsparse_complex_numIfEiiS2_S2_S2_EEvT3_20rocsparse_direction_NS_24const_host_device_scalarIT1_EES3_PKS3_PKT2_SC_S9_PKT4_PKT5_S7_PT6_21rocsparse_index_base_b.numbered_sgpr, 14
	.set _ZN9rocsparseL18bsrxmvn_3x3_kernelILj256ELj32E21rocsparse_complex_numIfEiiS2_S2_S2_EEvT3_20rocsparse_direction_NS_24const_host_device_scalarIT1_EES3_PKS3_PKT2_SC_S9_PKT4_PKT5_S7_PT6_21rocsparse_index_base_b.num_named_barrier, 0
	.set _ZN9rocsparseL18bsrxmvn_3x3_kernelILj256ELj32E21rocsparse_complex_numIfEiiS2_S2_S2_EEvT3_20rocsparse_direction_NS_24const_host_device_scalarIT1_EES3_PKS3_PKT2_SC_S9_PKT4_PKT5_S7_PT6_21rocsparse_index_base_b.private_seg_size, 0
	.set _ZN9rocsparseL18bsrxmvn_3x3_kernelILj256ELj32E21rocsparse_complex_numIfEiiS2_S2_S2_EEvT3_20rocsparse_direction_NS_24const_host_device_scalarIT1_EES3_PKS3_PKT2_SC_S9_PKT4_PKT5_S7_PT6_21rocsparse_index_base_b.uses_vcc, 1
	.set _ZN9rocsparseL18bsrxmvn_3x3_kernelILj256ELj32E21rocsparse_complex_numIfEiiS2_S2_S2_EEvT3_20rocsparse_direction_NS_24const_host_device_scalarIT1_EES3_PKS3_PKT2_SC_S9_PKT4_PKT5_S7_PT6_21rocsparse_index_base_b.uses_flat_scratch, 0
	.set _ZN9rocsparseL18bsrxmvn_3x3_kernelILj256ELj32E21rocsparse_complex_numIfEiiS2_S2_S2_EEvT3_20rocsparse_direction_NS_24const_host_device_scalarIT1_EES3_PKS3_PKT2_SC_S9_PKT4_PKT5_S7_PT6_21rocsparse_index_base_b.has_dyn_sized_stack, 0
	.set _ZN9rocsparseL18bsrxmvn_3x3_kernelILj256ELj32E21rocsparse_complex_numIfEiiS2_S2_S2_EEvT3_20rocsparse_direction_NS_24const_host_device_scalarIT1_EES3_PKS3_PKT2_SC_S9_PKT4_PKT5_S7_PT6_21rocsparse_index_base_b.has_recursion, 0
	.set _ZN9rocsparseL18bsrxmvn_3x3_kernelILj256ELj32E21rocsparse_complex_numIfEiiS2_S2_S2_EEvT3_20rocsparse_direction_NS_24const_host_device_scalarIT1_EES3_PKS3_PKT2_SC_S9_PKT4_PKT5_S7_PT6_21rocsparse_index_base_b.has_indirect_call, 0
	.section	.AMDGPU.csdata,"",@progbits
; Kernel info:
; codeLenInByte = 2688
; TotalNumSgprs: 16
; NumVgprs: 45
; ScratchSize: 0
; MemoryBound: 0
; FloatMode: 240
; IeeeMode: 1
; LDSByteSize: 0 bytes/workgroup (compile time only)
; SGPRBlocks: 0
; VGPRBlocks: 5
; NumSGPRsForWavesPerEU: 16
; NumVGPRsForWavesPerEU: 45
; Occupancy: 16
; WaveLimiterHint : 1
; COMPUTE_PGM_RSRC2:SCRATCH_EN: 0
; COMPUTE_PGM_RSRC2:USER_SGPR: 2
; COMPUTE_PGM_RSRC2:TRAP_HANDLER: 0
; COMPUTE_PGM_RSRC2:TGID_X_EN: 1
; COMPUTE_PGM_RSRC2:TGID_Y_EN: 0
; COMPUTE_PGM_RSRC2:TGID_Z_EN: 0
; COMPUTE_PGM_RSRC2:TIDIG_COMP_CNT: 0
	.section	.text._ZN9rocsparseL18bsrxmvn_3x3_kernelILj256ELj64E21rocsparse_complex_numIfEiiS2_S2_S2_EEvT3_20rocsparse_direction_NS_24const_host_device_scalarIT1_EES3_PKS3_PKT2_SC_S9_PKT4_PKT5_S7_PT6_21rocsparse_index_base_b,"axG",@progbits,_ZN9rocsparseL18bsrxmvn_3x3_kernelILj256ELj64E21rocsparse_complex_numIfEiiS2_S2_S2_EEvT3_20rocsparse_direction_NS_24const_host_device_scalarIT1_EES3_PKS3_PKT2_SC_S9_PKT4_PKT5_S7_PT6_21rocsparse_index_base_b,comdat
	.globl	_ZN9rocsparseL18bsrxmvn_3x3_kernelILj256ELj64E21rocsparse_complex_numIfEiiS2_S2_S2_EEvT3_20rocsparse_direction_NS_24const_host_device_scalarIT1_EES3_PKS3_PKT2_SC_S9_PKT4_PKT5_S7_PT6_21rocsparse_index_base_b ; -- Begin function _ZN9rocsparseL18bsrxmvn_3x3_kernelILj256ELj64E21rocsparse_complex_numIfEiiS2_S2_S2_EEvT3_20rocsparse_direction_NS_24const_host_device_scalarIT1_EES3_PKS3_PKT2_SC_S9_PKT4_PKT5_S7_PT6_21rocsparse_index_base_b
	.p2align	8
	.type	_ZN9rocsparseL18bsrxmvn_3x3_kernelILj256ELj64E21rocsparse_complex_numIfEiiS2_S2_S2_EEvT3_20rocsparse_direction_NS_24const_host_device_scalarIT1_EES3_PKS3_PKT2_SC_S9_PKT4_PKT5_S7_PT6_21rocsparse_index_base_b,@function
_ZN9rocsparseL18bsrxmvn_3x3_kernelILj256ELj64E21rocsparse_complex_numIfEiiS2_S2_S2_EEvT3_20rocsparse_direction_NS_24const_host_device_scalarIT1_EES3_PKS3_PKT2_SC_S9_PKT4_PKT5_S7_PT6_21rocsparse_index_base_b: ; @_ZN9rocsparseL18bsrxmvn_3x3_kernelILj256ELj64E21rocsparse_complex_numIfEiiS2_S2_S2_EEvT3_20rocsparse_direction_NS_24const_host_device_scalarIT1_EES3_PKS3_PKT2_SC_S9_PKT4_PKT5_S7_PT6_21rocsparse_index_base_b
; %bb.0:
	s_clause 0x2
	s_load_b64 s[12:13], s[0:1], 0x58
	s_load_b64 s[2:3], s[0:1], 0x8
	;; [unrolled: 1-line block ×3, first 2 shown]
	s_add_nc_u64 s[6:7], s[0:1], 8
	s_wait_kmcnt 0x0
	s_bitcmp1_b32 s13, 0
	s_cselect_b32 s2, s6, s2
	s_cselect_b32 s3, s7, s3
	s_delay_alu instid0(SALU_CYCLE_1)
	v_dual_mov_b32 v1, s2 :: v_dual_mov_b32 v2, s3
	s_add_nc_u64 s[2:3], s[0:1], 0x48
	s_wait_alu 0xfffe
	s_cselect_b32 s2, s2, s4
	s_cselect_b32 s3, s3, s5
	flat_load_b64 v[6:7], v[1:2]
	s_wait_alu 0xfffe
	v_dual_mov_b32 v1, s2 :: v_dual_mov_b32 v2, s3
	flat_load_b64 v[4:5], v[1:2]
	s_wait_loadcnt_dscnt 0x101
	v_cmp_eq_f32_e32 vcc_lo, 0, v6
	v_cmp_eq_f32_e64 s2, 0, v7
	s_and_b32 s4, vcc_lo, s2
	s_mov_b32 s2, -1
	s_and_saveexec_b32 s3, s4
	s_cbranch_execz .LBB14_2
; %bb.1:
	s_wait_loadcnt_dscnt 0x0
	v_cmp_neq_f32_e32 vcc_lo, 1.0, v4
	v_cmp_neq_f32_e64 s2, 0, v5
	s_wait_alu 0xfffe
	s_or_b32 s2, vcc_lo, s2
	s_wait_alu 0xfffe
	s_or_not1_b32 s2, s2, exec_lo
.LBB14_2:
	s_wait_alu 0xfffe
	s_or_b32 exec_lo, exec_lo, s3
	s_and_saveexec_b32 s3, s2
	s_cbranch_execz .LBB14_8
; %bb.3:
	s_clause 0x1
	s_load_b64 s[4:5], s[0:1], 0x18
	s_load_b64 s[2:3], s[0:1], 0x0
	v_lshrrev_b32_e32 v1, 6, v0
	s_delay_alu instid0(VALU_DEP_1)
	v_lshl_or_b32 v2, ttmp9, 2, v1
	s_wait_kmcnt 0x0
	s_cmp_lg_u64 s[4:5], 0
	s_cbranch_scc0 .LBB14_9
; %bb.4:
	s_load_b32 s6, s[0:1], 0x10
	s_mov_b32 s7, 0
                                        ; implicit-def: $vgpr1
	s_wait_kmcnt 0x0
	v_cmp_gt_i32_e32 vcc_lo, s6, v2
	s_mov_b32 s6, 0
	s_and_saveexec_b32 s8, vcc_lo
	s_delay_alu instid0(SALU_CYCLE_1)
	s_xor_b32 s8, exec_lo, s8
	s_cbranch_execz .LBB14_6
; %bb.5:
	v_ashrrev_i32_e32 v3, 31, v2
	s_mov_b32 s6, exec_lo
	s_delay_alu instid0(VALU_DEP_1) | instskip(NEXT) | instid1(VALU_DEP_1)
	v_lshlrev_b64_e32 v[8:9], 2, v[2:3]
	v_add_co_u32 v8, vcc_lo, s4, v8
	s_delay_alu instid0(VALU_DEP_1)
	v_add_co_ci_u32_e64 v9, null, s5, v9, vcc_lo
	global_load_b32 v1, v[8:9], off
	s_wait_loadcnt 0x0
	v_subrev_nc_u32_e32 v1, s12, v1
.LBB14_6:
	s_or_b32 exec_lo, exec_lo, s8
	s_delay_alu instid0(SALU_CYCLE_1)
	s_and_b32 vcc_lo, exec_lo, s7
	s_wait_alu 0xfffe
	s_cbranch_vccz .LBB14_10
.LBB14_7:
	v_cmp_gt_i32_e32 vcc_lo, s2, v2
	s_and_not1_b32 s2, s6, exec_lo
	s_and_b32 s4, vcc_lo, exec_lo
	s_wait_alu 0xfffe
	s_or_b32 s6, s2, s4
	s_wait_alu 0xfffe
	s_and_b32 exec_lo, exec_lo, s6
	s_cbranch_execnz .LBB14_11
.LBB14_8:
	s_endpgm
.LBB14_9:
	s_mov_b32 s6, 0
                                        ; implicit-def: $vgpr1
	s_cbranch_execnz .LBB14_7
.LBB14_10:
	v_mov_b32_e32 v2, v1
	s_and_b32 exec_lo, exec_lo, s6
	s_cbranch_execz .LBB14_8
.LBB14_11:
	s_load_b256 s[4:11], s[0:1], 0x20
	s_delay_alu instid0(VALU_DEP_1) | instskip(NEXT) | instid1(VALU_DEP_1)
	v_ashrrev_i32_e32 v3, 31, v2
	v_lshlrev_b64_e32 v[8:9], 2, v[2:3]
	s_wait_kmcnt 0x0
	s_delay_alu instid0(VALU_DEP_1) | instskip(SKIP_1) | instid1(VALU_DEP_2)
	v_add_co_u32 v10, vcc_lo, s4, v8
	s_wait_alu 0xfffd
	v_add_co_ci_u32_e64 v11, null, s5, v9, vcc_lo
	v_add_co_u32 v1, vcc_lo, s6, v8
	s_wait_alu 0xfffd
	v_add_co_ci_u32_e64 v3, null, s7, v9, vcc_lo
	;; [unrolled: 3-line block ×3, first 2 shown]
	s_cmp_eq_u64 s[6:7], 0
	global_load_b32 v10, v[10:11], off
	s_cselect_b32 vcc_lo, -1, 0
	s_load_b64 s[4:5], s[0:1], 0x40
	v_dual_cndmask_b32 v9, v3, v9 :: v_dual_cndmask_b32 v8, v1, v8
	v_and_b32_e32 v3, 63, v0
	s_cmp_eq_u32 s3, 1
	global_load_b32 v1, v[8:9], off
	s_wait_loadcnt 0x1
	v_subrev_nc_u32_e32 v0, s12, v10
	s_delay_alu instid0(VALU_DEP_1) | instskip(SKIP_2) | instid1(VALU_DEP_2)
	v_add_nc_u32_e32 v0, v0, v3
	s_wait_loadcnt 0x0
	v_subrev_nc_u32_e32 v20, s12, v1
	v_mad_co_i64_i32 v[8:9], null, 0x48, v0, s[10:11]
	s_delay_alu instid0(VALU_DEP_2)
	v_cmp_lt_i32_e64 s2, v0, v20
	s_cbranch_scc1 .LBB14_17
; %bb.12:
	v_dual_mov_b32 v14, 0 :: v_dual_mov_b32 v17, 0
	v_dual_mov_b32 v18, 0 :: v_dual_mov_b32 v15, 0
	;; [unrolled: 1-line block ×3, first 2 shown]
	s_and_saveexec_b32 s3, s2
	s_cbranch_execz .LBB14_16
; %bb.13:
	v_dual_mov_b32 v14, 0 :: v_dual_mov_b32 v13, v9
	v_dual_mov_b32 v10, v0 :: v_dual_mov_b32 v17, 0
	;; [unrolled: 1-line block ×4, first 2 shown]
	v_mov_b32_e32 v16, 0
	s_mov_b32 s6, 0
.LBB14_14:                              ; =>This Inner Loop Header: Depth=1
	v_ashrrev_i32_e32 v11, 31, v10
	s_delay_alu instid0(VALU_DEP_1) | instskip(NEXT) | instid1(VALU_DEP_1)
	v_lshlrev_b64_e32 v[21:22], 2, v[10:11]
	v_add_co_u32 v21, vcc_lo, s8, v21
	s_wait_alu 0xfffd
	s_delay_alu instid0(VALU_DEP_2)
	v_add_co_ci_u32_e64 v22, null, s9, v22, vcc_lo
	global_load_b32 v1, v[21:22], off
	s_clause 0x2
	global_load_b128 v[21:24], v[12:13], off offset:48
	global_load_b128 v[25:28], v[12:13], off offset:16
	global_load_b128 v[29:32], v[12:13], off
	s_wait_loadcnt 0x3
	v_subrev_nc_u32_e32 v1, s12, v1
	s_delay_alu instid0(VALU_DEP_1) | instskip(NEXT) | instid1(VALU_DEP_1)
	v_lshl_add_u32 v33, v1, 1, v1
	v_ashrrev_i32_e32 v34, 31, v33
	s_delay_alu instid0(VALU_DEP_1) | instskip(SKIP_1) | instid1(VALU_DEP_1)
	v_lshlrev_b64_e32 v[33:34], 3, v[33:34]
	s_wait_kmcnt 0x0
	v_add_co_u32 v37, vcc_lo, s4, v33
	s_wait_alu 0xfffd
	s_delay_alu instid0(VALU_DEP_2)
	v_add_co_ci_u32_e64 v38, null, s5, v34, vcc_lo
	s_clause 0x1
	global_load_b128 v[33:36], v[37:38], off
	global_load_b64 v[41:42], v[37:38], off offset:16
	s_clause 0x1
	global_load_b128 v[37:40], v[12:13], off offset:32
	global_load_b64 v[43:44], v[12:13], off offset:64
	v_add_nc_u32_e32 v10, 64, v10
	v_add_co_u32 v12, vcc_lo, 0x1200, v12
	s_wait_alu 0xfffd
	v_add_co_ci_u32_e64 v13, null, 0, v13, vcc_lo
	s_wait_loadcnt 0x3
	v_fmac_f32_e32 v17, v29, v33
	v_fmac_f32_e32 v18, v21, v33
	v_cmp_ge_i32_e32 vcc_lo, v10, v20
	s_delay_alu instid0(VALU_DEP_3) | instskip(SKIP_1) | instid1(VALU_DEP_4)
	v_fma_f32 v1, -v30, v34, v17
	v_fmac_f32_e32 v16, v28, v33
	v_fma_f32 v17, -v22, v34, v18
	s_wait_alu 0xfffe
	s_or_b32 s6, vcc_lo, s6
	v_fmac_f32_e32 v1, v31, v35
	v_dual_fmac_f32 v15, v22, v33 :: v_dual_fmac_f32 v16, v27, v34
	v_dual_fmac_f32 v14, v30, v33 :: v_dual_fmac_f32 v17, v23, v35
	s_delay_alu instid0(VALU_DEP_3) | instskip(NEXT) | instid1(VALU_DEP_3)
	v_fma_f32 v1, -v32, v36, v1
	v_fmac_f32_e32 v15, v21, v34
	s_delay_alu instid0(VALU_DEP_3) | instskip(SKIP_1) | instid1(VALU_DEP_3)
	v_dual_fmac_f32 v19, v27, v33 :: v_dual_fmac_f32 v14, v29, v34
	s_wait_loadcnt 0x1
	v_dual_fmac_f32 v16, v38, v35 :: v_dual_fmac_f32 v1, v25, v41
	s_delay_alu instid0(VALU_DEP_3) | instskip(NEXT) | instid1(VALU_DEP_3)
	v_fmac_f32_e32 v15, v24, v35
	v_fma_f32 v11, -v28, v34, v19
	v_fma_f32 v18, -v24, v36, v17
	s_delay_alu instid0(VALU_DEP_4) | instskip(NEXT) | instid1(VALU_DEP_4)
	v_fmac_f32_e32 v16, v37, v36
	v_dual_fmac_f32 v14, v32, v35 :: v_dual_fmac_f32 v15, v23, v36
	s_wait_loadcnt 0x0
	s_delay_alu instid0(VALU_DEP_3) | instskip(NEXT) | instid1(VALU_DEP_3)
	v_dual_fmac_f32 v11, v37, v35 :: v_dual_fmac_f32 v18, v43, v41
	v_fmac_f32_e32 v16, v40, v41
	s_delay_alu instid0(VALU_DEP_3) | instskip(NEXT) | instid1(VALU_DEP_3)
	v_dual_fmac_f32 v14, v31, v36 :: v_dual_fmac_f32 v15, v44, v41
	v_fma_f32 v11, -v38, v36, v11
	v_fma_f32 v17, -v26, v42, v1
	s_delay_alu instid0(VALU_DEP_4) | instskip(NEXT) | instid1(VALU_DEP_4)
	v_fmac_f32_e32 v16, v39, v42
	v_dual_fmac_f32 v14, v26, v41 :: v_dual_fmac_f32 v15, v43, v42
	s_delay_alu instid0(VALU_DEP_4) | instskip(SKIP_1) | instid1(VALU_DEP_3)
	v_fmac_f32_e32 v11, v39, v41
	v_fma_f32 v18, -v44, v42, v18
	v_fmac_f32_e32 v14, v25, v42
	s_delay_alu instid0(VALU_DEP_3)
	v_fma_f32 v19, -v40, v42, v11
	s_wait_alu 0xfffe
	s_and_not1_b32 exec_lo, exec_lo, s6
	s_cbranch_execnz .LBB14_14
; %bb.15:
	s_or_b32 exec_lo, exec_lo, s6
.LBB14_16:
	s_wait_alu 0xfffe
	s_or_b32 exec_lo, exec_lo, s3
	s_cbranch_execz .LBB14_18
	s_branch .LBB14_23
.LBB14_17:
                                        ; implicit-def: $vgpr14
                                        ; implicit-def: $vgpr17
                                        ; implicit-def: $vgpr18
                                        ; implicit-def: $vgpr15
                                        ; implicit-def: $vgpr19
                                        ; implicit-def: $vgpr16
.LBB14_18:
	v_dual_mov_b32 v14, 0 :: v_dual_mov_b32 v17, 0
	v_dual_mov_b32 v18, 0 :: v_dual_mov_b32 v15, 0
	;; [unrolled: 1-line block ×3, first 2 shown]
	s_and_saveexec_b32 s3, s2
	s_cbranch_execz .LBB14_22
; %bb.19:
	v_dual_mov_b32 v14, 0 :: v_dual_mov_b32 v17, 0
	v_dual_mov_b32 v18, 0 :: v_dual_mov_b32 v15, 0
	;; [unrolled: 1-line block ×3, first 2 shown]
	s_mov_b32 s2, 0
.LBB14_20:                              ; =>This Inner Loop Header: Depth=1
	v_ashrrev_i32_e32 v1, 31, v0
	s_delay_alu instid0(VALU_DEP_1) | instskip(NEXT) | instid1(VALU_DEP_1)
	v_lshlrev_b64_e32 v[10:11], 2, v[0:1]
	v_add_co_u32 v10, vcc_lo, s8, v10
	s_wait_alu 0xfffd
	s_delay_alu instid0(VALU_DEP_2)
	v_add_co_ci_u32_e64 v11, null, s9, v11, vcc_lo
	global_load_b32 v1, v[10:11], off
	s_clause 0x1
	global_load_b128 v[10:13], v[8:9], off offset:16
	global_load_b128 v[21:24], v[8:9], off
	s_wait_loadcnt 0x2
	v_subrev_nc_u32_e32 v1, s12, v1
	s_delay_alu instid0(VALU_DEP_1) | instskip(NEXT) | instid1(VALU_DEP_1)
	v_lshl_add_u32 v25, v1, 1, v1
	v_ashrrev_i32_e32 v26, 31, v25
	s_delay_alu instid0(VALU_DEP_1) | instskip(SKIP_1) | instid1(VALU_DEP_1)
	v_lshlrev_b64_e32 v[25:26], 3, v[25:26]
	s_wait_kmcnt 0x0
	v_add_co_u32 v29, vcc_lo, s4, v25
	s_wait_alu 0xfffd
	s_delay_alu instid0(VALU_DEP_2)
	v_add_co_ci_u32_e64 v30, null, s5, v26, vcc_lo
	s_clause 0x1
	global_load_b128 v[25:28], v[29:30], off
	global_load_b64 v[37:38], v[29:30], off offset:16
	s_clause 0x2
	global_load_b128 v[29:32], v[8:9], off offset:32
	global_load_b128 v[33:36], v[8:9], off offset:48
	global_load_b64 v[39:40], v[8:9], off offset:64
	v_add_nc_u32_e32 v0, 64, v0
	v_add_co_u32 v8, vcc_lo, 0x1200, v8
	s_wait_alu 0xfffd
	v_add_co_ci_u32_e64 v9, null, 0, v9, vcc_lo
	s_wait_loadcnt 0x4
	v_fmac_f32_e32 v17, v21, v25
	v_cmp_ge_i32_e32 vcc_lo, v0, v20
	s_delay_alu instid0(VALU_DEP_2) | instskip(SKIP_3) | instid1(VALU_DEP_2)
	v_fma_f32 v1, -v22, v26, v17
	v_fmac_f32_e32 v14, v22, v25
	s_wait_alu 0xfffe
	s_or_b32 s2, vcc_lo, s2
	v_fmac_f32_e32 v1, v12, v27
	s_delay_alu instid0(VALU_DEP_2) | instskip(SKIP_1) | instid1(VALU_DEP_3)
	v_dual_fmac_f32 v19, v23, v25 :: v_dual_fmac_f32 v14, v21, v26
	v_fmac_f32_e32 v15, v11, v25
	v_fma_f32 v1, -v13, v28, v1
	s_delay_alu instid0(VALU_DEP_3)
	v_fma_f32 v17, -v24, v26, v19
	v_fmac_f32_e32 v18, v10, v25
	v_fmac_f32_e32 v14, v13, v27
	v_dual_fmac_f32 v16, v24, v25 :: v_dual_fmac_f32 v15, v10, v26
	s_wait_loadcnt 0x2
	v_fmac_f32_e32 v17, v29, v27
	v_fma_f32 v11, -v11, v26, v18
	v_fmac_f32_e32 v14, v12, v28
	v_dual_fmac_f32 v16, v23, v26 :: v_dual_fmac_f32 v15, v32, v27
	s_delay_alu instid0(VALU_DEP_4) | instskip(NEXT) | instid1(VALU_DEP_4)
	v_fma_f32 v10, -v30, v28, v17
	v_fmac_f32_e32 v11, v31, v27
	s_delay_alu instid0(VALU_DEP_3) | instskip(SKIP_1) | instid1(VALU_DEP_3)
	v_dual_fmac_f32 v16, v30, v27 :: v_dual_fmac_f32 v15, v31, v28
	s_wait_loadcnt 0x1
	v_fmac_f32_e32 v10, v35, v37
	s_delay_alu instid0(VALU_DEP_3) | instskip(SKIP_3) | instid1(VALU_DEP_3)
	v_fma_f32 v11, -v32, v28, v11
	s_wait_loadcnt 0x0
	v_dual_fmac_f32 v16, v29, v28 :: v_dual_fmac_f32 v15, v40, v37
	v_fmac_f32_e32 v14, v34, v37
	v_fmac_f32_e32 v11, v39, v37
	v_fma_f32 v19, -v36, v38, v10
	s_delay_alu instid0(VALU_DEP_4)
	v_fmac_f32_e32 v16, v36, v37
	v_fmac_f32_e32 v1, v33, v37
	;; [unrolled: 1-line block ×4, first 2 shown]
	v_fma_f32 v18, -v40, v38, v11
	v_fmac_f32_e32 v16, v35, v38
	v_fma_f32 v17, -v34, v38, v1
	s_wait_alu 0xfffe
	s_and_not1_b32 exec_lo, exec_lo, s2
	s_cbranch_execnz .LBB14_20
; %bb.21:
	s_or_b32 exec_lo, exec_lo, s2
.LBB14_22:
	s_wait_alu 0xfffe
	s_or_b32 exec_lo, exec_lo, s3
.LBB14_23:
	v_mbcnt_lo_u32_b32 v0, -1, 0
	s_delay_alu instid0(VALU_DEP_1) | instskip(SKIP_1) | instid1(VALU_DEP_2)
	v_or_b32_e32 v1, 32, v0
	v_xor_b32_e32 v13, 16, v0
	v_cmp_gt_i32_e32 vcc_lo, 32, v1
	s_wait_alu 0xfffd
	v_cndmask_b32_e32 v1, v0, v1, vcc_lo
	s_delay_alu instid0(VALU_DEP_3) | instskip(NEXT) | instid1(VALU_DEP_2)
	v_cmp_gt_i32_e32 vcc_lo, 32, v13
	v_lshlrev_b32_e32 v1, 2, v1
	ds_bpermute_b32 v10, v1, v19
	s_wait_dscnt 0x0
	v_add_f32_e32 v10, v19, v10
	ds_bpermute_b32 v8, v1, v17
	ds_bpermute_b32 v12, v1, v18
	;; [unrolled: 1-line block ×3, first 2 shown]
	s_wait_alu 0xfffd
	v_cndmask_b32_e32 v13, v0, v13, vcc_lo
	ds_bpermute_b32 v11, v1, v16
	ds_bpermute_b32 v1, v1, v15
	v_xor_b32_e32 v19, 8, v0
	s_delay_alu instid0(VALU_DEP_1)
	v_cmp_gt_i32_e32 vcc_lo, 32, v19
	s_wait_dscnt 0x4
	s_wait_alu 0xfffd
	v_dual_cndmask_b32 v19, v0, v19 :: v_dual_add_f32 v8, v17, v8
	s_wait_dscnt 0x3
	v_dual_add_f32 v12, v18, v12 :: v_dual_lshlrev_b32 v13, 2, v13
	s_wait_dscnt 0x2
	v_add_f32_e32 v9, v14, v9
	s_wait_dscnt 0x1
	v_add_f32_e32 v11, v16, v11
	ds_bpermute_b32 v14, v13, v8
	s_wait_dscnt 0x0
	v_add_f32_e32 v8, v8, v14
	ds_bpermute_b32 v16, v13, v10
	ds_bpermute_b32 v18, v13, v12
	s_wait_dscnt 0x1
	v_dual_add_f32 v10, v10, v16 :: v_dual_lshlrev_b32 v19, 2, v19
	s_wait_dscnt 0x0
	v_dual_add_f32 v1, v15, v1 :: v_dual_add_f32 v12, v12, v18
	ds_bpermute_b32 v15, v13, v9
	ds_bpermute_b32 v17, v13, v11
	s_wait_dscnt 0x1
	v_add_f32_e32 v9, v9, v15
	ds_bpermute_b32 v15, v19, v10
	s_wait_dscnt 0x0
	v_add_f32_e32 v10, v10, v15
	ds_bpermute_b32 v13, v13, v1
	v_add_f32_e32 v11, v11, v17
	s_wait_dscnt 0x0
	v_add_f32_e32 v1, v1, v13
	ds_bpermute_b32 v13, v19, v8
	s_wait_dscnt 0x0
	v_add_f32_e32 v8, v8, v13
	ds_bpermute_b32 v17, v19, v12
	ds_bpermute_b32 v16, v19, v11
	ds_bpermute_b32 v18, v19, v1
	s_wait_dscnt 0x2
	v_add_f32_e32 v12, v12, v17
	ds_bpermute_b32 v14, v19, v9
	v_xor_b32_e32 v19, 4, v0
	s_delay_alu instid0(VALU_DEP_1) | instskip(SKIP_2) | instid1(VALU_DEP_1)
	v_cmp_gt_i32_e32 vcc_lo, 32, v19
	s_wait_alu 0xfffd
	v_cndmask_b32_e32 v19, v0, v19, vcc_lo
	v_lshlrev_b32_e32 v19, 2, v19
	ds_bpermute_b32 v13, v19, v8
	s_wait_dscnt 0x0
	v_add_f32_e32 v8, v8, v13
	ds_bpermute_b32 v15, v19, v10
	ds_bpermute_b32 v17, v19, v12
	s_wait_dscnt 0x1
	v_dual_add_f32 v9, v9, v14 :: v_dual_add_f32 v10, v10, v15
	v_add_f32_e32 v11, v11, v16
	s_wait_dscnt 0x0
	v_dual_add_f32 v1, v1, v18 :: v_dual_add_f32 v12, v12, v17
	ds_bpermute_b32 v14, v19, v9
	ds_bpermute_b32 v16, v19, v11
	;; [unrolled: 1-line block ×3, first 2 shown]
	v_xor_b32_e32 v19, 2, v0
	s_delay_alu instid0(VALU_DEP_1) | instskip(SKIP_2) | instid1(VALU_DEP_1)
	v_cmp_gt_i32_e32 vcc_lo, 32, v19
	s_wait_alu 0xfffd
	v_cndmask_b32_e32 v19, v0, v19, vcc_lo
	v_lshlrev_b32_e32 v19, 2, v19
	s_wait_dscnt 0x2
	v_add_f32_e32 v9, v9, v14
	s_wait_dscnt 0x1
	v_add_f32_e32 v11, v11, v16
	;; [unrolled: 2-line block ×3, first 2 shown]
	ds_bpermute_b32 v1, v19, v8
	ds_bpermute_b32 v14, v19, v9
	;; [unrolled: 1-line block ×6, first 2 shown]
	v_xor_b32_e32 v19, 1, v0
	s_delay_alu instid0(VALU_DEP_1) | instskip(SKIP_4) | instid1(VALU_DEP_2)
	v_cmp_gt_i32_e32 vcc_lo, 32, v19
	s_wait_alu 0xfffd
	v_cndmask_b32_e32 v0, v0, v19, vcc_lo
	v_cmp_eq_u32_e32 vcc_lo, 63, v3
	s_wait_dscnt 0x5
	v_dual_add_f32 v0, v8, v1 :: v_dual_lshlrev_b32 v19, 2, v0
	s_wait_dscnt 0x3
	v_dual_add_f32 v1, v9, v14 :: v_dual_add_f32 v8, v10, v15
	s_wait_dscnt 0x1
	v_dual_add_f32 v9, v11, v16 :: v_dual_add_f32 v10, v12, v17
	s_wait_dscnt 0x0
	v_add_f32_e32 v11, v13, v18
	ds_bpermute_b32 v12, v19, v0
	ds_bpermute_b32 v13, v19, v1
	ds_bpermute_b32 v14, v19, v8
	ds_bpermute_b32 v15, v19, v9
	ds_bpermute_b32 v16, v19, v10
	ds_bpermute_b32 v17, v19, v11
	s_and_b32 exec_lo, exec_lo, vcc_lo
	s_cbranch_execz .LBB14_8
; %bb.24:
	s_wait_dscnt 0x4
	v_dual_add_f32 v12, v0, v12 :: v_dual_add_f32 v1, v1, v13
	s_load_b64 s[2:3], s[0:1], 0x50
	s_wait_dscnt 0x1
	v_dual_add_f32 v13, v8, v14 :: v_dual_add_f32 v14, v10, v16
	v_lshl_add_u32 v10, v2, 1, v2
	v_mul_f32_e64 v0, v1, -v7
	v_add_f32_e32 v3, v9, v15
	s_wait_dscnt 0x0
	v_add_f32_e32 v9, v11, v17
	v_mul_f32_e32 v1, v6, v1
	v_cmp_eq_f32_e32 vcc_lo, 0, v4
	v_fmac_f32_e32 v0, v6, v12
	v_mul_f32_e64 v2, v3, -v7
	v_mul_f32_e64 v8, v9, -v7
	v_mul_f32_e32 v3, v6, v3
	v_cmp_eq_f32_e64 s0, 0, v5
	s_delay_alu instid0(VALU_DEP_4) | instskip(NEXT) | instid1(VALU_DEP_4)
	v_dual_fmac_f32 v1, v7, v12 :: v_dual_fmac_f32 v2, v6, v13
	v_fmac_f32_e32 v8, v6, v14
	v_mul_f32_e32 v9, v6, v9
	v_ashrrev_i32_e32 v11, 31, v10
	v_fmac_f32_e32 v3, v7, v13
	s_and_b32 s0, vcc_lo, s0
	s_delay_alu instid0(VALU_DEP_3)
	v_fmac_f32_e32 v9, v7, v14
	s_wait_alu 0xfffe
	s_and_saveexec_b32 s1, s0
	s_wait_alu 0xfffe
	s_xor_b32 s0, exec_lo, s1
	s_cbranch_execz .LBB14_26
; %bb.25:
	v_lshlrev_b64_e32 v[4:5], 3, v[10:11]
                                        ; implicit-def: $vgpr10
	s_wait_kmcnt 0x0
	s_delay_alu instid0(VALU_DEP_1) | instskip(SKIP_1) | instid1(VALU_DEP_2)
	v_add_co_u32 v4, vcc_lo, s2, v4
	s_wait_alu 0xfffd
	v_add_co_ci_u32_e64 v5, null, s3, v5, vcc_lo
	s_clause 0x1
	global_store_b128 v[4:5], v[0:3], off
	global_store_b64 v[4:5], v[8:9], off offset:16
                                        ; implicit-def: $vgpr4_vgpr5
                                        ; implicit-def: $vgpr0
                                        ; implicit-def: $vgpr8
.LBB14_26:
	s_wait_alu 0xfffe
	s_and_not1_saveexec_b32 s0, s0
	s_cbranch_execz .LBB14_8
; %bb.27:
	v_lshlrev_b64_e32 v[6:7], 3, v[10:11]
	s_wait_kmcnt 0x0
	s_delay_alu instid0(VALU_DEP_1) | instskip(SKIP_1) | instid1(VALU_DEP_2)
	v_add_co_u32 v6, vcc_lo, s2, v6
	s_wait_alu 0xfffd
	v_add_co_ci_u32_e64 v7, null, s3, v7, vcc_lo
	s_clause 0x1
	global_load_b128 v[10:13], v[6:7], off
	global_load_b64 v[14:15], v[6:7], off offset:16
	s_wait_loadcnt 0x1
	v_dual_fmac_f32 v0, v4, v10 :: v_dual_fmac_f32 v3, v5, v12
	v_dual_fmac_f32 v1, v5, v10 :: v_dual_fmac_f32 v2, v4, v12
	s_wait_loadcnt 0x0
	v_fmac_f32_e32 v8, v4, v14
	v_fmac_f32_e32 v9, v5, v14
	v_fma_f32 v0, -v5, v11, v0
	v_fmac_f32_e32 v1, v4, v11
	v_fma_f32 v2, -v5, v13, v2
	;; [unrolled: 2-line block ×3, first 2 shown]
	v_fmac_f32_e32 v9, v4, v15
	s_clause 0x1
	global_store_b128 v[6:7], v[0:3], off
	global_store_b64 v[6:7], v[8:9], off offset:16
	s_endpgm
	.section	.rodata,"a",@progbits
	.p2align	6, 0x0
	.amdhsa_kernel _ZN9rocsparseL18bsrxmvn_3x3_kernelILj256ELj64E21rocsparse_complex_numIfEiiS2_S2_S2_EEvT3_20rocsparse_direction_NS_24const_host_device_scalarIT1_EES3_PKS3_PKT2_SC_S9_PKT4_PKT5_S7_PT6_21rocsparse_index_base_b
		.amdhsa_group_segment_fixed_size 0
		.amdhsa_private_segment_fixed_size 0
		.amdhsa_kernarg_size 96
		.amdhsa_user_sgpr_count 2
		.amdhsa_user_sgpr_dispatch_ptr 0
		.amdhsa_user_sgpr_queue_ptr 0
		.amdhsa_user_sgpr_kernarg_segment_ptr 1
		.amdhsa_user_sgpr_dispatch_id 0
		.amdhsa_user_sgpr_private_segment_size 0
		.amdhsa_wavefront_size32 1
		.amdhsa_uses_dynamic_stack 0
		.amdhsa_enable_private_segment 0
		.amdhsa_system_sgpr_workgroup_id_x 1
		.amdhsa_system_sgpr_workgroup_id_y 0
		.amdhsa_system_sgpr_workgroup_id_z 0
		.amdhsa_system_sgpr_workgroup_info 0
		.amdhsa_system_vgpr_workitem_id 0
		.amdhsa_next_free_vgpr 45
		.amdhsa_next_free_sgpr 14
		.amdhsa_reserve_vcc 1
		.amdhsa_float_round_mode_32 0
		.amdhsa_float_round_mode_16_64 0
		.amdhsa_float_denorm_mode_32 3
		.amdhsa_float_denorm_mode_16_64 3
		.amdhsa_fp16_overflow 0
		.amdhsa_workgroup_processor_mode 1
		.amdhsa_memory_ordered 1
		.amdhsa_forward_progress 1
		.amdhsa_inst_pref_size 22
		.amdhsa_round_robin_scheduling 0
		.amdhsa_exception_fp_ieee_invalid_op 0
		.amdhsa_exception_fp_denorm_src 0
		.amdhsa_exception_fp_ieee_div_zero 0
		.amdhsa_exception_fp_ieee_overflow 0
		.amdhsa_exception_fp_ieee_underflow 0
		.amdhsa_exception_fp_ieee_inexact 0
		.amdhsa_exception_int_div_zero 0
	.end_amdhsa_kernel
	.section	.text._ZN9rocsparseL18bsrxmvn_3x3_kernelILj256ELj64E21rocsparse_complex_numIfEiiS2_S2_S2_EEvT3_20rocsparse_direction_NS_24const_host_device_scalarIT1_EES3_PKS3_PKT2_SC_S9_PKT4_PKT5_S7_PT6_21rocsparse_index_base_b,"axG",@progbits,_ZN9rocsparseL18bsrxmvn_3x3_kernelILj256ELj64E21rocsparse_complex_numIfEiiS2_S2_S2_EEvT3_20rocsparse_direction_NS_24const_host_device_scalarIT1_EES3_PKS3_PKT2_SC_S9_PKT4_PKT5_S7_PT6_21rocsparse_index_base_b,comdat
.Lfunc_end14:
	.size	_ZN9rocsparseL18bsrxmvn_3x3_kernelILj256ELj64E21rocsparse_complex_numIfEiiS2_S2_S2_EEvT3_20rocsparse_direction_NS_24const_host_device_scalarIT1_EES3_PKS3_PKT2_SC_S9_PKT4_PKT5_S7_PT6_21rocsparse_index_base_b, .Lfunc_end14-_ZN9rocsparseL18bsrxmvn_3x3_kernelILj256ELj64E21rocsparse_complex_numIfEiiS2_S2_S2_EEvT3_20rocsparse_direction_NS_24const_host_device_scalarIT1_EES3_PKS3_PKT2_SC_S9_PKT4_PKT5_S7_PT6_21rocsparse_index_base_b
                                        ; -- End function
	.set _ZN9rocsparseL18bsrxmvn_3x3_kernelILj256ELj64E21rocsparse_complex_numIfEiiS2_S2_S2_EEvT3_20rocsparse_direction_NS_24const_host_device_scalarIT1_EES3_PKS3_PKT2_SC_S9_PKT4_PKT5_S7_PT6_21rocsparse_index_base_b.num_vgpr, 45
	.set _ZN9rocsparseL18bsrxmvn_3x3_kernelILj256ELj64E21rocsparse_complex_numIfEiiS2_S2_S2_EEvT3_20rocsparse_direction_NS_24const_host_device_scalarIT1_EES3_PKS3_PKT2_SC_S9_PKT4_PKT5_S7_PT6_21rocsparse_index_base_b.num_agpr, 0
	.set _ZN9rocsparseL18bsrxmvn_3x3_kernelILj256ELj64E21rocsparse_complex_numIfEiiS2_S2_S2_EEvT3_20rocsparse_direction_NS_24const_host_device_scalarIT1_EES3_PKS3_PKT2_SC_S9_PKT4_PKT5_S7_PT6_21rocsparse_index_base_b.numbered_sgpr, 14
	.set _ZN9rocsparseL18bsrxmvn_3x3_kernelILj256ELj64E21rocsparse_complex_numIfEiiS2_S2_S2_EEvT3_20rocsparse_direction_NS_24const_host_device_scalarIT1_EES3_PKS3_PKT2_SC_S9_PKT4_PKT5_S7_PT6_21rocsparse_index_base_b.num_named_barrier, 0
	.set _ZN9rocsparseL18bsrxmvn_3x3_kernelILj256ELj64E21rocsparse_complex_numIfEiiS2_S2_S2_EEvT3_20rocsparse_direction_NS_24const_host_device_scalarIT1_EES3_PKS3_PKT2_SC_S9_PKT4_PKT5_S7_PT6_21rocsparse_index_base_b.private_seg_size, 0
	.set _ZN9rocsparseL18bsrxmvn_3x3_kernelILj256ELj64E21rocsparse_complex_numIfEiiS2_S2_S2_EEvT3_20rocsparse_direction_NS_24const_host_device_scalarIT1_EES3_PKS3_PKT2_SC_S9_PKT4_PKT5_S7_PT6_21rocsparse_index_base_b.uses_vcc, 1
	.set _ZN9rocsparseL18bsrxmvn_3x3_kernelILj256ELj64E21rocsparse_complex_numIfEiiS2_S2_S2_EEvT3_20rocsparse_direction_NS_24const_host_device_scalarIT1_EES3_PKS3_PKT2_SC_S9_PKT4_PKT5_S7_PT6_21rocsparse_index_base_b.uses_flat_scratch, 0
	.set _ZN9rocsparseL18bsrxmvn_3x3_kernelILj256ELj64E21rocsparse_complex_numIfEiiS2_S2_S2_EEvT3_20rocsparse_direction_NS_24const_host_device_scalarIT1_EES3_PKS3_PKT2_SC_S9_PKT4_PKT5_S7_PT6_21rocsparse_index_base_b.has_dyn_sized_stack, 0
	.set _ZN9rocsparseL18bsrxmvn_3x3_kernelILj256ELj64E21rocsparse_complex_numIfEiiS2_S2_S2_EEvT3_20rocsparse_direction_NS_24const_host_device_scalarIT1_EES3_PKS3_PKT2_SC_S9_PKT4_PKT5_S7_PT6_21rocsparse_index_base_b.has_recursion, 0
	.set _ZN9rocsparseL18bsrxmvn_3x3_kernelILj256ELj64E21rocsparse_complex_numIfEiiS2_S2_S2_EEvT3_20rocsparse_direction_NS_24const_host_device_scalarIT1_EES3_PKS3_PKT2_SC_S9_PKT4_PKT5_S7_PT6_21rocsparse_index_base_b.has_indirect_call, 0
	.section	.AMDGPU.csdata,"",@progbits
; Kernel info:
; codeLenInByte = 2800
; TotalNumSgprs: 16
; NumVgprs: 45
; ScratchSize: 0
; MemoryBound: 0
; FloatMode: 240
; IeeeMode: 1
; LDSByteSize: 0 bytes/workgroup (compile time only)
; SGPRBlocks: 0
; VGPRBlocks: 5
; NumSGPRsForWavesPerEU: 16
; NumVGPRsForWavesPerEU: 45
; Occupancy: 16
; WaveLimiterHint : 1
; COMPUTE_PGM_RSRC2:SCRATCH_EN: 0
; COMPUTE_PGM_RSRC2:USER_SGPR: 2
; COMPUTE_PGM_RSRC2:TRAP_HANDLER: 0
; COMPUTE_PGM_RSRC2:TGID_X_EN: 1
; COMPUTE_PGM_RSRC2:TGID_Y_EN: 0
; COMPUTE_PGM_RSRC2:TGID_Z_EN: 0
; COMPUTE_PGM_RSRC2:TIDIG_COMP_CNT: 0
	.section	.text._ZN9rocsparseL18bsrxmvn_3x3_kernelILj256ELj4E21rocsparse_complex_numIdEiiS2_S2_S2_EEvT3_20rocsparse_direction_NS_24const_host_device_scalarIT1_EES3_PKS3_PKT2_SC_S9_PKT4_PKT5_S7_PT6_21rocsparse_index_base_b,"axG",@progbits,_ZN9rocsparseL18bsrxmvn_3x3_kernelILj256ELj4E21rocsparse_complex_numIdEiiS2_S2_S2_EEvT3_20rocsparse_direction_NS_24const_host_device_scalarIT1_EES3_PKS3_PKT2_SC_S9_PKT4_PKT5_S7_PT6_21rocsparse_index_base_b,comdat
	.globl	_ZN9rocsparseL18bsrxmvn_3x3_kernelILj256ELj4E21rocsparse_complex_numIdEiiS2_S2_S2_EEvT3_20rocsparse_direction_NS_24const_host_device_scalarIT1_EES3_PKS3_PKT2_SC_S9_PKT4_PKT5_S7_PT6_21rocsparse_index_base_b ; -- Begin function _ZN9rocsparseL18bsrxmvn_3x3_kernelILj256ELj4E21rocsparse_complex_numIdEiiS2_S2_S2_EEvT3_20rocsparse_direction_NS_24const_host_device_scalarIT1_EES3_PKS3_PKT2_SC_S9_PKT4_PKT5_S7_PT6_21rocsparse_index_base_b
	.p2align	8
	.type	_ZN9rocsparseL18bsrxmvn_3x3_kernelILj256ELj4E21rocsparse_complex_numIdEiiS2_S2_S2_EEvT3_20rocsparse_direction_NS_24const_host_device_scalarIT1_EES3_PKS3_PKT2_SC_S9_PKT4_PKT5_S7_PT6_21rocsparse_index_base_b,@function
_ZN9rocsparseL18bsrxmvn_3x3_kernelILj256ELj4E21rocsparse_complex_numIdEiiS2_S2_S2_EEvT3_20rocsparse_direction_NS_24const_host_device_scalarIT1_EES3_PKS3_PKT2_SC_S9_PKT4_PKT5_S7_PT6_21rocsparse_index_base_b: ; @_ZN9rocsparseL18bsrxmvn_3x3_kernelILj256ELj4E21rocsparse_complex_numIdEiiS2_S2_S2_EEvT3_20rocsparse_direction_NS_24const_host_device_scalarIT1_EES3_PKS3_PKT2_SC_S9_PKT4_PKT5_S7_PT6_21rocsparse_index_base_b
; %bb.0:
	s_clause 0x1
	s_load_b64 s[12:13], s[0:1], 0x68
	s_load_b64 s[2:3], s[0:1], 0x8
	s_add_nc_u64 s[4:5], s[0:1], 8
	s_load_b64 s[6:7], s[0:1], 0x50
	s_wait_kmcnt 0x0
	s_bitcmp1_b32 s13, 0
	s_cselect_b32 s2, s4, s2
	s_cselect_b32 s3, s5, s3
	s_delay_alu instid0(SALU_CYCLE_1)
	v_dual_mov_b32 v1, s2 :: v_dual_mov_b32 v2, s3
	s_add_nc_u64 s[2:3], s[0:1], 0x50
	s_wait_alu 0xfffe
	s_cselect_b32 s2, s2, s6
	s_cselect_b32 s3, s3, s7
	flat_load_b128 v[5:8], v[1:2]
	s_wait_alu 0xfffe
	v_dual_mov_b32 v1, s2 :: v_dual_mov_b32 v2, s3
	flat_load_b128 v[1:4], v[1:2]
	s_wait_loadcnt_dscnt 0x101
	v_cmp_eq_f64_e32 vcc_lo, 0, v[5:6]
	v_cmp_eq_f64_e64 s2, 0, v[7:8]
	s_and_b32 s4, vcc_lo, s2
	s_mov_b32 s2, -1
	s_and_saveexec_b32 s3, s4
	s_cbranch_execz .LBB15_2
; %bb.1:
	s_wait_loadcnt_dscnt 0x0
	v_cmp_neq_f64_e32 vcc_lo, 1.0, v[1:2]
	v_cmp_neq_f64_e64 s2, 0, v[3:4]
	s_wait_alu 0xfffe
	s_or_b32 s2, vcc_lo, s2
	s_wait_alu 0xfffe
	s_or_not1_b32 s2, s2, exec_lo
.LBB15_2:
	s_wait_alu 0xfffe
	s_or_b32 exec_lo, exec_lo, s3
	s_and_saveexec_b32 s3, s2
	s_cbranch_execz .LBB15_8
; %bb.3:
	s_clause 0x1
	s_load_b64 s[4:5], s[0:1], 0x20
	s_load_b64 s[2:3], s[0:1], 0x0
	v_lshrrev_b32_e32 v9, 2, v0
	s_delay_alu instid0(VALU_DEP_1)
	v_lshl_or_b32 v17, ttmp9, 6, v9
	s_wait_kmcnt 0x0
	s_cmp_lg_u64 s[4:5], 0
	s_cbranch_scc0 .LBB15_9
; %bb.4:
	s_load_b32 s6, s[0:1], 0x18
	s_mov_b32 s7, 0
                                        ; implicit-def: $vgpr9
	s_wait_kmcnt 0x0
	v_cmp_gt_i32_e32 vcc_lo, s6, v17
	s_mov_b32 s6, 0
	s_and_saveexec_b32 s8, vcc_lo
	s_delay_alu instid0(SALU_CYCLE_1)
	s_xor_b32 s8, exec_lo, s8
	s_cbranch_execz .LBB15_6
; %bb.5:
	v_ashrrev_i32_e32 v18, 31, v17
	s_mov_b32 s6, exec_lo
	s_delay_alu instid0(VALU_DEP_1) | instskip(NEXT) | instid1(VALU_DEP_1)
	v_lshlrev_b64_e32 v[9:10], 2, v[17:18]
	v_add_co_u32 v9, vcc_lo, s4, v9
	s_delay_alu instid0(VALU_DEP_1)
	v_add_co_ci_u32_e64 v10, null, s5, v10, vcc_lo
	global_load_b32 v9, v[9:10], off
	s_wait_loadcnt 0x0
	v_subrev_nc_u32_e32 v9, s12, v9
.LBB15_6:
	s_or_b32 exec_lo, exec_lo, s8
	s_delay_alu instid0(SALU_CYCLE_1)
	s_and_b32 vcc_lo, exec_lo, s7
	s_wait_alu 0xfffe
	s_cbranch_vccz .LBB15_10
.LBB15_7:
	v_cmp_gt_i32_e32 vcc_lo, s2, v17
	s_and_not1_b32 s2, s6, exec_lo
	s_and_b32 s4, vcc_lo, exec_lo
	s_wait_alu 0xfffe
	s_or_b32 s6, s2, s4
	s_wait_alu 0xfffe
	s_and_b32 exec_lo, exec_lo, s6
	s_cbranch_execnz .LBB15_11
.LBB15_8:
	s_endpgm
.LBB15_9:
	s_mov_b32 s6, 0
                                        ; implicit-def: $vgpr9
	s_cbranch_execnz .LBB15_7
.LBB15_10:
	v_mov_b32_e32 v17, v9
	s_and_b32 exec_lo, exec_lo, s6
	s_cbranch_execz .LBB15_8
.LBB15_11:
	s_load_b256 s[4:11], s[0:1], 0x28
	s_delay_alu instid0(VALU_DEP_1) | instskip(SKIP_1) | instid1(VALU_DEP_2)
	v_ashrrev_i32_e32 v18, 31, v17
	v_and_b32_e32 v0, 3, v0
	v_lshlrev_b64_e32 v[9:10], 2, v[17:18]
	s_wait_kmcnt 0x0
	s_delay_alu instid0(VALU_DEP_1) | instskip(SKIP_1) | instid1(VALU_DEP_2)
	v_add_co_u32 v11, vcc_lo, s4, v9
	s_wait_alu 0xfffd
	v_add_co_ci_u32_e64 v12, null, s5, v10, vcc_lo
	v_add_co_u32 v9, vcc_lo, s6, v9
	s_wait_alu 0xfffd
	v_add_co_ci_u32_e64 v10, null, s7, v10, vcc_lo
	v_add_co_u32 v13, vcc_lo, v11, 4
	s_wait_alu 0xfffd
	v_add_co_ci_u32_e64 v14, null, 0, v12, vcc_lo
	s_cmp_eq_u64 s[6:7], 0
	global_load_b32 v11, v[11:12], off
	s_cselect_b32 vcc_lo, -1, 0
	s_load_b64 s[4:5], s[0:1], 0x48
	v_dual_cndmask_b32 v10, v10, v14 :: v_dual_cndmask_b32 v9, v9, v13
	s_cmp_eq_u32 s3, 1
	global_load_b32 v10, v[9:10], off
	s_wait_loadcnt 0x1
	v_subrev_nc_u32_e32 v9, s12, v11
	s_delay_alu instid0(VALU_DEP_1) | instskip(SKIP_2) | instid1(VALU_DEP_2)
	v_add_nc_u32_e32 v9, v9, v0
	s_wait_loadcnt 0x0
	v_subrev_nc_u32_e32 v30, s12, v10
	v_mad_co_i64_i32 v[11:12], null, 0x90, v9, s[10:11]
	s_delay_alu instid0(VALU_DEP_2)
	v_cmp_lt_i32_e64 s2, v9, v30
	s_cbranch_scc1 .LBB15_17
; %bb.12:
	v_dual_mov_b32 v13, 0 :: v_dual_mov_b32 v18, 0
	v_mov_b32_e32 v22, 0
	v_dual_mov_b32 v14, 0 :: v_dual_mov_b32 v15, 0
	v_dual_mov_b32 v19, 0 :: v_dual_mov_b32 v20, 0
	;; [unrolled: 1-line block ×4, first 2 shown]
	v_mov_b32_e32 v25, 0
	s_and_saveexec_b32 s6, s2
	s_cbranch_execz .LBB15_16
; %bb.13:
	v_dual_mov_b32 v13, 0 :: v_dual_mov_b32 v26, v9
	v_dual_mov_b32 v14, 0 :: v_dual_mov_b32 v15, 0
	v_mov_b32_e32 v18, 0
	v_mov_b32_e32 v20, 0
	;; [unrolled: 1-line block ×3, first 2 shown]
	v_dual_mov_b32 v24, 0 :: v_dual_mov_b32 v29, v12
	v_dual_mov_b32 v16, 0 :: v_dual_mov_b32 v19, 0
	v_mov_b32_e32 v21, 0
	v_mov_b32_e32 v23, 0
	v_dual_mov_b32 v25, 0 :: v_dual_mov_b32 v28, v11
	s_mov_b32 s7, 0
.LBB15_14:                              ; =>This Inner Loop Header: Depth=1
	v_ashrrev_i32_e32 v27, 31, v26
	s_delay_alu instid0(VALU_DEP_1) | instskip(SKIP_1) | instid1(VALU_DEP_2)
	v_lshlrev_b64_e32 v[31:32], 2, v[26:27]
	v_add_nc_u32_e32 v26, 4, v26
	v_add_co_u32 v31, vcc_lo, s8, v31
	s_wait_alu 0xfffd
	s_delay_alu instid0(VALU_DEP_3)
	v_add_co_ci_u32_e64 v32, null, s9, v32, vcc_lo
	global_load_b32 v10, v[31:32], off
	s_clause 0x4
	global_load_b128 v[31:34], v[28:29], off offset:48
	global_load_b128 v[35:38], v[28:29], off offset:16
	global_load_b128 v[39:42], v[28:29], off
	global_load_b128 v[43:46], v[28:29], off offset:112
	global_load_b128 v[47:50], v[28:29], off offset:96
	s_wait_loadcnt 0x5
	v_subrev_nc_u32_e32 v10, s12, v10
	s_delay_alu instid0(VALU_DEP_1) | instskip(NEXT) | instid1(VALU_DEP_1)
	v_lshl_add_u32 v51, v10, 1, v10
	v_ashrrev_i32_e32 v52, 31, v51
	s_delay_alu instid0(VALU_DEP_1) | instskip(SKIP_1) | instid1(VALU_DEP_1)
	v_lshlrev_b64_e32 v[51:52], 4, v[51:52]
	s_wait_kmcnt 0x0
	v_add_co_u32 v75, vcc_lo, s4, v51
	s_wait_alu 0xfffd
	s_delay_alu instid0(VALU_DEP_2)
	v_add_co_ci_u32_e64 v76, null, s5, v52, vcc_lo
	v_cmp_ge_i32_e32 vcc_lo, v26, v30
	s_clause 0x1
	global_load_b128 v[51:54], v[75:76], off
	global_load_b128 v[55:58], v[75:76], off offset:16
	s_clause 0x3
	global_load_b128 v[59:62], v[28:29], off offset:64
	global_load_b128 v[63:66], v[28:29], off offset:80
	;; [unrolled: 1-line block ×5, first 2 shown]
	v_add_co_u32 v28, s3, 0x240, v28
	s_wait_alu 0xf1ff
	v_add_co_ci_u32_e64 v29, null, 0, v29, s3
	s_wait_alu 0xfffe
	s_or_b32 s7, vcc_lo, s7
	s_wait_loadcnt 0x6
	v_fma_f64 v[15:16], v[39:40], v[51:52], v[15:16]
	v_fma_f64 v[13:14], v[41:42], v[51:52], v[13:14]
	;; [unrolled: 1-line block ×6, first 2 shown]
	v_fma_f64 v[15:16], -v[41:42], v[53:54], v[15:16]
	v_fma_f64 v[13:14], v[39:40], v[53:54], v[13:14]
	v_fma_f64 v[22:23], -v[33:34], v[53:54], v[22:23]
	v_fma_f64 v[24:25], v[31:32], v[53:54], v[24:25]
	;; [unrolled: 2-line block ×3, first 2 shown]
	s_wait_loadcnt 0x5
	v_fma_f64 v[15:16], v[35:36], v[55:56], v[15:16]
	v_fma_f64 v[13:14], v[37:38], v[55:56], v[13:14]
	s_wait_loadcnt 0x4
	v_fma_f64 v[22:23], v[59:60], v[55:56], v[22:23]
	v_fma_f64 v[24:25], v[61:62], v[55:56], v[24:25]
	v_fma_f64 v[18:19], v[43:44], v[55:56], v[18:19]
	v_fma_f64 v[20:21], v[45:46], v[55:56], v[20:21]
	v_fma_f64 v[15:16], -v[37:38], v[57:58], v[15:16]
	v_fma_f64 v[13:14], v[35:36], v[57:58], v[13:14]
	v_fma_f64 v[22:23], -v[61:62], v[57:58], v[22:23]
	v_fma_f64 v[24:25], v[59:60], v[57:58], v[24:25]
	;; [unrolled: 2-line block ×3, first 2 shown]
	s_wait_loadcnt 0x0
	v_fma_f64 v[15:16], v[67:68], v[75:76], v[15:16]
	v_fma_f64 v[13:14], v[69:70], v[75:76], v[13:14]
	;; [unrolled: 1-line block ×6, first 2 shown]
	v_fma_f64 v[15:16], -v[69:70], v[77:78], v[15:16]
	v_fma_f64 v[13:14], v[67:68], v[77:78], v[13:14]
	v_fma_f64 v[22:23], -v[65:66], v[77:78], v[22:23]
	v_fma_f64 v[24:25], v[63:64], v[77:78], v[24:25]
	;; [unrolled: 2-line block ×3, first 2 shown]
	s_wait_alu 0xfffe
	s_and_not1_b32 exec_lo, exec_lo, s7
	s_cbranch_execnz .LBB15_14
; %bb.15:
	s_or_b32 exec_lo, exec_lo, s7
.LBB15_16:
	s_wait_alu 0xfffe
	s_or_b32 exec_lo, exec_lo, s6
	s_cbranch_execz .LBB15_18
	s_branch .LBB15_23
.LBB15_17:
                                        ; implicit-def: $vgpr13_vgpr14
                                        ; implicit-def: $vgpr15_vgpr16
                                        ; implicit-def: $vgpr18_vgpr19
                                        ; implicit-def: $vgpr20_vgpr21
                                        ; implicit-def: $vgpr22_vgpr23
                                        ; implicit-def: $vgpr24_vgpr25
.LBB15_18:
	v_dual_mov_b32 v13, 0 :: v_dual_mov_b32 v18, 0
	v_mov_b32_e32 v22, 0
	v_dual_mov_b32 v14, 0 :: v_dual_mov_b32 v15, 0
	v_dual_mov_b32 v19, 0 :: v_dual_mov_b32 v20, 0
	;; [unrolled: 1-line block ×4, first 2 shown]
	v_mov_b32_e32 v25, 0
	s_and_saveexec_b32 s3, s2
	s_cbranch_execz .LBB15_22
; %bb.19:
	v_dual_mov_b32 v13, 0 :: v_dual_mov_b32 v18, 0
	v_mov_b32_e32 v22, 0
	v_dual_mov_b32 v14, 0 :: v_dual_mov_b32 v15, 0
	v_dual_mov_b32 v19, 0 :: v_dual_mov_b32 v20, 0
	;; [unrolled: 1-line block ×4, first 2 shown]
	v_mov_b32_e32 v25, 0
	s_mov_b32 s6, 0
.LBB15_20:                              ; =>This Inner Loop Header: Depth=1
	v_ashrrev_i32_e32 v10, 31, v9
	s_delay_alu instid0(VALU_DEP_1) | instskip(SKIP_1) | instid1(VALU_DEP_2)
	v_lshlrev_b64_e32 v[26:27], 2, v[9:10]
	v_add_nc_u32_e32 v9, 4, v9
	v_add_co_u32 v26, vcc_lo, s8, v26
	s_wait_alu 0xfffd
	s_delay_alu instid0(VALU_DEP_3)
	v_add_co_ci_u32_e64 v27, null, s9, v27, vcc_lo
	global_load_b32 v10, v[26:27], off
	s_clause 0x3
	global_load_b128 v[26:29], v[11:12], off offset:48
	global_load_b128 v[31:34], v[11:12], off offset:32
	;; [unrolled: 1-line block ×3, first 2 shown]
	global_load_b128 v[39:42], v[11:12], off
	s_wait_loadcnt 0x4
	v_subrev_nc_u32_e32 v10, s12, v10
	s_delay_alu instid0(VALU_DEP_1) | instskip(NEXT) | instid1(VALU_DEP_1)
	v_lshl_add_u32 v43, v10, 1, v10
	v_ashrrev_i32_e32 v44, 31, v43
	s_delay_alu instid0(VALU_DEP_1) | instskip(SKIP_1) | instid1(VALU_DEP_1)
	v_lshlrev_b64_e32 v[43:44], 4, v[43:44]
	s_wait_kmcnt 0x0
	v_add_co_u32 v71, vcc_lo, s4, v43
	s_wait_alu 0xfffd
	s_delay_alu instid0(VALU_DEP_2)
	v_add_co_ci_u32_e64 v72, null, s5, v44, vcc_lo
	v_cmp_ge_i32_e32 vcc_lo, v9, v30
	s_clause 0x1
	global_load_b128 v[43:46], v[71:72], off
	global_load_b128 v[47:50], v[71:72], off offset:16
	s_clause 0x4
	global_load_b128 v[51:54], v[11:12], off offset:64
	global_load_b128 v[55:58], v[11:12], off offset:80
	;; [unrolled: 1-line block ×6, first 2 shown]
	v_add_co_u32 v11, s2, 0x240, v11
	s_wait_alu 0xf1ff
	v_add_co_ci_u32_e64 v12, null, 0, v12, s2
	s_wait_alu 0xfffe
	s_or_b32 s6, vcc_lo, s6
	s_wait_loadcnt 0x7
	v_fma_f64 v[15:16], v[39:40], v[43:44], v[15:16]
	v_fma_f64 v[13:14], v[41:42], v[43:44], v[13:14]
	;; [unrolled: 1-line block ×6, first 2 shown]
	v_fma_f64 v[15:16], -v[41:42], v[45:46], v[15:16]
	v_fma_f64 v[13:14], v[39:40], v[45:46], v[13:14]
	v_fma_f64 v[22:23], -v[37:38], v[45:46], v[22:23]
	v_fma_f64 v[24:25], v[35:36], v[45:46], v[24:25]
	;; [unrolled: 2-line block ×3, first 2 shown]
	s_wait_loadcnt 0x6
	v_fma_f64 v[15:16], v[26:27], v[47:48], v[15:16]
	v_fma_f64 v[13:14], v[28:29], v[47:48], v[13:14]
	s_wait_loadcnt 0x5
	v_fma_f64 v[22:23], v[51:52], v[47:48], v[22:23]
	v_fma_f64 v[24:25], v[53:54], v[47:48], v[24:25]
	;; [unrolled: 3-line block ×3, first 2 shown]
	v_fma_f64 v[15:16], -v[28:29], v[49:50], v[15:16]
	v_fma_f64 v[13:14], v[26:27], v[49:50], v[13:14]
	v_fma_f64 v[22:23], -v[53:54], v[49:50], v[22:23]
	v_fma_f64 v[24:25], v[51:52], v[49:50], v[24:25]
	;; [unrolled: 2-line block ×3, first 2 shown]
	s_wait_loadcnt 0x0
	v_fma_f64 v[15:16], v[63:64], v[71:72], v[15:16]
	v_fma_f64 v[13:14], v[65:66], v[71:72], v[13:14]
	;; [unrolled: 1-line block ×6, first 2 shown]
	v_fma_f64 v[15:16], -v[65:66], v[73:74], v[15:16]
	v_fma_f64 v[13:14], v[63:64], v[73:74], v[13:14]
	v_fma_f64 v[22:23], -v[61:62], v[73:74], v[22:23]
	v_fma_f64 v[24:25], v[59:60], v[73:74], v[24:25]
	;; [unrolled: 2-line block ×3, first 2 shown]
	s_wait_alu 0xfffe
	s_and_not1_b32 exec_lo, exec_lo, s6
	s_cbranch_execnz .LBB15_20
; %bb.21:
	s_or_b32 exec_lo, exec_lo, s6
.LBB15_22:
	s_wait_alu 0xfffe
	s_or_b32 exec_lo, exec_lo, s3
.LBB15_23:
	v_mbcnt_lo_u32_b32 v36, -1, 0
	s_delay_alu instid0(VALU_DEP_1) | instskip(NEXT) | instid1(VALU_DEP_1)
	v_xor_b32_e32 v9, 2, v36
	v_cmp_gt_i32_e32 vcc_lo, 32, v9
	s_wait_alu 0xfffd
	v_cndmask_b32_e32 v9, v36, v9, vcc_lo
	s_delay_alu instid0(VALU_DEP_1)
	v_lshlrev_b32_e32 v26, 2, v9
	ds_bpermute_b32 v9, v26, v15
	ds_bpermute_b32 v10, v26, v16
	;; [unrolled: 1-line block ×12, first 2 shown]
	s_wait_dscnt 0xa
	v_add_f64_e32 v[9:10], v[15:16], v[9:10]
	s_wait_dscnt 0x8
	v_add_f64_e32 v[26:27], v[13:14], v[11:12]
	;; [unrolled: 2-line block ×5, first 2 shown]
	v_xor_b32_e32 v18, 1, v36
	s_wait_dscnt 0x0
	v_add_f64_e32 v[15:16], v[20:21], v[34:35]
	s_delay_alu instid0(VALU_DEP_2) | instskip(SKIP_3) | instid1(VALU_DEP_2)
	v_cmp_gt_i32_e32 vcc_lo, 32, v18
	s_wait_alu 0xfffd
	v_cndmask_b32_e32 v18, v36, v18, vcc_lo
	v_cmp_eq_u32_e32 vcc_lo, 3, v0
	v_lshlrev_b32_e32 v29, 2, v18
	ds_bpermute_b32 v18, v29, v9
	ds_bpermute_b32 v19, v29, v10
	;; [unrolled: 1-line block ×12, first 2 shown]
	s_and_b32 exec_lo, exec_lo, vcc_lo
	s_cbranch_execz .LBB15_8
; %bb.24:
	s_wait_dscnt 0x8
	v_add_f64_e32 v[26:27], v[26:27], v[32:33]
	s_wait_dscnt 0x4
	v_add_f64_e32 v[22:23], v[22:23], v[30:31]
	;; [unrolled: 2-line block ×3, first 2 shown]
	v_add_f64_e32 v[9:10], v[9:10], v[18:19]
	v_add_f64_e32 v[11:12], v[11:12], v[20:21]
	;; [unrolled: 1-line block ×3, first 2 shown]
	v_cmp_eq_f64_e32 vcc_lo, 0, v[1:2]
	v_cmp_eq_f64_e64 s2, 0, v[3:4]
	s_load_b64 s[0:1], s[0:1], 0x60
	v_lshl_add_u32 v17, v17, 1, v17
	v_mul_f64_e64 v[13:14], v[26:27], -v[7:8]
	v_mul_f64_e32 v[20:21], v[5:6], v[26:27]
	v_mul_f64_e64 v[24:25], v[22:23], -v[7:8]
	v_mul_f64_e32 v[22:23], v[5:6], v[22:23]
	;; [unrolled: 2-line block ×3, first 2 shown]
	s_and_b32 s2, vcc_lo, s2
	v_fma_f64 v[13:14], v[5:6], v[9:10], v[13:14]
	v_fma_f64 v[15:16], v[7:8], v[9:10], v[20:21]
	;; [unrolled: 1-line block ×6, first 2 shown]
	v_ashrrev_i32_e32 v18, 31, v17
	s_wait_alu 0xfffe
	s_and_saveexec_b32 s3, s2
	s_wait_alu 0xfffe
	s_xor_b32 s2, exec_lo, s3
	s_cbranch_execz .LBB15_26
; %bb.25:
	v_lshlrev_b64_e32 v[0:1], 4, v[17:18]
                                        ; implicit-def: $vgpr17
	s_wait_kmcnt 0x0
	s_delay_alu instid0(VALU_DEP_1) | instskip(SKIP_1) | instid1(VALU_DEP_2)
	v_add_co_u32 v0, vcc_lo, s0, v0
	s_wait_alu 0xfffd
	v_add_co_ci_u32_e64 v1, null, s1, v1, vcc_lo
	s_clause 0x2
	global_store_b128 v[0:1], v[13:16], off
	global_store_b128 v[0:1], v[9:12], off offset:16
	global_store_b128 v[0:1], v[5:8], off offset:32
                                        ; implicit-def: $vgpr3_vgpr4
                                        ; implicit-def: $vgpr13_vgpr14
                                        ; implicit-def: $vgpr9_vgpr10
                                        ; implicit-def: $vgpr5_vgpr6
.LBB15_26:
	s_wait_alu 0xfffe
	s_and_not1_saveexec_b32 s2, s2
	s_cbranch_execz .LBB15_8
; %bb.27:
	v_lshlrev_b64_e32 v[17:18], 4, v[17:18]
	s_wait_kmcnt 0x0
	s_delay_alu instid0(VALU_DEP_1) | instskip(SKIP_1) | instid1(VALU_DEP_2)
	v_add_co_u32 v29, vcc_lo, s0, v17
	s_wait_alu 0xfffd
	v_add_co_ci_u32_e64 v30, null, s1, v18, vcc_lo
	s_clause 0x2
	global_load_b128 v[17:20], v[29:30], off
	global_load_b128 v[21:24], v[29:30], off offset:16
	global_load_b128 v[25:28], v[29:30], off offset:32
	s_wait_loadcnt 0x2
	v_fma_f64 v[13:14], v[1:2], v[17:18], v[13:14]
	v_fma_f64 v[15:16], v[3:4], v[17:18], v[15:16]
	s_wait_loadcnt 0x1
	v_fma_f64 v[9:10], v[1:2], v[21:22], v[9:10]
	v_fma_f64 v[11:12], v[3:4], v[21:22], v[11:12]
	;; [unrolled: 3-line block ×3, first 2 shown]
	v_fma_f64 v[5:6], -v[3:4], v[19:20], v[13:14]
	v_fma_f64 v[7:8], v[1:2], v[19:20], v[15:16]
	v_fma_f64 v[9:10], -v[3:4], v[23:24], v[9:10]
	v_fma_f64 v[11:12], v[1:2], v[23:24], v[11:12]
	;; [unrolled: 2-line block ×3, first 2 shown]
	s_clause 0x2
	global_store_b128 v[29:30], v[5:8], off
	global_store_b128 v[29:30], v[9:12], off offset:16
	global_store_b128 v[29:30], v[13:16], off offset:32
	s_endpgm
	.section	.rodata,"a",@progbits
	.p2align	6, 0x0
	.amdhsa_kernel _ZN9rocsparseL18bsrxmvn_3x3_kernelILj256ELj4E21rocsparse_complex_numIdEiiS2_S2_S2_EEvT3_20rocsparse_direction_NS_24const_host_device_scalarIT1_EES3_PKS3_PKT2_SC_S9_PKT4_PKT5_S7_PT6_21rocsparse_index_base_b
		.amdhsa_group_segment_fixed_size 0
		.amdhsa_private_segment_fixed_size 0
		.amdhsa_kernarg_size 112
		.amdhsa_user_sgpr_count 2
		.amdhsa_user_sgpr_dispatch_ptr 0
		.amdhsa_user_sgpr_queue_ptr 0
		.amdhsa_user_sgpr_kernarg_segment_ptr 1
		.amdhsa_user_sgpr_dispatch_id 0
		.amdhsa_user_sgpr_private_segment_size 0
		.amdhsa_wavefront_size32 1
		.amdhsa_uses_dynamic_stack 0
		.amdhsa_enable_private_segment 0
		.amdhsa_system_sgpr_workgroup_id_x 1
		.amdhsa_system_sgpr_workgroup_id_y 0
		.amdhsa_system_sgpr_workgroup_id_z 0
		.amdhsa_system_sgpr_workgroup_info 0
		.amdhsa_system_vgpr_workitem_id 0
		.amdhsa_next_free_vgpr 79
		.amdhsa_next_free_sgpr 14
		.amdhsa_reserve_vcc 1
		.amdhsa_float_round_mode_32 0
		.amdhsa_float_round_mode_16_64 0
		.amdhsa_float_denorm_mode_32 3
		.amdhsa_float_denorm_mode_16_64 3
		.amdhsa_fp16_overflow 0
		.amdhsa_workgroup_processor_mode 1
		.amdhsa_memory_ordered 1
		.amdhsa_forward_progress 1
		.amdhsa_inst_pref_size 23
		.amdhsa_round_robin_scheduling 0
		.amdhsa_exception_fp_ieee_invalid_op 0
		.amdhsa_exception_fp_denorm_src 0
		.amdhsa_exception_fp_ieee_div_zero 0
		.amdhsa_exception_fp_ieee_overflow 0
		.amdhsa_exception_fp_ieee_underflow 0
		.amdhsa_exception_fp_ieee_inexact 0
		.amdhsa_exception_int_div_zero 0
	.end_amdhsa_kernel
	.section	.text._ZN9rocsparseL18bsrxmvn_3x3_kernelILj256ELj4E21rocsparse_complex_numIdEiiS2_S2_S2_EEvT3_20rocsparse_direction_NS_24const_host_device_scalarIT1_EES3_PKS3_PKT2_SC_S9_PKT4_PKT5_S7_PT6_21rocsparse_index_base_b,"axG",@progbits,_ZN9rocsparseL18bsrxmvn_3x3_kernelILj256ELj4E21rocsparse_complex_numIdEiiS2_S2_S2_EEvT3_20rocsparse_direction_NS_24const_host_device_scalarIT1_EES3_PKS3_PKT2_SC_S9_PKT4_PKT5_S7_PT6_21rocsparse_index_base_b,comdat
.Lfunc_end15:
	.size	_ZN9rocsparseL18bsrxmvn_3x3_kernelILj256ELj4E21rocsparse_complex_numIdEiiS2_S2_S2_EEvT3_20rocsparse_direction_NS_24const_host_device_scalarIT1_EES3_PKS3_PKT2_SC_S9_PKT4_PKT5_S7_PT6_21rocsparse_index_base_b, .Lfunc_end15-_ZN9rocsparseL18bsrxmvn_3x3_kernelILj256ELj4E21rocsparse_complex_numIdEiiS2_S2_S2_EEvT3_20rocsparse_direction_NS_24const_host_device_scalarIT1_EES3_PKS3_PKT2_SC_S9_PKT4_PKT5_S7_PT6_21rocsparse_index_base_b
                                        ; -- End function
	.set _ZN9rocsparseL18bsrxmvn_3x3_kernelILj256ELj4E21rocsparse_complex_numIdEiiS2_S2_S2_EEvT3_20rocsparse_direction_NS_24const_host_device_scalarIT1_EES3_PKS3_PKT2_SC_S9_PKT4_PKT5_S7_PT6_21rocsparse_index_base_b.num_vgpr, 79
	.set _ZN9rocsparseL18bsrxmvn_3x3_kernelILj256ELj4E21rocsparse_complex_numIdEiiS2_S2_S2_EEvT3_20rocsparse_direction_NS_24const_host_device_scalarIT1_EES3_PKS3_PKT2_SC_S9_PKT4_PKT5_S7_PT6_21rocsparse_index_base_b.num_agpr, 0
	.set _ZN9rocsparseL18bsrxmvn_3x3_kernelILj256ELj4E21rocsparse_complex_numIdEiiS2_S2_S2_EEvT3_20rocsparse_direction_NS_24const_host_device_scalarIT1_EES3_PKS3_PKT2_SC_S9_PKT4_PKT5_S7_PT6_21rocsparse_index_base_b.numbered_sgpr, 14
	.set _ZN9rocsparseL18bsrxmvn_3x3_kernelILj256ELj4E21rocsparse_complex_numIdEiiS2_S2_S2_EEvT3_20rocsparse_direction_NS_24const_host_device_scalarIT1_EES3_PKS3_PKT2_SC_S9_PKT4_PKT5_S7_PT6_21rocsparse_index_base_b.num_named_barrier, 0
	.set _ZN9rocsparseL18bsrxmvn_3x3_kernelILj256ELj4E21rocsparse_complex_numIdEiiS2_S2_S2_EEvT3_20rocsparse_direction_NS_24const_host_device_scalarIT1_EES3_PKS3_PKT2_SC_S9_PKT4_PKT5_S7_PT6_21rocsparse_index_base_b.private_seg_size, 0
	.set _ZN9rocsparseL18bsrxmvn_3x3_kernelILj256ELj4E21rocsparse_complex_numIdEiiS2_S2_S2_EEvT3_20rocsparse_direction_NS_24const_host_device_scalarIT1_EES3_PKS3_PKT2_SC_S9_PKT4_PKT5_S7_PT6_21rocsparse_index_base_b.uses_vcc, 1
	.set _ZN9rocsparseL18bsrxmvn_3x3_kernelILj256ELj4E21rocsparse_complex_numIdEiiS2_S2_S2_EEvT3_20rocsparse_direction_NS_24const_host_device_scalarIT1_EES3_PKS3_PKT2_SC_S9_PKT4_PKT5_S7_PT6_21rocsparse_index_base_b.uses_flat_scratch, 0
	.set _ZN9rocsparseL18bsrxmvn_3x3_kernelILj256ELj4E21rocsparse_complex_numIdEiiS2_S2_S2_EEvT3_20rocsparse_direction_NS_24const_host_device_scalarIT1_EES3_PKS3_PKT2_SC_S9_PKT4_PKT5_S7_PT6_21rocsparse_index_base_b.has_dyn_sized_stack, 0
	.set _ZN9rocsparseL18bsrxmvn_3x3_kernelILj256ELj4E21rocsparse_complex_numIdEiiS2_S2_S2_EEvT3_20rocsparse_direction_NS_24const_host_device_scalarIT1_EES3_PKS3_PKT2_SC_S9_PKT4_PKT5_S7_PT6_21rocsparse_index_base_b.has_recursion, 0
	.set _ZN9rocsparseL18bsrxmvn_3x3_kernelILj256ELj4E21rocsparse_complex_numIdEiiS2_S2_S2_EEvT3_20rocsparse_direction_NS_24const_host_device_scalarIT1_EES3_PKS3_PKT2_SC_S9_PKT4_PKT5_S7_PT6_21rocsparse_index_base_b.has_indirect_call, 0
	.section	.AMDGPU.csdata,"",@progbits
; Kernel info:
; codeLenInByte = 2912
; TotalNumSgprs: 16
; NumVgprs: 79
; ScratchSize: 0
; MemoryBound: 0
; FloatMode: 240
; IeeeMode: 1
; LDSByteSize: 0 bytes/workgroup (compile time only)
; SGPRBlocks: 0
; VGPRBlocks: 9
; NumSGPRsForWavesPerEU: 16
; NumVGPRsForWavesPerEU: 79
; Occupancy: 16
; WaveLimiterHint : 1
; COMPUTE_PGM_RSRC2:SCRATCH_EN: 0
; COMPUTE_PGM_RSRC2:USER_SGPR: 2
; COMPUTE_PGM_RSRC2:TRAP_HANDLER: 0
; COMPUTE_PGM_RSRC2:TGID_X_EN: 1
; COMPUTE_PGM_RSRC2:TGID_Y_EN: 0
; COMPUTE_PGM_RSRC2:TGID_Z_EN: 0
; COMPUTE_PGM_RSRC2:TIDIG_COMP_CNT: 0
	.section	.text._ZN9rocsparseL18bsrxmvn_3x3_kernelILj256ELj8E21rocsparse_complex_numIdEiiS2_S2_S2_EEvT3_20rocsparse_direction_NS_24const_host_device_scalarIT1_EES3_PKS3_PKT2_SC_S9_PKT4_PKT5_S7_PT6_21rocsparse_index_base_b,"axG",@progbits,_ZN9rocsparseL18bsrxmvn_3x3_kernelILj256ELj8E21rocsparse_complex_numIdEiiS2_S2_S2_EEvT3_20rocsparse_direction_NS_24const_host_device_scalarIT1_EES3_PKS3_PKT2_SC_S9_PKT4_PKT5_S7_PT6_21rocsparse_index_base_b,comdat
	.globl	_ZN9rocsparseL18bsrxmvn_3x3_kernelILj256ELj8E21rocsparse_complex_numIdEiiS2_S2_S2_EEvT3_20rocsparse_direction_NS_24const_host_device_scalarIT1_EES3_PKS3_PKT2_SC_S9_PKT4_PKT5_S7_PT6_21rocsparse_index_base_b ; -- Begin function _ZN9rocsparseL18bsrxmvn_3x3_kernelILj256ELj8E21rocsparse_complex_numIdEiiS2_S2_S2_EEvT3_20rocsparse_direction_NS_24const_host_device_scalarIT1_EES3_PKS3_PKT2_SC_S9_PKT4_PKT5_S7_PT6_21rocsparse_index_base_b
	.p2align	8
	.type	_ZN9rocsparseL18bsrxmvn_3x3_kernelILj256ELj8E21rocsparse_complex_numIdEiiS2_S2_S2_EEvT3_20rocsparse_direction_NS_24const_host_device_scalarIT1_EES3_PKS3_PKT2_SC_S9_PKT4_PKT5_S7_PT6_21rocsparse_index_base_b,@function
_ZN9rocsparseL18bsrxmvn_3x3_kernelILj256ELj8E21rocsparse_complex_numIdEiiS2_S2_S2_EEvT3_20rocsparse_direction_NS_24const_host_device_scalarIT1_EES3_PKS3_PKT2_SC_S9_PKT4_PKT5_S7_PT6_21rocsparse_index_base_b: ; @_ZN9rocsparseL18bsrxmvn_3x3_kernelILj256ELj8E21rocsparse_complex_numIdEiiS2_S2_S2_EEvT3_20rocsparse_direction_NS_24const_host_device_scalarIT1_EES3_PKS3_PKT2_SC_S9_PKT4_PKT5_S7_PT6_21rocsparse_index_base_b
; %bb.0:
	s_clause 0x1
	s_load_b64 s[12:13], s[0:1], 0x68
	s_load_b64 s[2:3], s[0:1], 0x8
	s_add_nc_u64 s[4:5], s[0:1], 8
	s_load_b64 s[6:7], s[0:1], 0x50
	s_wait_kmcnt 0x0
	s_bitcmp1_b32 s13, 0
	s_cselect_b32 s2, s4, s2
	s_cselect_b32 s3, s5, s3
	s_delay_alu instid0(SALU_CYCLE_1)
	v_dual_mov_b32 v1, s2 :: v_dual_mov_b32 v2, s3
	s_add_nc_u64 s[2:3], s[0:1], 0x50
	s_wait_alu 0xfffe
	s_cselect_b32 s2, s2, s6
	s_cselect_b32 s3, s3, s7
	flat_load_b128 v[5:8], v[1:2]
	s_wait_alu 0xfffe
	v_dual_mov_b32 v1, s2 :: v_dual_mov_b32 v2, s3
	flat_load_b128 v[1:4], v[1:2]
	s_wait_loadcnt_dscnt 0x101
	v_cmp_eq_f64_e32 vcc_lo, 0, v[5:6]
	v_cmp_eq_f64_e64 s2, 0, v[7:8]
	s_and_b32 s4, vcc_lo, s2
	s_mov_b32 s2, -1
	s_and_saveexec_b32 s3, s4
	s_cbranch_execz .LBB16_2
; %bb.1:
	s_wait_loadcnt_dscnt 0x0
	v_cmp_neq_f64_e32 vcc_lo, 1.0, v[1:2]
	v_cmp_neq_f64_e64 s2, 0, v[3:4]
	s_wait_alu 0xfffe
	s_or_b32 s2, vcc_lo, s2
	s_wait_alu 0xfffe
	s_or_not1_b32 s2, s2, exec_lo
.LBB16_2:
	s_wait_alu 0xfffe
	s_or_b32 exec_lo, exec_lo, s3
	s_and_saveexec_b32 s3, s2
	s_cbranch_execz .LBB16_8
; %bb.3:
	s_clause 0x1
	s_load_b64 s[4:5], s[0:1], 0x20
	s_load_b64 s[2:3], s[0:1], 0x0
	v_lshrrev_b32_e32 v9, 3, v0
	s_delay_alu instid0(VALU_DEP_1)
	v_lshl_or_b32 v17, ttmp9, 5, v9
	s_wait_kmcnt 0x0
	s_cmp_lg_u64 s[4:5], 0
	s_cbranch_scc0 .LBB16_9
; %bb.4:
	s_load_b32 s6, s[0:1], 0x18
	s_mov_b32 s7, 0
                                        ; implicit-def: $vgpr9
	s_wait_kmcnt 0x0
	v_cmp_gt_i32_e32 vcc_lo, s6, v17
	s_mov_b32 s6, 0
	s_and_saveexec_b32 s8, vcc_lo
	s_delay_alu instid0(SALU_CYCLE_1)
	s_xor_b32 s8, exec_lo, s8
	s_cbranch_execz .LBB16_6
; %bb.5:
	v_ashrrev_i32_e32 v18, 31, v17
	s_mov_b32 s6, exec_lo
	s_delay_alu instid0(VALU_DEP_1) | instskip(NEXT) | instid1(VALU_DEP_1)
	v_lshlrev_b64_e32 v[9:10], 2, v[17:18]
	v_add_co_u32 v9, vcc_lo, s4, v9
	s_delay_alu instid0(VALU_DEP_1)
	v_add_co_ci_u32_e64 v10, null, s5, v10, vcc_lo
	global_load_b32 v9, v[9:10], off
	s_wait_loadcnt 0x0
	v_subrev_nc_u32_e32 v9, s12, v9
.LBB16_6:
	s_or_b32 exec_lo, exec_lo, s8
	s_delay_alu instid0(SALU_CYCLE_1)
	s_and_b32 vcc_lo, exec_lo, s7
	s_wait_alu 0xfffe
	s_cbranch_vccz .LBB16_10
.LBB16_7:
	v_cmp_gt_i32_e32 vcc_lo, s2, v17
	s_and_not1_b32 s2, s6, exec_lo
	s_and_b32 s4, vcc_lo, exec_lo
	s_wait_alu 0xfffe
	s_or_b32 s6, s2, s4
	s_wait_alu 0xfffe
	s_and_b32 exec_lo, exec_lo, s6
	s_cbranch_execnz .LBB16_11
.LBB16_8:
	s_endpgm
.LBB16_9:
	s_mov_b32 s6, 0
                                        ; implicit-def: $vgpr9
	s_cbranch_execnz .LBB16_7
.LBB16_10:
	v_mov_b32_e32 v17, v9
	s_and_b32 exec_lo, exec_lo, s6
	s_cbranch_execz .LBB16_8
.LBB16_11:
	s_load_b256 s[4:11], s[0:1], 0x28
	s_delay_alu instid0(VALU_DEP_1) | instskip(SKIP_1) | instid1(VALU_DEP_2)
	v_ashrrev_i32_e32 v18, 31, v17
	v_and_b32_e32 v0, 7, v0
	v_lshlrev_b64_e32 v[9:10], 2, v[17:18]
	s_wait_kmcnt 0x0
	s_delay_alu instid0(VALU_DEP_1) | instskip(SKIP_1) | instid1(VALU_DEP_2)
	v_add_co_u32 v11, vcc_lo, s4, v9
	s_wait_alu 0xfffd
	v_add_co_ci_u32_e64 v12, null, s5, v10, vcc_lo
	v_add_co_u32 v9, vcc_lo, s6, v9
	s_wait_alu 0xfffd
	v_add_co_ci_u32_e64 v10, null, s7, v10, vcc_lo
	;; [unrolled: 3-line block ×3, first 2 shown]
	s_cmp_eq_u64 s[6:7], 0
	global_load_b32 v11, v[11:12], off
	s_cselect_b32 vcc_lo, -1, 0
	s_load_b64 s[4:5], s[0:1], 0x48
	v_dual_cndmask_b32 v10, v10, v14 :: v_dual_cndmask_b32 v9, v9, v13
	s_cmp_eq_u32 s3, 1
	global_load_b32 v9, v[9:10], off
	s_wait_loadcnt 0x1
	v_subrev_nc_u32_e32 v10, s12, v11
	s_delay_alu instid0(VALU_DEP_1) | instskip(SKIP_2) | instid1(VALU_DEP_2)
	v_add_nc_u32_e32 v18, v10, v0
	s_wait_loadcnt 0x0
	v_subrev_nc_u32_e32 v30, s12, v9
	v_mad_co_i64_i32 v[20:21], null, 0x90, v18, s[10:11]
	s_delay_alu instid0(VALU_DEP_2)
	v_cmp_lt_i32_e64 s2, v18, v30
	s_cbranch_scc1 .LBB16_17
; %bb.12:
	v_mov_b32_e32 v9, 0
	v_dual_mov_b32 v13, 0 :: v_dual_mov_b32 v22, 0
	v_dual_mov_b32 v10, 0 :: v_dual_mov_b32 v11, 0
	;; [unrolled: 1-line block ×4, first 2 shown]
	v_mov_b32_e32 v12, 0
	v_dual_mov_b32 v16, 0 :: v_dual_mov_b32 v25, 0
	s_and_saveexec_b32 s6, s2
	s_cbranch_execz .LBB16_16
; %bb.13:
	v_dual_mov_b32 v9, 0 :: v_dual_mov_b32 v26, v18
	v_dual_mov_b32 v10, 0 :: v_dual_mov_b32 v11, 0
	v_dual_mov_b32 v12, 0 :: v_dual_mov_b32 v13, 0
	v_dual_mov_b32 v14, 0 :: v_dual_mov_b32 v15, 0
	v_mov_b32_e32 v22, 0
	v_dual_mov_b32 v24, 0 :: v_dual_mov_b32 v29, v21
	v_dual_mov_b32 v16, 0 :: v_dual_mov_b32 v23, 0
	;; [unrolled: 1-line block ×3, first 2 shown]
	s_mov_b32 s7, 0
.LBB16_14:                              ; =>This Inner Loop Header: Depth=1
	v_ashrrev_i32_e32 v27, 31, v26
	s_delay_alu instid0(VALU_DEP_1) | instskip(SKIP_1) | instid1(VALU_DEP_2)
	v_lshlrev_b64_e32 v[31:32], 2, v[26:27]
	v_add_nc_u32_e32 v26, 8, v26
	v_add_co_u32 v31, vcc_lo, s8, v31
	s_wait_alu 0xfffd
	s_delay_alu instid0(VALU_DEP_3)
	v_add_co_ci_u32_e64 v32, null, s9, v32, vcc_lo
	global_load_b32 v19, v[31:32], off
	s_clause 0x4
	global_load_b128 v[31:34], v[28:29], off offset:48
	global_load_b128 v[35:38], v[28:29], off offset:16
	global_load_b128 v[39:42], v[28:29], off
	global_load_b128 v[43:46], v[28:29], off offset:112
	global_load_b128 v[47:50], v[28:29], off offset:96
	s_wait_loadcnt 0x5
	v_subrev_nc_u32_e32 v19, s12, v19
	s_delay_alu instid0(VALU_DEP_1) | instskip(NEXT) | instid1(VALU_DEP_1)
	v_lshl_add_u32 v51, v19, 1, v19
	v_ashrrev_i32_e32 v52, 31, v51
	s_delay_alu instid0(VALU_DEP_1) | instskip(SKIP_1) | instid1(VALU_DEP_1)
	v_lshlrev_b64_e32 v[51:52], 4, v[51:52]
	s_wait_kmcnt 0x0
	v_add_co_u32 v75, vcc_lo, s4, v51
	s_wait_alu 0xfffd
	s_delay_alu instid0(VALU_DEP_2)
	v_add_co_ci_u32_e64 v76, null, s5, v52, vcc_lo
	v_cmp_ge_i32_e32 vcc_lo, v26, v30
	s_clause 0x1
	global_load_b128 v[51:54], v[75:76], off
	global_load_b128 v[55:58], v[75:76], off offset:16
	s_clause 0x3
	global_load_b128 v[59:62], v[28:29], off offset:64
	global_load_b128 v[63:66], v[28:29], off offset:80
	;; [unrolled: 1-line block ×5, first 2 shown]
	v_add_co_u32 v28, s3, 0x480, v28
	s_wait_alu 0xf1ff
	v_add_co_ci_u32_e64 v29, null, 0, v29, s3
	s_wait_alu 0xfffe
	s_or_b32 s7, vcc_lo, s7
	s_wait_loadcnt 0x6
	v_fma_f64 v[11:12], v[39:40], v[51:52], v[11:12]
	v_fma_f64 v[9:10], v[41:42], v[51:52], v[9:10]
	;; [unrolled: 1-line block ×6, first 2 shown]
	v_fma_f64 v[11:12], -v[41:42], v[53:54], v[11:12]
	v_fma_f64 v[9:10], v[39:40], v[53:54], v[9:10]
	v_fma_f64 v[22:23], -v[33:34], v[53:54], v[22:23]
	v_fma_f64 v[24:25], v[31:32], v[53:54], v[24:25]
	;; [unrolled: 2-line block ×3, first 2 shown]
	s_wait_loadcnt 0x5
	v_fma_f64 v[11:12], v[35:36], v[55:56], v[11:12]
	v_fma_f64 v[9:10], v[37:38], v[55:56], v[9:10]
	s_wait_loadcnt 0x4
	v_fma_f64 v[22:23], v[59:60], v[55:56], v[22:23]
	v_fma_f64 v[24:25], v[61:62], v[55:56], v[24:25]
	;; [unrolled: 1-line block ×4, first 2 shown]
	v_fma_f64 v[11:12], -v[37:38], v[57:58], v[11:12]
	v_fma_f64 v[9:10], v[35:36], v[57:58], v[9:10]
	v_fma_f64 v[22:23], -v[61:62], v[57:58], v[22:23]
	v_fma_f64 v[24:25], v[59:60], v[57:58], v[24:25]
	;; [unrolled: 2-line block ×3, first 2 shown]
	s_wait_loadcnt 0x0
	v_fma_f64 v[11:12], v[67:68], v[75:76], v[11:12]
	v_fma_f64 v[9:10], v[69:70], v[75:76], v[9:10]
	v_fma_f64 v[22:23], v[63:64], v[75:76], v[22:23]
	v_fma_f64 v[24:25], v[65:66], v[75:76], v[24:25]
	v_fma_f64 v[13:14], v[71:72], v[75:76], v[13:14]
	v_fma_f64 v[15:16], v[73:74], v[75:76], v[15:16]
	v_fma_f64 v[11:12], -v[69:70], v[77:78], v[11:12]
	v_fma_f64 v[9:10], v[67:68], v[77:78], v[9:10]
	v_fma_f64 v[22:23], -v[65:66], v[77:78], v[22:23]
	v_fma_f64 v[24:25], v[63:64], v[77:78], v[24:25]
	;; [unrolled: 2-line block ×3, first 2 shown]
	s_wait_alu 0xfffe
	s_and_not1_b32 exec_lo, exec_lo, s7
	s_cbranch_execnz .LBB16_14
; %bb.15:
	s_or_b32 exec_lo, exec_lo, s7
.LBB16_16:
	s_wait_alu 0xfffe
	s_or_b32 exec_lo, exec_lo, s6
	s_cbranch_execz .LBB16_18
	s_branch .LBB16_23
.LBB16_17:
                                        ; implicit-def: $vgpr9_vgpr10
                                        ; implicit-def: $vgpr11_vgpr12
                                        ; implicit-def: $vgpr13_vgpr14
                                        ; implicit-def: $vgpr15_vgpr16
                                        ; implicit-def: $vgpr22_vgpr23
                                        ; implicit-def: $vgpr24_vgpr25
.LBB16_18:
	v_mov_b32_e32 v9, 0
	v_dual_mov_b32 v13, 0 :: v_dual_mov_b32 v22, 0
	v_dual_mov_b32 v10, 0 :: v_dual_mov_b32 v11, 0
	;; [unrolled: 1-line block ×4, first 2 shown]
	v_mov_b32_e32 v12, 0
	v_dual_mov_b32 v16, 0 :: v_dual_mov_b32 v25, 0
	s_and_saveexec_b32 s3, s2
	s_cbranch_execz .LBB16_22
; %bb.19:
	v_mov_b32_e32 v9, 0
	v_dual_mov_b32 v13, 0 :: v_dual_mov_b32 v22, 0
	v_dual_mov_b32 v10, 0 :: v_dual_mov_b32 v11, 0
	;; [unrolled: 1-line block ×4, first 2 shown]
	v_mov_b32_e32 v12, 0
	v_dual_mov_b32 v16, 0 :: v_dual_mov_b32 v25, 0
	s_mov_b32 s6, 0
.LBB16_20:                              ; =>This Inner Loop Header: Depth=1
	v_ashrrev_i32_e32 v19, 31, v18
	s_delay_alu instid0(VALU_DEP_1) | instskip(SKIP_1) | instid1(VALU_DEP_2)
	v_lshlrev_b64_e32 v[26:27], 2, v[18:19]
	v_add_nc_u32_e32 v18, 8, v18
	v_add_co_u32 v26, vcc_lo, s8, v26
	s_wait_alu 0xfffd
	s_delay_alu instid0(VALU_DEP_3)
	v_add_co_ci_u32_e64 v27, null, s9, v27, vcc_lo
	global_load_b32 v19, v[26:27], off
	s_clause 0x3
	global_load_b128 v[26:29], v[20:21], off offset:48
	global_load_b128 v[31:34], v[20:21], off offset:32
	;; [unrolled: 1-line block ×3, first 2 shown]
	global_load_b128 v[39:42], v[20:21], off
	s_wait_loadcnt 0x4
	v_subrev_nc_u32_e32 v19, s12, v19
	s_delay_alu instid0(VALU_DEP_1) | instskip(NEXT) | instid1(VALU_DEP_1)
	v_lshl_add_u32 v43, v19, 1, v19
	v_ashrrev_i32_e32 v44, 31, v43
	s_delay_alu instid0(VALU_DEP_1) | instskip(SKIP_1) | instid1(VALU_DEP_1)
	v_lshlrev_b64_e32 v[43:44], 4, v[43:44]
	s_wait_kmcnt 0x0
	v_add_co_u32 v71, vcc_lo, s4, v43
	s_wait_alu 0xfffd
	s_delay_alu instid0(VALU_DEP_2)
	v_add_co_ci_u32_e64 v72, null, s5, v44, vcc_lo
	v_cmp_ge_i32_e32 vcc_lo, v18, v30
	s_clause 0x1
	global_load_b128 v[43:46], v[71:72], off
	global_load_b128 v[47:50], v[71:72], off offset:16
	s_clause 0x4
	global_load_b128 v[51:54], v[20:21], off offset:64
	global_load_b128 v[55:58], v[20:21], off offset:80
	;; [unrolled: 1-line block ×6, first 2 shown]
	v_add_co_u32 v20, s2, 0x480, v20
	s_wait_alu 0xf1ff
	v_add_co_ci_u32_e64 v21, null, 0, v21, s2
	s_wait_alu 0xfffe
	s_or_b32 s6, vcc_lo, s6
	s_wait_loadcnt 0x7
	v_fma_f64 v[11:12], v[39:40], v[43:44], v[11:12]
	v_fma_f64 v[9:10], v[41:42], v[43:44], v[9:10]
	;; [unrolled: 1-line block ×6, first 2 shown]
	v_fma_f64 v[11:12], -v[41:42], v[45:46], v[11:12]
	v_fma_f64 v[9:10], v[39:40], v[45:46], v[9:10]
	v_fma_f64 v[22:23], -v[37:38], v[45:46], v[22:23]
	v_fma_f64 v[24:25], v[35:36], v[45:46], v[24:25]
	v_fma_f64 v[13:14], -v[33:34], v[45:46], v[13:14]
	v_fma_f64 v[15:16], v[31:32], v[45:46], v[15:16]
	s_wait_loadcnt 0x6
	v_fma_f64 v[11:12], v[26:27], v[47:48], v[11:12]
	v_fma_f64 v[9:10], v[28:29], v[47:48], v[9:10]
	s_wait_loadcnt 0x5
	v_fma_f64 v[22:23], v[51:52], v[47:48], v[22:23]
	v_fma_f64 v[24:25], v[53:54], v[47:48], v[24:25]
	s_wait_loadcnt 0x4
	v_fma_f64 v[13:14], v[55:56], v[47:48], v[13:14]
	v_fma_f64 v[15:16], v[57:58], v[47:48], v[15:16]
	v_fma_f64 v[11:12], -v[28:29], v[49:50], v[11:12]
	v_fma_f64 v[9:10], v[26:27], v[49:50], v[9:10]
	v_fma_f64 v[22:23], -v[53:54], v[49:50], v[22:23]
	v_fma_f64 v[24:25], v[51:52], v[49:50], v[24:25]
	;; [unrolled: 2-line block ×3, first 2 shown]
	s_wait_loadcnt 0x0
	v_fma_f64 v[11:12], v[63:64], v[71:72], v[11:12]
	v_fma_f64 v[9:10], v[65:66], v[71:72], v[9:10]
	;; [unrolled: 1-line block ×6, first 2 shown]
	v_fma_f64 v[11:12], -v[65:66], v[73:74], v[11:12]
	v_fma_f64 v[9:10], v[63:64], v[73:74], v[9:10]
	v_fma_f64 v[22:23], -v[61:62], v[73:74], v[22:23]
	v_fma_f64 v[24:25], v[59:60], v[73:74], v[24:25]
	;; [unrolled: 2-line block ×3, first 2 shown]
	s_wait_alu 0xfffe
	s_and_not1_b32 exec_lo, exec_lo, s6
	s_cbranch_execnz .LBB16_20
; %bb.21:
	s_or_b32 exec_lo, exec_lo, s6
.LBB16_22:
	s_wait_alu 0xfffe
	s_or_b32 exec_lo, exec_lo, s3
.LBB16_23:
	v_mbcnt_lo_u32_b32 v34, -1, 0
	s_delay_alu instid0(VALU_DEP_1) | instskip(NEXT) | instid1(VALU_DEP_1)
	v_xor_b32_e32 v18, 4, v34
	v_cmp_gt_i32_e32 vcc_lo, 32, v18
	s_wait_alu 0xfffd
	v_cndmask_b32_e32 v18, v34, v18, vcc_lo
	s_delay_alu instid0(VALU_DEP_1)
	v_lshlrev_b32_e32 v33, 2, v18
	ds_bpermute_b32 v18, v33, v11
	ds_bpermute_b32 v19, v33, v12
	;; [unrolled: 1-line block ×12, first 2 shown]
	s_wait_dscnt 0xa
	v_add_f64_e32 v[11:12], v[11:12], v[18:19]
	s_wait_dscnt 0x8
	v_add_f64_e32 v[18:19], v[9:10], v[20:21]
	v_xor_b32_e32 v9, 2, v34
	s_wait_dscnt 0x6
	v_add_f64_e32 v[20:21], v[22:23], v[26:27]
	s_wait_dscnt 0x4
	v_add_f64_e32 v[24:25], v[24:25], v[28:29]
	;; [unrolled: 2-line block ×3, first 2 shown]
	v_cmp_gt_i32_e32 vcc_lo, 32, v9
	s_wait_dscnt 0x0
	v_add_f64_e32 v[15:16], v[15:16], v[32:33]
	s_wait_alu 0xfffd
	v_cndmask_b32_e32 v9, v34, v9, vcc_lo
	s_delay_alu instid0(VALU_DEP_1)
	v_lshlrev_b32_e32 v33, 2, v9
	ds_bpermute_b32 v9, v33, v11
	ds_bpermute_b32 v10, v33, v12
	;; [unrolled: 1-line block ×12, first 2 shown]
	s_wait_dscnt 0xa
	v_add_f64_e32 v[9:10], v[11:12], v[9:10]
	s_wait_dscnt 0x8
	v_add_f64_e32 v[22:23], v[18:19], v[22:23]
	;; [unrolled: 2-line block ×3, first 2 shown]
	v_xor_b32_e32 v20, 1, v34
	s_wait_dscnt 0x4
	v_add_f64_e32 v[18:19], v[24:25], v[28:29]
	s_wait_dscnt 0x2
	v_add_f64_e32 v[13:14], v[13:14], v[30:31]
	;; [unrolled: 2-line block ×3, first 2 shown]
	v_cmp_gt_i32_e32 vcc_lo, 32, v20
	s_wait_alu 0xfffd
	v_cndmask_b32_e32 v20, v34, v20, vcc_lo
	v_cmp_eq_u32_e32 vcc_lo, 7, v0
	s_delay_alu instid0(VALU_DEP_2)
	v_lshlrev_b32_e32 v29, 2, v20
	ds_bpermute_b32 v20, v29, v9
	ds_bpermute_b32 v21, v29, v10
	ds_bpermute_b32 v32, v29, v22
	ds_bpermute_b32 v33, v29, v23
	ds_bpermute_b32 v24, v29, v11
	ds_bpermute_b32 v25, v29, v12
	ds_bpermute_b32 v30, v29, v18
	ds_bpermute_b32 v31, v29, v19
	ds_bpermute_b32 v26, v29, v13
	ds_bpermute_b32 v27, v29, v14
	ds_bpermute_b32 v28, v29, v15
	ds_bpermute_b32 v29, v29, v16
	s_and_b32 exec_lo, exec_lo, vcc_lo
	s_cbranch_execz .LBB16_8
; %bb.24:
	s_wait_dscnt 0x8
	v_add_f64_e32 v[22:23], v[22:23], v[32:33]
	s_wait_dscnt 0x4
	v_add_f64_e32 v[18:19], v[18:19], v[30:31]
	;; [unrolled: 2-line block ×3, first 2 shown]
	v_add_f64_e32 v[9:10], v[9:10], v[20:21]
	v_add_f64_e32 v[11:12], v[11:12], v[24:25]
	v_add_f64_e32 v[20:21], v[13:14], v[26:27]
	v_cmp_eq_f64_e32 vcc_lo, 0, v[1:2]
	v_cmp_eq_f64_e64 s2, 0, v[3:4]
	s_load_b64 s[0:1], s[0:1], 0x60
	v_lshl_add_u32 v17, v17, 1, v17
	v_mul_f64_e64 v[13:14], v[22:23], -v[7:8]
	v_mul_f64_e32 v[22:23], v[5:6], v[22:23]
	v_mul_f64_e64 v[24:25], v[18:19], -v[7:8]
	v_mul_f64_e32 v[18:19], v[5:6], v[18:19]
	;; [unrolled: 2-line block ×3, first 2 shown]
	s_and_b32 s2, vcc_lo, s2
	v_fma_f64 v[13:14], v[5:6], v[9:10], v[13:14]
	v_fma_f64 v[15:16], v[7:8], v[9:10], v[22:23]
	;; [unrolled: 1-line block ×6, first 2 shown]
	v_ashrrev_i32_e32 v18, 31, v17
	s_wait_alu 0xfffe
	s_and_saveexec_b32 s3, s2
	s_wait_alu 0xfffe
	s_xor_b32 s2, exec_lo, s3
	s_cbranch_execz .LBB16_26
; %bb.25:
	v_lshlrev_b64_e32 v[0:1], 4, v[17:18]
                                        ; implicit-def: $vgpr17
	s_wait_kmcnt 0x0
	s_delay_alu instid0(VALU_DEP_1) | instskip(SKIP_1) | instid1(VALU_DEP_2)
	v_add_co_u32 v0, vcc_lo, s0, v0
	s_wait_alu 0xfffd
	v_add_co_ci_u32_e64 v1, null, s1, v1, vcc_lo
	s_clause 0x2
	global_store_b128 v[0:1], v[13:16], off
	global_store_b128 v[0:1], v[9:12], off offset:16
	global_store_b128 v[0:1], v[5:8], off offset:32
                                        ; implicit-def: $vgpr3_vgpr4
                                        ; implicit-def: $vgpr13_vgpr14
                                        ; implicit-def: $vgpr9_vgpr10
                                        ; implicit-def: $vgpr5_vgpr6
.LBB16_26:
	s_wait_alu 0xfffe
	s_and_not1_saveexec_b32 s2, s2
	s_cbranch_execz .LBB16_8
; %bb.27:
	v_lshlrev_b64_e32 v[17:18], 4, v[17:18]
	s_wait_kmcnt 0x0
	s_delay_alu instid0(VALU_DEP_1) | instskip(SKIP_1) | instid1(VALU_DEP_2)
	v_add_co_u32 v29, vcc_lo, s0, v17
	s_wait_alu 0xfffd
	v_add_co_ci_u32_e64 v30, null, s1, v18, vcc_lo
	s_clause 0x2
	global_load_b128 v[17:20], v[29:30], off
	global_load_b128 v[21:24], v[29:30], off offset:16
	global_load_b128 v[25:28], v[29:30], off offset:32
	s_wait_loadcnt 0x2
	v_fma_f64 v[13:14], v[1:2], v[17:18], v[13:14]
	v_fma_f64 v[15:16], v[3:4], v[17:18], v[15:16]
	s_wait_loadcnt 0x1
	v_fma_f64 v[9:10], v[1:2], v[21:22], v[9:10]
	v_fma_f64 v[11:12], v[3:4], v[21:22], v[11:12]
	;; [unrolled: 3-line block ×3, first 2 shown]
	v_fma_f64 v[5:6], -v[3:4], v[19:20], v[13:14]
	v_fma_f64 v[7:8], v[1:2], v[19:20], v[15:16]
	v_fma_f64 v[9:10], -v[3:4], v[23:24], v[9:10]
	v_fma_f64 v[11:12], v[1:2], v[23:24], v[11:12]
	;; [unrolled: 2-line block ×3, first 2 shown]
	s_clause 0x2
	global_store_b128 v[29:30], v[5:8], off
	global_store_b128 v[29:30], v[9:12], off offset:16
	global_store_b128 v[29:30], v[13:16], off offset:32
	s_endpgm
	.section	.rodata,"a",@progbits
	.p2align	6, 0x0
	.amdhsa_kernel _ZN9rocsparseL18bsrxmvn_3x3_kernelILj256ELj8E21rocsparse_complex_numIdEiiS2_S2_S2_EEvT3_20rocsparse_direction_NS_24const_host_device_scalarIT1_EES3_PKS3_PKT2_SC_S9_PKT4_PKT5_S7_PT6_21rocsparse_index_base_b
		.amdhsa_group_segment_fixed_size 0
		.amdhsa_private_segment_fixed_size 0
		.amdhsa_kernarg_size 112
		.amdhsa_user_sgpr_count 2
		.amdhsa_user_sgpr_dispatch_ptr 0
		.amdhsa_user_sgpr_queue_ptr 0
		.amdhsa_user_sgpr_kernarg_segment_ptr 1
		.amdhsa_user_sgpr_dispatch_id 0
		.amdhsa_user_sgpr_private_segment_size 0
		.amdhsa_wavefront_size32 1
		.amdhsa_uses_dynamic_stack 0
		.amdhsa_enable_private_segment 0
		.amdhsa_system_sgpr_workgroup_id_x 1
		.amdhsa_system_sgpr_workgroup_id_y 0
		.amdhsa_system_sgpr_workgroup_id_z 0
		.amdhsa_system_sgpr_workgroup_info 0
		.amdhsa_system_vgpr_workitem_id 0
		.amdhsa_next_free_vgpr 79
		.amdhsa_next_free_sgpr 14
		.amdhsa_reserve_vcc 1
		.amdhsa_float_round_mode_32 0
		.amdhsa_float_round_mode_16_64 0
		.amdhsa_float_denorm_mode_32 3
		.amdhsa_float_denorm_mode_16_64 3
		.amdhsa_fp16_overflow 0
		.amdhsa_workgroup_processor_mode 1
		.amdhsa_memory_ordered 1
		.amdhsa_forward_progress 1
		.amdhsa_inst_pref_size 25
		.amdhsa_round_robin_scheduling 0
		.amdhsa_exception_fp_ieee_invalid_op 0
		.amdhsa_exception_fp_denorm_src 0
		.amdhsa_exception_fp_ieee_div_zero 0
		.amdhsa_exception_fp_ieee_overflow 0
		.amdhsa_exception_fp_ieee_underflow 0
		.amdhsa_exception_fp_ieee_inexact 0
		.amdhsa_exception_int_div_zero 0
	.end_amdhsa_kernel
	.section	.text._ZN9rocsparseL18bsrxmvn_3x3_kernelILj256ELj8E21rocsparse_complex_numIdEiiS2_S2_S2_EEvT3_20rocsparse_direction_NS_24const_host_device_scalarIT1_EES3_PKS3_PKT2_SC_S9_PKT4_PKT5_S7_PT6_21rocsparse_index_base_b,"axG",@progbits,_ZN9rocsparseL18bsrxmvn_3x3_kernelILj256ELj8E21rocsparse_complex_numIdEiiS2_S2_S2_EEvT3_20rocsparse_direction_NS_24const_host_device_scalarIT1_EES3_PKS3_PKT2_SC_S9_PKT4_PKT5_S7_PT6_21rocsparse_index_base_b,comdat
.Lfunc_end16:
	.size	_ZN9rocsparseL18bsrxmvn_3x3_kernelILj256ELj8E21rocsparse_complex_numIdEiiS2_S2_S2_EEvT3_20rocsparse_direction_NS_24const_host_device_scalarIT1_EES3_PKS3_PKT2_SC_S9_PKT4_PKT5_S7_PT6_21rocsparse_index_base_b, .Lfunc_end16-_ZN9rocsparseL18bsrxmvn_3x3_kernelILj256ELj8E21rocsparse_complex_numIdEiiS2_S2_S2_EEvT3_20rocsparse_direction_NS_24const_host_device_scalarIT1_EES3_PKS3_PKT2_SC_S9_PKT4_PKT5_S7_PT6_21rocsparse_index_base_b
                                        ; -- End function
	.set _ZN9rocsparseL18bsrxmvn_3x3_kernelILj256ELj8E21rocsparse_complex_numIdEiiS2_S2_S2_EEvT3_20rocsparse_direction_NS_24const_host_device_scalarIT1_EES3_PKS3_PKT2_SC_S9_PKT4_PKT5_S7_PT6_21rocsparse_index_base_b.num_vgpr, 79
	.set _ZN9rocsparseL18bsrxmvn_3x3_kernelILj256ELj8E21rocsparse_complex_numIdEiiS2_S2_S2_EEvT3_20rocsparse_direction_NS_24const_host_device_scalarIT1_EES3_PKS3_PKT2_SC_S9_PKT4_PKT5_S7_PT6_21rocsparse_index_base_b.num_agpr, 0
	.set _ZN9rocsparseL18bsrxmvn_3x3_kernelILj256ELj8E21rocsparse_complex_numIdEiiS2_S2_S2_EEvT3_20rocsparse_direction_NS_24const_host_device_scalarIT1_EES3_PKS3_PKT2_SC_S9_PKT4_PKT5_S7_PT6_21rocsparse_index_base_b.numbered_sgpr, 14
	.set _ZN9rocsparseL18bsrxmvn_3x3_kernelILj256ELj8E21rocsparse_complex_numIdEiiS2_S2_S2_EEvT3_20rocsparse_direction_NS_24const_host_device_scalarIT1_EES3_PKS3_PKT2_SC_S9_PKT4_PKT5_S7_PT6_21rocsparse_index_base_b.num_named_barrier, 0
	.set _ZN9rocsparseL18bsrxmvn_3x3_kernelILj256ELj8E21rocsparse_complex_numIdEiiS2_S2_S2_EEvT3_20rocsparse_direction_NS_24const_host_device_scalarIT1_EES3_PKS3_PKT2_SC_S9_PKT4_PKT5_S7_PT6_21rocsparse_index_base_b.private_seg_size, 0
	.set _ZN9rocsparseL18bsrxmvn_3x3_kernelILj256ELj8E21rocsparse_complex_numIdEiiS2_S2_S2_EEvT3_20rocsparse_direction_NS_24const_host_device_scalarIT1_EES3_PKS3_PKT2_SC_S9_PKT4_PKT5_S7_PT6_21rocsparse_index_base_b.uses_vcc, 1
	.set _ZN9rocsparseL18bsrxmvn_3x3_kernelILj256ELj8E21rocsparse_complex_numIdEiiS2_S2_S2_EEvT3_20rocsparse_direction_NS_24const_host_device_scalarIT1_EES3_PKS3_PKT2_SC_S9_PKT4_PKT5_S7_PT6_21rocsparse_index_base_b.uses_flat_scratch, 0
	.set _ZN9rocsparseL18bsrxmvn_3x3_kernelILj256ELj8E21rocsparse_complex_numIdEiiS2_S2_S2_EEvT3_20rocsparse_direction_NS_24const_host_device_scalarIT1_EES3_PKS3_PKT2_SC_S9_PKT4_PKT5_S7_PT6_21rocsparse_index_base_b.has_dyn_sized_stack, 0
	.set _ZN9rocsparseL18bsrxmvn_3x3_kernelILj256ELj8E21rocsparse_complex_numIdEiiS2_S2_S2_EEvT3_20rocsparse_direction_NS_24const_host_device_scalarIT1_EES3_PKS3_PKT2_SC_S9_PKT4_PKT5_S7_PT6_21rocsparse_index_base_b.has_recursion, 0
	.set _ZN9rocsparseL18bsrxmvn_3x3_kernelILj256ELj8E21rocsparse_complex_numIdEiiS2_S2_S2_EEvT3_20rocsparse_direction_NS_24const_host_device_scalarIT1_EES3_PKS3_PKT2_SC_S9_PKT4_PKT5_S7_PT6_21rocsparse_index_base_b.has_indirect_call, 0
	.section	.AMDGPU.csdata,"",@progbits
; Kernel info:
; codeLenInByte = 3080
; TotalNumSgprs: 16
; NumVgprs: 79
; ScratchSize: 0
; MemoryBound: 0
; FloatMode: 240
; IeeeMode: 1
; LDSByteSize: 0 bytes/workgroup (compile time only)
; SGPRBlocks: 0
; VGPRBlocks: 9
; NumSGPRsForWavesPerEU: 16
; NumVGPRsForWavesPerEU: 79
; Occupancy: 16
; WaveLimiterHint : 1
; COMPUTE_PGM_RSRC2:SCRATCH_EN: 0
; COMPUTE_PGM_RSRC2:USER_SGPR: 2
; COMPUTE_PGM_RSRC2:TRAP_HANDLER: 0
; COMPUTE_PGM_RSRC2:TGID_X_EN: 1
; COMPUTE_PGM_RSRC2:TGID_Y_EN: 0
; COMPUTE_PGM_RSRC2:TGID_Z_EN: 0
; COMPUTE_PGM_RSRC2:TIDIG_COMP_CNT: 0
	.section	.text._ZN9rocsparseL18bsrxmvn_3x3_kernelILj256ELj16E21rocsparse_complex_numIdEiiS2_S2_S2_EEvT3_20rocsparse_direction_NS_24const_host_device_scalarIT1_EES3_PKS3_PKT2_SC_S9_PKT4_PKT5_S7_PT6_21rocsparse_index_base_b,"axG",@progbits,_ZN9rocsparseL18bsrxmvn_3x3_kernelILj256ELj16E21rocsparse_complex_numIdEiiS2_S2_S2_EEvT3_20rocsparse_direction_NS_24const_host_device_scalarIT1_EES3_PKS3_PKT2_SC_S9_PKT4_PKT5_S7_PT6_21rocsparse_index_base_b,comdat
	.globl	_ZN9rocsparseL18bsrxmvn_3x3_kernelILj256ELj16E21rocsparse_complex_numIdEiiS2_S2_S2_EEvT3_20rocsparse_direction_NS_24const_host_device_scalarIT1_EES3_PKS3_PKT2_SC_S9_PKT4_PKT5_S7_PT6_21rocsparse_index_base_b ; -- Begin function _ZN9rocsparseL18bsrxmvn_3x3_kernelILj256ELj16E21rocsparse_complex_numIdEiiS2_S2_S2_EEvT3_20rocsparse_direction_NS_24const_host_device_scalarIT1_EES3_PKS3_PKT2_SC_S9_PKT4_PKT5_S7_PT6_21rocsparse_index_base_b
	.p2align	8
	.type	_ZN9rocsparseL18bsrxmvn_3x3_kernelILj256ELj16E21rocsparse_complex_numIdEiiS2_S2_S2_EEvT3_20rocsparse_direction_NS_24const_host_device_scalarIT1_EES3_PKS3_PKT2_SC_S9_PKT4_PKT5_S7_PT6_21rocsparse_index_base_b,@function
_ZN9rocsparseL18bsrxmvn_3x3_kernelILj256ELj16E21rocsparse_complex_numIdEiiS2_S2_S2_EEvT3_20rocsparse_direction_NS_24const_host_device_scalarIT1_EES3_PKS3_PKT2_SC_S9_PKT4_PKT5_S7_PT6_21rocsparse_index_base_b: ; @_ZN9rocsparseL18bsrxmvn_3x3_kernelILj256ELj16E21rocsparse_complex_numIdEiiS2_S2_S2_EEvT3_20rocsparse_direction_NS_24const_host_device_scalarIT1_EES3_PKS3_PKT2_SC_S9_PKT4_PKT5_S7_PT6_21rocsparse_index_base_b
; %bb.0:
	s_clause 0x1
	s_load_b64 s[12:13], s[0:1], 0x68
	s_load_b64 s[2:3], s[0:1], 0x8
	s_add_nc_u64 s[4:5], s[0:1], 8
	s_load_b64 s[6:7], s[0:1], 0x50
	s_wait_kmcnt 0x0
	s_bitcmp1_b32 s13, 0
	s_cselect_b32 s2, s4, s2
	s_cselect_b32 s3, s5, s3
	s_delay_alu instid0(SALU_CYCLE_1)
	v_dual_mov_b32 v1, s2 :: v_dual_mov_b32 v2, s3
	s_add_nc_u64 s[2:3], s[0:1], 0x50
	s_wait_alu 0xfffe
	s_cselect_b32 s2, s2, s6
	s_cselect_b32 s3, s3, s7
	flat_load_b128 v[5:8], v[1:2]
	s_wait_alu 0xfffe
	v_dual_mov_b32 v1, s2 :: v_dual_mov_b32 v2, s3
	flat_load_b128 v[1:4], v[1:2]
	s_wait_loadcnt_dscnt 0x101
	v_cmp_eq_f64_e32 vcc_lo, 0, v[5:6]
	v_cmp_eq_f64_e64 s2, 0, v[7:8]
	s_and_b32 s4, vcc_lo, s2
	s_mov_b32 s2, -1
	s_and_saveexec_b32 s3, s4
	s_cbranch_execz .LBB17_2
; %bb.1:
	s_wait_loadcnt_dscnt 0x0
	v_cmp_neq_f64_e32 vcc_lo, 1.0, v[1:2]
	v_cmp_neq_f64_e64 s2, 0, v[3:4]
	s_wait_alu 0xfffe
	s_or_b32 s2, vcc_lo, s2
	s_wait_alu 0xfffe
	s_or_not1_b32 s2, s2, exec_lo
.LBB17_2:
	s_wait_alu 0xfffe
	s_or_b32 exec_lo, exec_lo, s3
	s_and_saveexec_b32 s3, s2
	s_cbranch_execz .LBB17_8
; %bb.3:
	s_clause 0x1
	s_load_b64 s[4:5], s[0:1], 0x20
	s_load_b64 s[2:3], s[0:1], 0x0
	v_lshrrev_b32_e32 v9, 4, v0
	s_delay_alu instid0(VALU_DEP_1)
	v_lshl_or_b32 v17, ttmp9, 4, v9
	s_wait_kmcnt 0x0
	s_cmp_lg_u64 s[4:5], 0
	s_cbranch_scc0 .LBB17_9
; %bb.4:
	s_load_b32 s6, s[0:1], 0x18
	s_mov_b32 s7, 0
                                        ; implicit-def: $vgpr9
	s_wait_kmcnt 0x0
	v_cmp_gt_i32_e32 vcc_lo, s6, v17
	s_mov_b32 s6, 0
	s_and_saveexec_b32 s8, vcc_lo
	s_delay_alu instid0(SALU_CYCLE_1)
	s_xor_b32 s8, exec_lo, s8
	s_cbranch_execz .LBB17_6
; %bb.5:
	v_ashrrev_i32_e32 v18, 31, v17
	s_mov_b32 s6, exec_lo
	s_delay_alu instid0(VALU_DEP_1) | instskip(NEXT) | instid1(VALU_DEP_1)
	v_lshlrev_b64_e32 v[9:10], 2, v[17:18]
	v_add_co_u32 v9, vcc_lo, s4, v9
	s_delay_alu instid0(VALU_DEP_1)
	v_add_co_ci_u32_e64 v10, null, s5, v10, vcc_lo
	global_load_b32 v9, v[9:10], off
	s_wait_loadcnt 0x0
	v_subrev_nc_u32_e32 v9, s12, v9
.LBB17_6:
	s_or_b32 exec_lo, exec_lo, s8
	s_delay_alu instid0(SALU_CYCLE_1)
	s_and_b32 vcc_lo, exec_lo, s7
	s_wait_alu 0xfffe
	s_cbranch_vccz .LBB17_10
.LBB17_7:
	v_cmp_gt_i32_e32 vcc_lo, s2, v17
	s_and_not1_b32 s2, s6, exec_lo
	s_and_b32 s4, vcc_lo, exec_lo
	s_wait_alu 0xfffe
	s_or_b32 s6, s2, s4
	s_wait_alu 0xfffe
	s_and_b32 exec_lo, exec_lo, s6
	s_cbranch_execnz .LBB17_11
.LBB17_8:
	s_endpgm
.LBB17_9:
	s_mov_b32 s6, 0
                                        ; implicit-def: $vgpr9
	s_cbranch_execnz .LBB17_7
.LBB17_10:
	v_mov_b32_e32 v17, v9
	s_and_b32 exec_lo, exec_lo, s6
	s_cbranch_execz .LBB17_8
.LBB17_11:
	s_load_b256 s[4:11], s[0:1], 0x28
	s_delay_alu instid0(VALU_DEP_1) | instskip(SKIP_1) | instid1(VALU_DEP_2)
	v_ashrrev_i32_e32 v18, 31, v17
	v_and_b32_e32 v0, 15, v0
	v_lshlrev_b64_e32 v[9:10], 2, v[17:18]
	s_wait_kmcnt 0x0
	s_delay_alu instid0(VALU_DEP_1) | instskip(SKIP_1) | instid1(VALU_DEP_2)
	v_add_co_u32 v11, vcc_lo, s4, v9
	s_wait_alu 0xfffd
	v_add_co_ci_u32_e64 v12, null, s5, v10, vcc_lo
	v_add_co_u32 v9, vcc_lo, s6, v9
	s_wait_alu 0xfffd
	v_add_co_ci_u32_e64 v10, null, s7, v10, vcc_lo
	;; [unrolled: 3-line block ×3, first 2 shown]
	s_cmp_eq_u64 s[6:7], 0
	global_load_b32 v11, v[11:12], off
	s_cselect_b32 vcc_lo, -1, 0
	s_load_b64 s[4:5], s[0:1], 0x48
	v_dual_cndmask_b32 v10, v10, v14 :: v_dual_cndmask_b32 v9, v9, v13
	s_cmp_eq_u32 s3, 1
	global_load_b32 v9, v[9:10], off
	s_wait_loadcnt 0x1
	v_subrev_nc_u32_e32 v10, s12, v11
	s_delay_alu instid0(VALU_DEP_1) | instskip(SKIP_2) | instid1(VALU_DEP_2)
	v_add_nc_u32_e32 v22, v10, v0
	s_wait_loadcnt 0x0
	v_subrev_nc_u32_e32 v30, s12, v9
	v_mad_co_i64_i32 v[24:25], null, 0x90, v22, s[10:11]
	s_delay_alu instid0(VALU_DEP_2)
	v_cmp_lt_i32_e64 s2, v22, v30
	s_cbranch_scc1 .LBB17_17
; %bb.12:
	v_mov_b32_e32 v9, 0
	v_dual_mov_b32 v13, 0 :: v_dual_mov_b32 v18, 0
	v_dual_mov_b32 v10, 0 :: v_dual_mov_b32 v11, 0
	v_dual_mov_b32 v14, 0 :: v_dual_mov_b32 v15, 0
	v_dual_mov_b32 v19, 0 :: v_dual_mov_b32 v20, 0
	v_mov_b32_e32 v12, 0
	v_dual_mov_b32 v16, 0 :: v_dual_mov_b32 v21, 0
	s_and_saveexec_b32 s6, s2
	s_cbranch_execz .LBB17_16
; %bb.13:
	v_dual_mov_b32 v9, 0 :: v_dual_mov_b32 v26, v22
	v_dual_mov_b32 v10, 0 :: v_dual_mov_b32 v11, 0
	;; [unrolled: 1-line block ×4, first 2 shown]
	v_mov_b32_e32 v18, 0
	v_dual_mov_b32 v20, 0 :: v_dual_mov_b32 v29, v25
	v_dual_mov_b32 v16, 0 :: v_dual_mov_b32 v19, 0
	;; [unrolled: 1-line block ×3, first 2 shown]
	s_mov_b32 s7, 0
.LBB17_14:                              ; =>This Inner Loop Header: Depth=1
	v_ashrrev_i32_e32 v27, 31, v26
	s_delay_alu instid0(VALU_DEP_1) | instskip(SKIP_1) | instid1(VALU_DEP_2)
	v_lshlrev_b64_e32 v[31:32], 2, v[26:27]
	v_add_nc_u32_e32 v26, 16, v26
	v_add_co_u32 v31, vcc_lo, s8, v31
	s_wait_alu 0xfffd
	s_delay_alu instid0(VALU_DEP_3)
	v_add_co_ci_u32_e64 v32, null, s9, v32, vcc_lo
	global_load_b32 v23, v[31:32], off
	s_clause 0x4
	global_load_b128 v[31:34], v[28:29], off offset:48
	global_load_b128 v[35:38], v[28:29], off offset:16
	global_load_b128 v[39:42], v[28:29], off
	global_load_b128 v[43:46], v[28:29], off offset:112
	global_load_b128 v[47:50], v[28:29], off offset:96
	s_wait_loadcnt 0x5
	v_subrev_nc_u32_e32 v23, s12, v23
	s_delay_alu instid0(VALU_DEP_1) | instskip(NEXT) | instid1(VALU_DEP_1)
	v_lshl_add_u32 v51, v23, 1, v23
	v_ashrrev_i32_e32 v52, 31, v51
	s_delay_alu instid0(VALU_DEP_1) | instskip(SKIP_1) | instid1(VALU_DEP_1)
	v_lshlrev_b64_e32 v[51:52], 4, v[51:52]
	s_wait_kmcnt 0x0
	v_add_co_u32 v75, vcc_lo, s4, v51
	s_wait_alu 0xfffd
	s_delay_alu instid0(VALU_DEP_2)
	v_add_co_ci_u32_e64 v76, null, s5, v52, vcc_lo
	v_cmp_ge_i32_e32 vcc_lo, v26, v30
	s_clause 0x1
	global_load_b128 v[51:54], v[75:76], off
	global_load_b128 v[55:58], v[75:76], off offset:16
	s_clause 0x3
	global_load_b128 v[59:62], v[28:29], off offset:64
	global_load_b128 v[63:66], v[28:29], off offset:80
	;; [unrolled: 1-line block ×5, first 2 shown]
	v_add_co_u32 v28, s3, 0x900, v28
	s_wait_alu 0xf1ff
	v_add_co_ci_u32_e64 v29, null, 0, v29, s3
	s_wait_alu 0xfffe
	s_or_b32 s7, vcc_lo, s7
	s_wait_loadcnt 0x6
	v_fma_f64 v[11:12], v[39:40], v[51:52], v[11:12]
	v_fma_f64 v[9:10], v[41:42], v[51:52], v[9:10]
	;; [unrolled: 1-line block ×6, first 2 shown]
	v_fma_f64 v[11:12], -v[41:42], v[53:54], v[11:12]
	v_fma_f64 v[9:10], v[39:40], v[53:54], v[9:10]
	v_fma_f64 v[18:19], -v[33:34], v[53:54], v[18:19]
	v_fma_f64 v[20:21], v[31:32], v[53:54], v[20:21]
	;; [unrolled: 2-line block ×3, first 2 shown]
	s_wait_loadcnt 0x5
	v_fma_f64 v[11:12], v[35:36], v[55:56], v[11:12]
	v_fma_f64 v[9:10], v[37:38], v[55:56], v[9:10]
	s_wait_loadcnt 0x4
	v_fma_f64 v[18:19], v[59:60], v[55:56], v[18:19]
	v_fma_f64 v[20:21], v[61:62], v[55:56], v[20:21]
	;; [unrolled: 1-line block ×4, first 2 shown]
	v_fma_f64 v[11:12], -v[37:38], v[57:58], v[11:12]
	v_fma_f64 v[9:10], v[35:36], v[57:58], v[9:10]
	v_fma_f64 v[18:19], -v[61:62], v[57:58], v[18:19]
	v_fma_f64 v[20:21], v[59:60], v[57:58], v[20:21]
	;; [unrolled: 2-line block ×3, first 2 shown]
	s_wait_loadcnt 0x0
	v_fma_f64 v[11:12], v[67:68], v[75:76], v[11:12]
	v_fma_f64 v[9:10], v[69:70], v[75:76], v[9:10]
	;; [unrolled: 1-line block ×6, first 2 shown]
	v_fma_f64 v[11:12], -v[69:70], v[77:78], v[11:12]
	v_fma_f64 v[9:10], v[67:68], v[77:78], v[9:10]
	v_fma_f64 v[18:19], -v[65:66], v[77:78], v[18:19]
	v_fma_f64 v[20:21], v[63:64], v[77:78], v[20:21]
	;; [unrolled: 2-line block ×3, first 2 shown]
	s_wait_alu 0xfffe
	s_and_not1_b32 exec_lo, exec_lo, s7
	s_cbranch_execnz .LBB17_14
; %bb.15:
	s_or_b32 exec_lo, exec_lo, s7
.LBB17_16:
	s_wait_alu 0xfffe
	s_or_b32 exec_lo, exec_lo, s6
	s_cbranch_execz .LBB17_18
	s_branch .LBB17_23
.LBB17_17:
                                        ; implicit-def: $vgpr9_vgpr10
                                        ; implicit-def: $vgpr11_vgpr12
                                        ; implicit-def: $vgpr13_vgpr14
                                        ; implicit-def: $vgpr15_vgpr16
                                        ; implicit-def: $vgpr18_vgpr19
                                        ; implicit-def: $vgpr20_vgpr21
.LBB17_18:
	v_mov_b32_e32 v9, 0
	v_dual_mov_b32 v13, 0 :: v_dual_mov_b32 v18, 0
	v_dual_mov_b32 v10, 0 :: v_dual_mov_b32 v11, 0
	;; [unrolled: 1-line block ×4, first 2 shown]
	v_mov_b32_e32 v12, 0
	v_dual_mov_b32 v16, 0 :: v_dual_mov_b32 v21, 0
	s_and_saveexec_b32 s3, s2
	s_cbranch_execz .LBB17_22
; %bb.19:
	v_mov_b32_e32 v9, 0
	v_dual_mov_b32 v13, 0 :: v_dual_mov_b32 v18, 0
	v_dual_mov_b32 v10, 0 :: v_dual_mov_b32 v11, 0
	;; [unrolled: 1-line block ×4, first 2 shown]
	v_mov_b32_e32 v12, 0
	v_dual_mov_b32 v16, 0 :: v_dual_mov_b32 v21, 0
	s_mov_b32 s6, 0
.LBB17_20:                              ; =>This Inner Loop Header: Depth=1
	v_ashrrev_i32_e32 v23, 31, v22
	s_delay_alu instid0(VALU_DEP_1) | instskip(SKIP_1) | instid1(VALU_DEP_2)
	v_lshlrev_b64_e32 v[26:27], 2, v[22:23]
	v_add_nc_u32_e32 v22, 16, v22
	v_add_co_u32 v26, vcc_lo, s8, v26
	s_wait_alu 0xfffd
	s_delay_alu instid0(VALU_DEP_3)
	v_add_co_ci_u32_e64 v27, null, s9, v27, vcc_lo
	global_load_b32 v23, v[26:27], off
	s_clause 0x3
	global_load_b128 v[26:29], v[24:25], off offset:48
	global_load_b128 v[31:34], v[24:25], off offset:32
	;; [unrolled: 1-line block ×3, first 2 shown]
	global_load_b128 v[39:42], v[24:25], off
	s_wait_loadcnt 0x4
	v_subrev_nc_u32_e32 v23, s12, v23
	s_delay_alu instid0(VALU_DEP_1) | instskip(NEXT) | instid1(VALU_DEP_1)
	v_lshl_add_u32 v43, v23, 1, v23
	v_ashrrev_i32_e32 v44, 31, v43
	s_delay_alu instid0(VALU_DEP_1) | instskip(SKIP_1) | instid1(VALU_DEP_1)
	v_lshlrev_b64_e32 v[43:44], 4, v[43:44]
	s_wait_kmcnt 0x0
	v_add_co_u32 v71, vcc_lo, s4, v43
	s_wait_alu 0xfffd
	s_delay_alu instid0(VALU_DEP_2)
	v_add_co_ci_u32_e64 v72, null, s5, v44, vcc_lo
	v_cmp_ge_i32_e32 vcc_lo, v22, v30
	s_clause 0x1
	global_load_b128 v[43:46], v[71:72], off
	global_load_b128 v[47:50], v[71:72], off offset:16
	s_clause 0x4
	global_load_b128 v[51:54], v[24:25], off offset:64
	global_load_b128 v[55:58], v[24:25], off offset:80
	global_load_b128 v[59:62], v[24:25], off offset:112
	global_load_b128 v[63:66], v[24:25], off offset:96
	global_load_b128 v[67:70], v[24:25], off offset:128
	global_load_b128 v[71:74], v[71:72], off offset:32
	v_add_co_u32 v24, s2, 0x900, v24
	s_wait_alu 0xf1ff
	v_add_co_ci_u32_e64 v25, null, 0, v25, s2
	s_wait_alu 0xfffe
	s_or_b32 s6, vcc_lo, s6
	s_wait_loadcnt 0x7
	v_fma_f64 v[11:12], v[39:40], v[43:44], v[11:12]
	v_fma_f64 v[9:10], v[41:42], v[43:44], v[9:10]
	;; [unrolled: 1-line block ×6, first 2 shown]
	v_fma_f64 v[11:12], -v[41:42], v[45:46], v[11:12]
	v_fma_f64 v[9:10], v[39:40], v[45:46], v[9:10]
	v_fma_f64 v[18:19], -v[37:38], v[45:46], v[18:19]
	v_fma_f64 v[20:21], v[35:36], v[45:46], v[20:21]
	;; [unrolled: 2-line block ×3, first 2 shown]
	s_wait_loadcnt 0x6
	v_fma_f64 v[11:12], v[26:27], v[47:48], v[11:12]
	v_fma_f64 v[9:10], v[28:29], v[47:48], v[9:10]
	s_wait_loadcnt 0x5
	v_fma_f64 v[18:19], v[51:52], v[47:48], v[18:19]
	v_fma_f64 v[20:21], v[53:54], v[47:48], v[20:21]
	;; [unrolled: 3-line block ×3, first 2 shown]
	v_fma_f64 v[11:12], -v[28:29], v[49:50], v[11:12]
	v_fma_f64 v[9:10], v[26:27], v[49:50], v[9:10]
	v_fma_f64 v[18:19], -v[53:54], v[49:50], v[18:19]
	v_fma_f64 v[20:21], v[51:52], v[49:50], v[20:21]
	;; [unrolled: 2-line block ×3, first 2 shown]
	s_wait_loadcnt 0x0
	v_fma_f64 v[11:12], v[63:64], v[71:72], v[11:12]
	v_fma_f64 v[9:10], v[65:66], v[71:72], v[9:10]
	;; [unrolled: 1-line block ×6, first 2 shown]
	v_fma_f64 v[11:12], -v[65:66], v[73:74], v[11:12]
	v_fma_f64 v[9:10], v[63:64], v[73:74], v[9:10]
	v_fma_f64 v[18:19], -v[61:62], v[73:74], v[18:19]
	v_fma_f64 v[20:21], v[59:60], v[73:74], v[20:21]
	;; [unrolled: 2-line block ×3, first 2 shown]
	s_wait_alu 0xfffe
	s_and_not1_b32 exec_lo, exec_lo, s6
	s_cbranch_execnz .LBB17_20
; %bb.21:
	s_or_b32 exec_lo, exec_lo, s6
.LBB17_22:
	s_wait_alu 0xfffe
	s_or_b32 exec_lo, exec_lo, s3
.LBB17_23:
	v_mbcnt_lo_u32_b32 v34, -1, 0
	s_delay_alu instid0(VALU_DEP_1) | instskip(NEXT) | instid1(VALU_DEP_1)
	v_xor_b32_e32 v22, 8, v34
	v_cmp_gt_i32_e32 vcc_lo, 32, v22
	s_wait_alu 0xfffd
	v_cndmask_b32_e32 v22, v34, v22, vcc_lo
	s_delay_alu instid0(VALU_DEP_1)
	v_lshlrev_b32_e32 v33, 2, v22
	ds_bpermute_b32 v22, v33, v11
	ds_bpermute_b32 v23, v33, v12
	;; [unrolled: 1-line block ×12, first 2 shown]
	s_wait_dscnt 0xa
	v_add_f64_e32 v[11:12], v[11:12], v[22:23]
	v_xor_b32_e32 v22, 4, v34
	s_wait_dscnt 0x8
	v_add_f64_e32 v[9:10], v[9:10], v[24:25]
	s_wait_dscnt 0x6
	v_add_f64_e32 v[18:19], v[18:19], v[26:27]
	s_wait_dscnt 0x4
	v_add_f64_e32 v[20:21], v[20:21], v[28:29]
	v_cmp_gt_i32_e32 vcc_lo, 32, v22
	s_wait_dscnt 0x2
	v_add_f64_e32 v[13:14], v[13:14], v[30:31]
	s_wait_dscnt 0x0
	v_add_f64_e32 v[15:16], v[15:16], v[32:33]
	s_wait_alu 0xfffd
	v_cndmask_b32_e32 v22, v34, v22, vcc_lo
	s_delay_alu instid0(VALU_DEP_1)
	v_lshlrev_b32_e32 v33, 2, v22
	ds_bpermute_b32 v22, v33, v11
	ds_bpermute_b32 v23, v33, v12
	;; [unrolled: 1-line block ×12, first 2 shown]
	s_wait_dscnt 0xa
	v_add_f64_e32 v[11:12], v[11:12], v[22:23]
	s_wait_dscnt 0x8
	v_add_f64_e32 v[22:23], v[9:10], v[24:25]
	v_xor_b32_e32 v9, 2, v34
	s_wait_dscnt 0x6
	v_add_f64_e32 v[18:19], v[18:19], v[26:27]
	s_wait_dscnt 0x4
	v_add_f64_e32 v[20:21], v[20:21], v[28:29]
	s_wait_dscnt 0x2
	v_add_f64_e32 v[13:14], v[13:14], v[30:31]
	v_cmp_gt_i32_e32 vcc_lo, 32, v9
	s_wait_dscnt 0x0
	v_add_f64_e32 v[15:16], v[15:16], v[32:33]
	s_wait_alu 0xfffd
	v_cndmask_b32_e32 v9, v34, v9, vcc_lo
	s_delay_alu instid0(VALU_DEP_1)
	v_lshlrev_b32_e32 v33, 2, v9
	ds_bpermute_b32 v9, v33, v11
	ds_bpermute_b32 v10, v33, v12
	;; [unrolled: 1-line block ×12, first 2 shown]
	s_wait_dscnt 0xa
	v_add_f64_e32 v[9:10], v[11:12], v[9:10]
	s_wait_dscnt 0x8
	v_add_f64_e32 v[22:23], v[22:23], v[24:25]
	;; [unrolled: 2-line block ×4, first 2 shown]
	v_xor_b32_e32 v20, 1, v34
	s_wait_dscnt 0x2
	v_add_f64_e32 v[13:14], v[13:14], v[30:31]
	s_wait_dscnt 0x0
	v_add_f64_e32 v[15:16], v[15:16], v[32:33]
	v_cmp_gt_i32_e32 vcc_lo, 32, v20
	s_wait_alu 0xfffd
	v_cndmask_b32_e32 v20, v34, v20, vcc_lo
	v_cmp_eq_u32_e32 vcc_lo, 15, v0
	s_delay_alu instid0(VALU_DEP_2)
	v_lshlrev_b32_e32 v29, 2, v20
	ds_bpermute_b32 v20, v29, v9
	ds_bpermute_b32 v21, v29, v10
	;; [unrolled: 1-line block ×12, first 2 shown]
	s_and_b32 exec_lo, exec_lo, vcc_lo
	s_cbranch_execz .LBB17_8
; %bb.24:
	s_wait_dscnt 0x8
	v_add_f64_e32 v[22:23], v[22:23], v[32:33]
	s_wait_dscnt 0x4
	v_add_f64_e32 v[18:19], v[18:19], v[30:31]
	s_wait_dscnt 0x0
	v_add_f64_e32 v[15:16], v[15:16], v[28:29]
	v_add_f64_e32 v[9:10], v[9:10], v[20:21]
	v_add_f64_e32 v[11:12], v[11:12], v[24:25]
	;; [unrolled: 1-line block ×3, first 2 shown]
	v_cmp_eq_f64_e32 vcc_lo, 0, v[1:2]
	v_cmp_eq_f64_e64 s2, 0, v[3:4]
	s_load_b64 s[0:1], s[0:1], 0x60
	v_lshl_add_u32 v17, v17, 1, v17
	v_mul_f64_e64 v[13:14], v[22:23], -v[7:8]
	v_mul_f64_e32 v[22:23], v[5:6], v[22:23]
	v_mul_f64_e64 v[24:25], v[18:19], -v[7:8]
	v_mul_f64_e32 v[18:19], v[5:6], v[18:19]
	v_mul_f64_e64 v[26:27], v[15:16], -v[7:8]
	v_mul_f64_e32 v[28:29], v[5:6], v[15:16]
	s_and_b32 s2, vcc_lo, s2
	v_fma_f64 v[13:14], v[5:6], v[9:10], v[13:14]
	v_fma_f64 v[15:16], v[7:8], v[9:10], v[22:23]
	;; [unrolled: 1-line block ×6, first 2 shown]
	v_ashrrev_i32_e32 v18, 31, v17
	s_wait_alu 0xfffe
	s_and_saveexec_b32 s3, s2
	s_wait_alu 0xfffe
	s_xor_b32 s2, exec_lo, s3
	s_cbranch_execz .LBB17_26
; %bb.25:
	v_lshlrev_b64_e32 v[0:1], 4, v[17:18]
                                        ; implicit-def: $vgpr17
	s_wait_kmcnt 0x0
	s_delay_alu instid0(VALU_DEP_1) | instskip(SKIP_1) | instid1(VALU_DEP_2)
	v_add_co_u32 v0, vcc_lo, s0, v0
	s_wait_alu 0xfffd
	v_add_co_ci_u32_e64 v1, null, s1, v1, vcc_lo
	s_clause 0x2
	global_store_b128 v[0:1], v[13:16], off
	global_store_b128 v[0:1], v[9:12], off offset:16
	global_store_b128 v[0:1], v[5:8], off offset:32
                                        ; implicit-def: $vgpr3_vgpr4
                                        ; implicit-def: $vgpr13_vgpr14
                                        ; implicit-def: $vgpr9_vgpr10
                                        ; implicit-def: $vgpr5_vgpr6
.LBB17_26:
	s_wait_alu 0xfffe
	s_and_not1_saveexec_b32 s2, s2
	s_cbranch_execz .LBB17_8
; %bb.27:
	v_lshlrev_b64_e32 v[17:18], 4, v[17:18]
	s_wait_kmcnt 0x0
	s_delay_alu instid0(VALU_DEP_1) | instskip(SKIP_1) | instid1(VALU_DEP_2)
	v_add_co_u32 v29, vcc_lo, s0, v17
	s_wait_alu 0xfffd
	v_add_co_ci_u32_e64 v30, null, s1, v18, vcc_lo
	s_clause 0x2
	global_load_b128 v[17:20], v[29:30], off
	global_load_b128 v[21:24], v[29:30], off offset:16
	global_load_b128 v[25:28], v[29:30], off offset:32
	s_wait_loadcnt 0x2
	v_fma_f64 v[13:14], v[1:2], v[17:18], v[13:14]
	v_fma_f64 v[15:16], v[3:4], v[17:18], v[15:16]
	s_wait_loadcnt 0x1
	v_fma_f64 v[9:10], v[1:2], v[21:22], v[9:10]
	v_fma_f64 v[11:12], v[3:4], v[21:22], v[11:12]
	;; [unrolled: 3-line block ×3, first 2 shown]
	v_fma_f64 v[5:6], -v[3:4], v[19:20], v[13:14]
	v_fma_f64 v[7:8], v[1:2], v[19:20], v[15:16]
	v_fma_f64 v[9:10], -v[3:4], v[23:24], v[9:10]
	v_fma_f64 v[11:12], v[1:2], v[23:24], v[11:12]
	v_fma_f64 v[13:14], -v[3:4], v[27:28], v[17:18]
	v_fma_f64 v[15:16], v[1:2], v[27:28], v[21:22]
	s_clause 0x2
	global_store_b128 v[29:30], v[5:8], off
	global_store_b128 v[29:30], v[9:12], off offset:16
	global_store_b128 v[29:30], v[13:16], off offset:32
	s_endpgm
	.section	.rodata,"a",@progbits
	.p2align	6, 0x0
	.amdhsa_kernel _ZN9rocsparseL18bsrxmvn_3x3_kernelILj256ELj16E21rocsparse_complex_numIdEiiS2_S2_S2_EEvT3_20rocsparse_direction_NS_24const_host_device_scalarIT1_EES3_PKS3_PKT2_SC_S9_PKT4_PKT5_S7_PT6_21rocsparse_index_base_b
		.amdhsa_group_segment_fixed_size 0
		.amdhsa_private_segment_fixed_size 0
		.amdhsa_kernarg_size 112
		.amdhsa_user_sgpr_count 2
		.amdhsa_user_sgpr_dispatch_ptr 0
		.amdhsa_user_sgpr_queue_ptr 0
		.amdhsa_user_sgpr_kernarg_segment_ptr 1
		.amdhsa_user_sgpr_dispatch_id 0
		.amdhsa_user_sgpr_private_segment_size 0
		.amdhsa_wavefront_size32 1
		.amdhsa_uses_dynamic_stack 0
		.amdhsa_enable_private_segment 0
		.amdhsa_system_sgpr_workgroup_id_x 1
		.amdhsa_system_sgpr_workgroup_id_y 0
		.amdhsa_system_sgpr_workgroup_id_z 0
		.amdhsa_system_sgpr_workgroup_info 0
		.amdhsa_system_vgpr_workitem_id 0
		.amdhsa_next_free_vgpr 79
		.amdhsa_next_free_sgpr 14
		.amdhsa_reserve_vcc 1
		.amdhsa_float_round_mode_32 0
		.amdhsa_float_round_mode_16_64 0
		.amdhsa_float_denorm_mode_32 3
		.amdhsa_float_denorm_mode_16_64 3
		.amdhsa_fp16_overflow 0
		.amdhsa_workgroup_processor_mode 1
		.amdhsa_memory_ordered 1
		.amdhsa_forward_progress 1
		.amdhsa_inst_pref_size 26
		.amdhsa_round_robin_scheduling 0
		.amdhsa_exception_fp_ieee_invalid_op 0
		.amdhsa_exception_fp_denorm_src 0
		.amdhsa_exception_fp_ieee_div_zero 0
		.amdhsa_exception_fp_ieee_overflow 0
		.amdhsa_exception_fp_ieee_underflow 0
		.amdhsa_exception_fp_ieee_inexact 0
		.amdhsa_exception_int_div_zero 0
	.end_amdhsa_kernel
	.section	.text._ZN9rocsparseL18bsrxmvn_3x3_kernelILj256ELj16E21rocsparse_complex_numIdEiiS2_S2_S2_EEvT3_20rocsparse_direction_NS_24const_host_device_scalarIT1_EES3_PKS3_PKT2_SC_S9_PKT4_PKT5_S7_PT6_21rocsparse_index_base_b,"axG",@progbits,_ZN9rocsparseL18bsrxmvn_3x3_kernelILj256ELj16E21rocsparse_complex_numIdEiiS2_S2_S2_EEvT3_20rocsparse_direction_NS_24const_host_device_scalarIT1_EES3_PKS3_PKT2_SC_S9_PKT4_PKT5_S7_PT6_21rocsparse_index_base_b,comdat
.Lfunc_end17:
	.size	_ZN9rocsparseL18bsrxmvn_3x3_kernelILj256ELj16E21rocsparse_complex_numIdEiiS2_S2_S2_EEvT3_20rocsparse_direction_NS_24const_host_device_scalarIT1_EES3_PKS3_PKT2_SC_S9_PKT4_PKT5_S7_PT6_21rocsparse_index_base_b, .Lfunc_end17-_ZN9rocsparseL18bsrxmvn_3x3_kernelILj256ELj16E21rocsparse_complex_numIdEiiS2_S2_S2_EEvT3_20rocsparse_direction_NS_24const_host_device_scalarIT1_EES3_PKS3_PKT2_SC_S9_PKT4_PKT5_S7_PT6_21rocsparse_index_base_b
                                        ; -- End function
	.set _ZN9rocsparseL18bsrxmvn_3x3_kernelILj256ELj16E21rocsparse_complex_numIdEiiS2_S2_S2_EEvT3_20rocsparse_direction_NS_24const_host_device_scalarIT1_EES3_PKS3_PKT2_SC_S9_PKT4_PKT5_S7_PT6_21rocsparse_index_base_b.num_vgpr, 79
	.set _ZN9rocsparseL18bsrxmvn_3x3_kernelILj256ELj16E21rocsparse_complex_numIdEiiS2_S2_S2_EEvT3_20rocsparse_direction_NS_24const_host_device_scalarIT1_EES3_PKS3_PKT2_SC_S9_PKT4_PKT5_S7_PT6_21rocsparse_index_base_b.num_agpr, 0
	.set _ZN9rocsparseL18bsrxmvn_3x3_kernelILj256ELj16E21rocsparse_complex_numIdEiiS2_S2_S2_EEvT3_20rocsparse_direction_NS_24const_host_device_scalarIT1_EES3_PKS3_PKT2_SC_S9_PKT4_PKT5_S7_PT6_21rocsparse_index_base_b.numbered_sgpr, 14
	.set _ZN9rocsparseL18bsrxmvn_3x3_kernelILj256ELj16E21rocsparse_complex_numIdEiiS2_S2_S2_EEvT3_20rocsparse_direction_NS_24const_host_device_scalarIT1_EES3_PKS3_PKT2_SC_S9_PKT4_PKT5_S7_PT6_21rocsparse_index_base_b.num_named_barrier, 0
	.set _ZN9rocsparseL18bsrxmvn_3x3_kernelILj256ELj16E21rocsparse_complex_numIdEiiS2_S2_S2_EEvT3_20rocsparse_direction_NS_24const_host_device_scalarIT1_EES3_PKS3_PKT2_SC_S9_PKT4_PKT5_S7_PT6_21rocsparse_index_base_b.private_seg_size, 0
	.set _ZN9rocsparseL18bsrxmvn_3x3_kernelILj256ELj16E21rocsparse_complex_numIdEiiS2_S2_S2_EEvT3_20rocsparse_direction_NS_24const_host_device_scalarIT1_EES3_PKS3_PKT2_SC_S9_PKT4_PKT5_S7_PT6_21rocsparse_index_base_b.uses_vcc, 1
	.set _ZN9rocsparseL18bsrxmvn_3x3_kernelILj256ELj16E21rocsparse_complex_numIdEiiS2_S2_S2_EEvT3_20rocsparse_direction_NS_24const_host_device_scalarIT1_EES3_PKS3_PKT2_SC_S9_PKT4_PKT5_S7_PT6_21rocsparse_index_base_b.uses_flat_scratch, 0
	.set _ZN9rocsparseL18bsrxmvn_3x3_kernelILj256ELj16E21rocsparse_complex_numIdEiiS2_S2_S2_EEvT3_20rocsparse_direction_NS_24const_host_device_scalarIT1_EES3_PKS3_PKT2_SC_S9_PKT4_PKT5_S7_PT6_21rocsparse_index_base_b.has_dyn_sized_stack, 0
	.set _ZN9rocsparseL18bsrxmvn_3x3_kernelILj256ELj16E21rocsparse_complex_numIdEiiS2_S2_S2_EEvT3_20rocsparse_direction_NS_24const_host_device_scalarIT1_EES3_PKS3_PKT2_SC_S9_PKT4_PKT5_S7_PT6_21rocsparse_index_base_b.has_recursion, 0
	.set _ZN9rocsparseL18bsrxmvn_3x3_kernelILj256ELj16E21rocsparse_complex_numIdEiiS2_S2_S2_EEvT3_20rocsparse_direction_NS_24const_host_device_scalarIT1_EES3_PKS3_PKT2_SC_S9_PKT4_PKT5_S7_PT6_21rocsparse_index_base_b.has_indirect_call, 0
	.section	.AMDGPU.csdata,"",@progbits
; Kernel info:
; codeLenInByte = 3248
; TotalNumSgprs: 16
; NumVgprs: 79
; ScratchSize: 0
; MemoryBound: 0
; FloatMode: 240
; IeeeMode: 1
; LDSByteSize: 0 bytes/workgroup (compile time only)
; SGPRBlocks: 0
; VGPRBlocks: 9
; NumSGPRsForWavesPerEU: 16
; NumVGPRsForWavesPerEU: 79
; Occupancy: 16
; WaveLimiterHint : 1
; COMPUTE_PGM_RSRC2:SCRATCH_EN: 0
; COMPUTE_PGM_RSRC2:USER_SGPR: 2
; COMPUTE_PGM_RSRC2:TRAP_HANDLER: 0
; COMPUTE_PGM_RSRC2:TGID_X_EN: 1
; COMPUTE_PGM_RSRC2:TGID_Y_EN: 0
; COMPUTE_PGM_RSRC2:TGID_Z_EN: 0
; COMPUTE_PGM_RSRC2:TIDIG_COMP_CNT: 0
	.section	.text._ZN9rocsparseL18bsrxmvn_3x3_kernelILj256ELj32E21rocsparse_complex_numIdEiiS2_S2_S2_EEvT3_20rocsparse_direction_NS_24const_host_device_scalarIT1_EES3_PKS3_PKT2_SC_S9_PKT4_PKT5_S7_PT6_21rocsparse_index_base_b,"axG",@progbits,_ZN9rocsparseL18bsrxmvn_3x3_kernelILj256ELj32E21rocsparse_complex_numIdEiiS2_S2_S2_EEvT3_20rocsparse_direction_NS_24const_host_device_scalarIT1_EES3_PKS3_PKT2_SC_S9_PKT4_PKT5_S7_PT6_21rocsparse_index_base_b,comdat
	.globl	_ZN9rocsparseL18bsrxmvn_3x3_kernelILj256ELj32E21rocsparse_complex_numIdEiiS2_S2_S2_EEvT3_20rocsparse_direction_NS_24const_host_device_scalarIT1_EES3_PKS3_PKT2_SC_S9_PKT4_PKT5_S7_PT6_21rocsparse_index_base_b ; -- Begin function _ZN9rocsparseL18bsrxmvn_3x3_kernelILj256ELj32E21rocsparse_complex_numIdEiiS2_S2_S2_EEvT3_20rocsparse_direction_NS_24const_host_device_scalarIT1_EES3_PKS3_PKT2_SC_S9_PKT4_PKT5_S7_PT6_21rocsparse_index_base_b
	.p2align	8
	.type	_ZN9rocsparseL18bsrxmvn_3x3_kernelILj256ELj32E21rocsparse_complex_numIdEiiS2_S2_S2_EEvT3_20rocsparse_direction_NS_24const_host_device_scalarIT1_EES3_PKS3_PKT2_SC_S9_PKT4_PKT5_S7_PT6_21rocsparse_index_base_b,@function
_ZN9rocsparseL18bsrxmvn_3x3_kernelILj256ELj32E21rocsparse_complex_numIdEiiS2_S2_S2_EEvT3_20rocsparse_direction_NS_24const_host_device_scalarIT1_EES3_PKS3_PKT2_SC_S9_PKT4_PKT5_S7_PT6_21rocsparse_index_base_b: ; @_ZN9rocsparseL18bsrxmvn_3x3_kernelILj256ELj32E21rocsparse_complex_numIdEiiS2_S2_S2_EEvT3_20rocsparse_direction_NS_24const_host_device_scalarIT1_EES3_PKS3_PKT2_SC_S9_PKT4_PKT5_S7_PT6_21rocsparse_index_base_b
; %bb.0:
	s_clause 0x1
	s_load_b64 s[12:13], s[0:1], 0x68
	s_load_b64 s[2:3], s[0:1], 0x8
	s_add_nc_u64 s[4:5], s[0:1], 8
	s_load_b64 s[6:7], s[0:1], 0x50
	s_wait_kmcnt 0x0
	s_bitcmp1_b32 s13, 0
	s_cselect_b32 s2, s4, s2
	s_cselect_b32 s3, s5, s3
	s_delay_alu instid0(SALU_CYCLE_1)
	v_dual_mov_b32 v1, s2 :: v_dual_mov_b32 v2, s3
	s_add_nc_u64 s[2:3], s[0:1], 0x50
	s_wait_alu 0xfffe
	s_cselect_b32 s2, s2, s6
	s_cselect_b32 s3, s3, s7
	flat_load_b128 v[5:8], v[1:2]
	s_wait_alu 0xfffe
	v_dual_mov_b32 v1, s2 :: v_dual_mov_b32 v2, s3
	flat_load_b128 v[1:4], v[1:2]
	s_wait_loadcnt_dscnt 0x101
	v_cmp_eq_f64_e32 vcc_lo, 0, v[5:6]
	v_cmp_eq_f64_e64 s2, 0, v[7:8]
	s_and_b32 s4, vcc_lo, s2
	s_mov_b32 s2, -1
	s_and_saveexec_b32 s3, s4
	s_cbranch_execz .LBB18_2
; %bb.1:
	s_wait_loadcnt_dscnt 0x0
	v_cmp_neq_f64_e32 vcc_lo, 1.0, v[1:2]
	v_cmp_neq_f64_e64 s2, 0, v[3:4]
	s_wait_alu 0xfffe
	s_or_b32 s2, vcc_lo, s2
	s_wait_alu 0xfffe
	s_or_not1_b32 s2, s2, exec_lo
.LBB18_2:
	s_wait_alu 0xfffe
	s_or_b32 exec_lo, exec_lo, s3
	s_and_saveexec_b32 s3, s2
	s_cbranch_execz .LBB18_8
; %bb.3:
	s_clause 0x1
	s_load_b64 s[4:5], s[0:1], 0x20
	s_load_b64 s[2:3], s[0:1], 0x0
	v_lshrrev_b32_e32 v9, 5, v0
	s_delay_alu instid0(VALU_DEP_1)
	v_lshl_or_b32 v17, ttmp9, 3, v9
	s_wait_kmcnt 0x0
	s_cmp_lg_u64 s[4:5], 0
	s_cbranch_scc0 .LBB18_9
; %bb.4:
	s_load_b32 s6, s[0:1], 0x18
	s_mov_b32 s7, 0
                                        ; implicit-def: $vgpr9
	s_wait_kmcnt 0x0
	v_cmp_gt_i32_e32 vcc_lo, s6, v17
	s_mov_b32 s6, 0
	s_and_saveexec_b32 s8, vcc_lo
	s_delay_alu instid0(SALU_CYCLE_1)
	s_xor_b32 s8, exec_lo, s8
	s_cbranch_execz .LBB18_6
; %bb.5:
	v_ashrrev_i32_e32 v18, 31, v17
	s_mov_b32 s6, exec_lo
	s_delay_alu instid0(VALU_DEP_1) | instskip(NEXT) | instid1(VALU_DEP_1)
	v_lshlrev_b64_e32 v[9:10], 2, v[17:18]
	v_add_co_u32 v9, vcc_lo, s4, v9
	s_delay_alu instid0(VALU_DEP_1)
	v_add_co_ci_u32_e64 v10, null, s5, v10, vcc_lo
	global_load_b32 v9, v[9:10], off
	s_wait_loadcnt 0x0
	v_subrev_nc_u32_e32 v9, s12, v9
.LBB18_6:
	s_or_b32 exec_lo, exec_lo, s8
	s_delay_alu instid0(SALU_CYCLE_1)
	s_and_b32 vcc_lo, exec_lo, s7
	s_wait_alu 0xfffe
	s_cbranch_vccz .LBB18_10
.LBB18_7:
	v_cmp_gt_i32_e32 vcc_lo, s2, v17
	s_and_not1_b32 s2, s6, exec_lo
	s_and_b32 s4, vcc_lo, exec_lo
	s_wait_alu 0xfffe
	s_or_b32 s6, s2, s4
	s_wait_alu 0xfffe
	s_and_b32 exec_lo, exec_lo, s6
	s_cbranch_execnz .LBB18_11
.LBB18_8:
	s_endpgm
.LBB18_9:
	s_mov_b32 s6, 0
                                        ; implicit-def: $vgpr9
	s_cbranch_execnz .LBB18_7
.LBB18_10:
	v_mov_b32_e32 v17, v9
	s_and_b32 exec_lo, exec_lo, s6
	s_cbranch_execz .LBB18_8
.LBB18_11:
	s_load_b256 s[4:11], s[0:1], 0x28
	s_delay_alu instid0(VALU_DEP_1) | instskip(SKIP_1) | instid1(VALU_DEP_2)
	v_ashrrev_i32_e32 v18, 31, v17
	v_and_b32_e32 v0, 31, v0
	v_lshlrev_b64_e32 v[9:10], 2, v[17:18]
	s_wait_kmcnt 0x0
	s_delay_alu instid0(VALU_DEP_1) | instskip(SKIP_1) | instid1(VALU_DEP_2)
	v_add_co_u32 v11, vcc_lo, s4, v9
	s_wait_alu 0xfffd
	v_add_co_ci_u32_e64 v12, null, s5, v10, vcc_lo
	v_add_co_u32 v9, vcc_lo, s6, v9
	s_wait_alu 0xfffd
	v_add_co_ci_u32_e64 v10, null, s7, v10, vcc_lo
	;; [unrolled: 3-line block ×3, first 2 shown]
	s_cmp_eq_u64 s[6:7], 0
	global_load_b32 v11, v[11:12], off
	s_cselect_b32 vcc_lo, -1, 0
	s_load_b64 s[4:5], s[0:1], 0x48
	v_dual_cndmask_b32 v10, v10, v14 :: v_dual_cndmask_b32 v9, v9, v13
	s_cmp_eq_u32 s3, 1
	global_load_b32 v9, v[9:10], off
	s_wait_loadcnt 0x1
	v_subrev_nc_u32_e32 v10, s12, v11
	s_delay_alu instid0(VALU_DEP_1) | instskip(SKIP_2) | instid1(VALU_DEP_2)
	v_add_nc_u32_e32 v22, v10, v0
	s_wait_loadcnt 0x0
	v_subrev_nc_u32_e32 v30, s12, v9
	v_mad_co_i64_i32 v[24:25], null, 0x90, v22, s[10:11]
	s_delay_alu instid0(VALU_DEP_2)
	v_cmp_lt_i32_e64 s2, v22, v30
	s_cbranch_scc1 .LBB18_17
; %bb.12:
	v_mov_b32_e32 v9, 0
	v_dual_mov_b32 v13, 0 :: v_dual_mov_b32 v18, 0
	v_dual_mov_b32 v10, 0 :: v_dual_mov_b32 v11, 0
	v_dual_mov_b32 v14, 0 :: v_dual_mov_b32 v15, 0
	v_dual_mov_b32 v19, 0 :: v_dual_mov_b32 v20, 0
	v_mov_b32_e32 v12, 0
	v_dual_mov_b32 v16, 0 :: v_dual_mov_b32 v21, 0
	s_and_saveexec_b32 s6, s2
	s_cbranch_execz .LBB18_16
; %bb.13:
	v_dual_mov_b32 v9, 0 :: v_dual_mov_b32 v26, v22
	v_dual_mov_b32 v10, 0 :: v_dual_mov_b32 v11, 0
	;; [unrolled: 1-line block ×4, first 2 shown]
	v_mov_b32_e32 v18, 0
	v_dual_mov_b32 v20, 0 :: v_dual_mov_b32 v29, v25
	v_dual_mov_b32 v16, 0 :: v_dual_mov_b32 v19, 0
	;; [unrolled: 1-line block ×3, first 2 shown]
	s_mov_b32 s7, 0
.LBB18_14:                              ; =>This Inner Loop Header: Depth=1
	v_ashrrev_i32_e32 v27, 31, v26
	s_delay_alu instid0(VALU_DEP_1) | instskip(SKIP_1) | instid1(VALU_DEP_2)
	v_lshlrev_b64_e32 v[31:32], 2, v[26:27]
	v_add_nc_u32_e32 v26, 32, v26
	v_add_co_u32 v31, vcc_lo, s8, v31
	s_wait_alu 0xfffd
	s_delay_alu instid0(VALU_DEP_3)
	v_add_co_ci_u32_e64 v32, null, s9, v32, vcc_lo
	global_load_b32 v23, v[31:32], off
	s_clause 0x4
	global_load_b128 v[31:34], v[28:29], off offset:48
	global_load_b128 v[35:38], v[28:29], off offset:16
	global_load_b128 v[39:42], v[28:29], off
	global_load_b128 v[43:46], v[28:29], off offset:112
	global_load_b128 v[47:50], v[28:29], off offset:96
	s_wait_loadcnt 0x5
	v_subrev_nc_u32_e32 v23, s12, v23
	s_delay_alu instid0(VALU_DEP_1) | instskip(NEXT) | instid1(VALU_DEP_1)
	v_lshl_add_u32 v51, v23, 1, v23
	v_ashrrev_i32_e32 v52, 31, v51
	s_delay_alu instid0(VALU_DEP_1) | instskip(SKIP_1) | instid1(VALU_DEP_1)
	v_lshlrev_b64_e32 v[51:52], 4, v[51:52]
	s_wait_kmcnt 0x0
	v_add_co_u32 v75, vcc_lo, s4, v51
	s_wait_alu 0xfffd
	s_delay_alu instid0(VALU_DEP_2)
	v_add_co_ci_u32_e64 v76, null, s5, v52, vcc_lo
	v_cmp_ge_i32_e32 vcc_lo, v26, v30
	s_clause 0x1
	global_load_b128 v[51:54], v[75:76], off
	global_load_b128 v[55:58], v[75:76], off offset:16
	s_clause 0x3
	global_load_b128 v[59:62], v[28:29], off offset:64
	global_load_b128 v[63:66], v[28:29], off offset:80
	;; [unrolled: 1-line block ×5, first 2 shown]
	v_add_co_u32 v28, s3, 0x1200, v28
	s_wait_alu 0xf1ff
	v_add_co_ci_u32_e64 v29, null, 0, v29, s3
	s_wait_alu 0xfffe
	s_or_b32 s7, vcc_lo, s7
	s_wait_loadcnt 0x6
	v_fma_f64 v[11:12], v[39:40], v[51:52], v[11:12]
	v_fma_f64 v[9:10], v[41:42], v[51:52], v[9:10]
	;; [unrolled: 1-line block ×6, first 2 shown]
	v_fma_f64 v[11:12], -v[41:42], v[53:54], v[11:12]
	v_fma_f64 v[9:10], v[39:40], v[53:54], v[9:10]
	v_fma_f64 v[18:19], -v[33:34], v[53:54], v[18:19]
	v_fma_f64 v[20:21], v[31:32], v[53:54], v[20:21]
	;; [unrolled: 2-line block ×3, first 2 shown]
	s_wait_loadcnt 0x5
	v_fma_f64 v[11:12], v[35:36], v[55:56], v[11:12]
	v_fma_f64 v[9:10], v[37:38], v[55:56], v[9:10]
	s_wait_loadcnt 0x4
	v_fma_f64 v[18:19], v[59:60], v[55:56], v[18:19]
	v_fma_f64 v[20:21], v[61:62], v[55:56], v[20:21]
	;; [unrolled: 1-line block ×4, first 2 shown]
	v_fma_f64 v[11:12], -v[37:38], v[57:58], v[11:12]
	v_fma_f64 v[9:10], v[35:36], v[57:58], v[9:10]
	v_fma_f64 v[18:19], -v[61:62], v[57:58], v[18:19]
	v_fma_f64 v[20:21], v[59:60], v[57:58], v[20:21]
	;; [unrolled: 2-line block ×3, first 2 shown]
	s_wait_loadcnt 0x0
	v_fma_f64 v[11:12], v[67:68], v[75:76], v[11:12]
	v_fma_f64 v[9:10], v[69:70], v[75:76], v[9:10]
	;; [unrolled: 1-line block ×6, first 2 shown]
	v_fma_f64 v[11:12], -v[69:70], v[77:78], v[11:12]
	v_fma_f64 v[9:10], v[67:68], v[77:78], v[9:10]
	v_fma_f64 v[18:19], -v[65:66], v[77:78], v[18:19]
	v_fma_f64 v[20:21], v[63:64], v[77:78], v[20:21]
	v_fma_f64 v[13:14], -v[73:74], v[77:78], v[13:14]
	v_fma_f64 v[15:16], v[71:72], v[77:78], v[15:16]
	s_wait_alu 0xfffe
	s_and_not1_b32 exec_lo, exec_lo, s7
	s_cbranch_execnz .LBB18_14
; %bb.15:
	s_or_b32 exec_lo, exec_lo, s7
.LBB18_16:
	s_wait_alu 0xfffe
	s_or_b32 exec_lo, exec_lo, s6
	s_cbranch_execz .LBB18_18
	s_branch .LBB18_23
.LBB18_17:
                                        ; implicit-def: $vgpr9_vgpr10
                                        ; implicit-def: $vgpr11_vgpr12
                                        ; implicit-def: $vgpr13_vgpr14
                                        ; implicit-def: $vgpr15_vgpr16
                                        ; implicit-def: $vgpr18_vgpr19
                                        ; implicit-def: $vgpr20_vgpr21
.LBB18_18:
	v_mov_b32_e32 v9, 0
	v_dual_mov_b32 v13, 0 :: v_dual_mov_b32 v18, 0
	v_dual_mov_b32 v10, 0 :: v_dual_mov_b32 v11, 0
	;; [unrolled: 1-line block ×4, first 2 shown]
	v_mov_b32_e32 v12, 0
	v_dual_mov_b32 v16, 0 :: v_dual_mov_b32 v21, 0
	s_and_saveexec_b32 s3, s2
	s_cbranch_execz .LBB18_22
; %bb.19:
	v_mov_b32_e32 v9, 0
	v_dual_mov_b32 v13, 0 :: v_dual_mov_b32 v18, 0
	v_dual_mov_b32 v10, 0 :: v_dual_mov_b32 v11, 0
	;; [unrolled: 1-line block ×4, first 2 shown]
	v_mov_b32_e32 v12, 0
	v_dual_mov_b32 v16, 0 :: v_dual_mov_b32 v21, 0
	s_mov_b32 s6, 0
.LBB18_20:                              ; =>This Inner Loop Header: Depth=1
	v_ashrrev_i32_e32 v23, 31, v22
	s_delay_alu instid0(VALU_DEP_1) | instskip(SKIP_1) | instid1(VALU_DEP_2)
	v_lshlrev_b64_e32 v[26:27], 2, v[22:23]
	v_add_nc_u32_e32 v22, 32, v22
	v_add_co_u32 v26, vcc_lo, s8, v26
	s_wait_alu 0xfffd
	s_delay_alu instid0(VALU_DEP_3)
	v_add_co_ci_u32_e64 v27, null, s9, v27, vcc_lo
	global_load_b32 v23, v[26:27], off
	s_clause 0x3
	global_load_b128 v[26:29], v[24:25], off offset:48
	global_load_b128 v[31:34], v[24:25], off offset:32
	;; [unrolled: 1-line block ×3, first 2 shown]
	global_load_b128 v[39:42], v[24:25], off
	s_wait_loadcnt 0x4
	v_subrev_nc_u32_e32 v23, s12, v23
	s_delay_alu instid0(VALU_DEP_1) | instskip(NEXT) | instid1(VALU_DEP_1)
	v_lshl_add_u32 v43, v23, 1, v23
	v_ashrrev_i32_e32 v44, 31, v43
	s_delay_alu instid0(VALU_DEP_1) | instskip(SKIP_1) | instid1(VALU_DEP_1)
	v_lshlrev_b64_e32 v[43:44], 4, v[43:44]
	s_wait_kmcnt 0x0
	v_add_co_u32 v71, vcc_lo, s4, v43
	s_wait_alu 0xfffd
	s_delay_alu instid0(VALU_DEP_2)
	v_add_co_ci_u32_e64 v72, null, s5, v44, vcc_lo
	v_cmp_ge_i32_e32 vcc_lo, v22, v30
	s_clause 0x1
	global_load_b128 v[43:46], v[71:72], off
	global_load_b128 v[47:50], v[71:72], off offset:16
	s_clause 0x4
	global_load_b128 v[51:54], v[24:25], off offset:64
	global_load_b128 v[55:58], v[24:25], off offset:80
	global_load_b128 v[59:62], v[24:25], off offset:112
	global_load_b128 v[63:66], v[24:25], off offset:96
	global_load_b128 v[67:70], v[24:25], off offset:128
	global_load_b128 v[71:74], v[71:72], off offset:32
	v_add_co_u32 v24, s2, 0x1200, v24
	s_wait_alu 0xf1ff
	v_add_co_ci_u32_e64 v25, null, 0, v25, s2
	s_wait_alu 0xfffe
	s_or_b32 s6, vcc_lo, s6
	s_wait_loadcnt 0x7
	v_fma_f64 v[11:12], v[39:40], v[43:44], v[11:12]
	v_fma_f64 v[9:10], v[41:42], v[43:44], v[9:10]
	;; [unrolled: 1-line block ×6, first 2 shown]
	v_fma_f64 v[11:12], -v[41:42], v[45:46], v[11:12]
	v_fma_f64 v[9:10], v[39:40], v[45:46], v[9:10]
	v_fma_f64 v[18:19], -v[37:38], v[45:46], v[18:19]
	v_fma_f64 v[20:21], v[35:36], v[45:46], v[20:21]
	;; [unrolled: 2-line block ×3, first 2 shown]
	s_wait_loadcnt 0x6
	v_fma_f64 v[11:12], v[26:27], v[47:48], v[11:12]
	v_fma_f64 v[9:10], v[28:29], v[47:48], v[9:10]
	s_wait_loadcnt 0x5
	v_fma_f64 v[18:19], v[51:52], v[47:48], v[18:19]
	v_fma_f64 v[20:21], v[53:54], v[47:48], v[20:21]
	;; [unrolled: 3-line block ×3, first 2 shown]
	v_fma_f64 v[11:12], -v[28:29], v[49:50], v[11:12]
	v_fma_f64 v[9:10], v[26:27], v[49:50], v[9:10]
	v_fma_f64 v[18:19], -v[53:54], v[49:50], v[18:19]
	v_fma_f64 v[20:21], v[51:52], v[49:50], v[20:21]
	;; [unrolled: 2-line block ×3, first 2 shown]
	s_wait_loadcnt 0x0
	v_fma_f64 v[11:12], v[63:64], v[71:72], v[11:12]
	v_fma_f64 v[9:10], v[65:66], v[71:72], v[9:10]
	;; [unrolled: 1-line block ×6, first 2 shown]
	v_fma_f64 v[11:12], -v[65:66], v[73:74], v[11:12]
	v_fma_f64 v[9:10], v[63:64], v[73:74], v[9:10]
	v_fma_f64 v[18:19], -v[61:62], v[73:74], v[18:19]
	v_fma_f64 v[20:21], v[59:60], v[73:74], v[20:21]
	;; [unrolled: 2-line block ×3, first 2 shown]
	s_wait_alu 0xfffe
	s_and_not1_b32 exec_lo, exec_lo, s6
	s_cbranch_execnz .LBB18_20
; %bb.21:
	s_or_b32 exec_lo, exec_lo, s6
.LBB18_22:
	s_wait_alu 0xfffe
	s_or_b32 exec_lo, exec_lo, s3
.LBB18_23:
	v_mbcnt_lo_u32_b32 v34, -1, 0
	s_delay_alu instid0(VALU_DEP_1) | instskip(NEXT) | instid1(VALU_DEP_1)
	v_xor_b32_e32 v22, 16, v34
	v_cmp_gt_i32_e32 vcc_lo, 32, v22
	s_wait_alu 0xfffd
	v_cndmask_b32_e32 v22, v34, v22, vcc_lo
	s_delay_alu instid0(VALU_DEP_1)
	v_lshlrev_b32_e32 v33, 2, v22
	ds_bpermute_b32 v22, v33, v11
	ds_bpermute_b32 v23, v33, v12
	;; [unrolled: 1-line block ×12, first 2 shown]
	s_wait_dscnt 0xa
	v_add_f64_e32 v[11:12], v[11:12], v[22:23]
	v_xor_b32_e32 v22, 8, v34
	s_wait_dscnt 0x8
	v_add_f64_e32 v[9:10], v[9:10], v[24:25]
	s_wait_dscnt 0x6
	v_add_f64_e32 v[18:19], v[18:19], v[26:27]
	;; [unrolled: 2-line block ×3, first 2 shown]
	v_cmp_gt_i32_e32 vcc_lo, 32, v22
	s_wait_dscnt 0x2
	v_add_f64_e32 v[13:14], v[13:14], v[30:31]
	s_wait_dscnt 0x0
	v_add_f64_e32 v[15:16], v[15:16], v[32:33]
	s_wait_alu 0xfffd
	v_cndmask_b32_e32 v22, v34, v22, vcc_lo
	s_delay_alu instid0(VALU_DEP_1)
	v_lshlrev_b32_e32 v33, 2, v22
	ds_bpermute_b32 v22, v33, v11
	ds_bpermute_b32 v23, v33, v12
	;; [unrolled: 1-line block ×12, first 2 shown]
	s_wait_dscnt 0xa
	v_add_f64_e32 v[11:12], v[11:12], v[22:23]
	v_xor_b32_e32 v22, 4, v34
	s_wait_dscnt 0x8
	v_add_f64_e32 v[9:10], v[9:10], v[24:25]
	s_wait_dscnt 0x6
	v_add_f64_e32 v[18:19], v[18:19], v[26:27]
	;; [unrolled: 2-line block ×3, first 2 shown]
	v_cmp_gt_i32_e32 vcc_lo, 32, v22
	s_wait_dscnt 0x2
	v_add_f64_e32 v[13:14], v[13:14], v[30:31]
	s_wait_dscnt 0x0
	v_add_f64_e32 v[15:16], v[15:16], v[32:33]
	s_wait_alu 0xfffd
	v_cndmask_b32_e32 v22, v34, v22, vcc_lo
	s_delay_alu instid0(VALU_DEP_1)
	v_lshlrev_b32_e32 v33, 2, v22
	ds_bpermute_b32 v22, v33, v11
	ds_bpermute_b32 v23, v33, v12
	ds_bpermute_b32 v24, v33, v9
	ds_bpermute_b32 v25, v33, v10
	ds_bpermute_b32 v26, v33, v18
	ds_bpermute_b32 v27, v33, v19
	ds_bpermute_b32 v28, v33, v20
	ds_bpermute_b32 v29, v33, v21
	ds_bpermute_b32 v30, v33, v13
	ds_bpermute_b32 v31, v33, v14
	ds_bpermute_b32 v32, v33, v15
	ds_bpermute_b32 v33, v33, v16
	s_wait_dscnt 0xa
	v_add_f64_e32 v[11:12], v[11:12], v[22:23]
	s_wait_dscnt 0x8
	v_add_f64_e32 v[22:23], v[9:10], v[24:25]
	v_xor_b32_e32 v9, 2, v34
	s_wait_dscnt 0x6
	v_add_f64_e32 v[18:19], v[18:19], v[26:27]
	s_wait_dscnt 0x4
	v_add_f64_e32 v[20:21], v[20:21], v[28:29]
	;; [unrolled: 2-line block ×3, first 2 shown]
	v_cmp_gt_i32_e32 vcc_lo, 32, v9
	s_wait_dscnt 0x0
	v_add_f64_e32 v[15:16], v[15:16], v[32:33]
	s_wait_alu 0xfffd
	v_cndmask_b32_e32 v9, v34, v9, vcc_lo
	s_delay_alu instid0(VALU_DEP_1)
	v_lshlrev_b32_e32 v33, 2, v9
	ds_bpermute_b32 v9, v33, v11
	ds_bpermute_b32 v10, v33, v12
	;; [unrolled: 1-line block ×12, first 2 shown]
	s_wait_dscnt 0xa
	v_add_f64_e32 v[9:10], v[11:12], v[9:10]
	s_wait_dscnt 0x8
	v_add_f64_e32 v[22:23], v[22:23], v[24:25]
	;; [unrolled: 2-line block ×4, first 2 shown]
	v_xor_b32_e32 v20, 1, v34
	s_wait_dscnt 0x2
	v_add_f64_e32 v[13:14], v[13:14], v[30:31]
	s_wait_dscnt 0x0
	v_add_f64_e32 v[15:16], v[15:16], v[32:33]
	v_cmp_gt_i32_e32 vcc_lo, 32, v20
	s_wait_alu 0xfffd
	v_cndmask_b32_e32 v20, v34, v20, vcc_lo
	v_cmp_eq_u32_e32 vcc_lo, 31, v0
	s_delay_alu instid0(VALU_DEP_2)
	v_lshlrev_b32_e32 v29, 2, v20
	ds_bpermute_b32 v20, v29, v9
	ds_bpermute_b32 v21, v29, v10
	;; [unrolled: 1-line block ×12, first 2 shown]
	s_and_b32 exec_lo, exec_lo, vcc_lo
	s_cbranch_execz .LBB18_8
; %bb.24:
	s_wait_dscnt 0x8
	v_add_f64_e32 v[22:23], v[22:23], v[32:33]
	s_wait_dscnt 0x4
	v_add_f64_e32 v[18:19], v[18:19], v[30:31]
	s_wait_dscnt 0x0
	v_add_f64_e32 v[15:16], v[15:16], v[28:29]
	v_add_f64_e32 v[9:10], v[9:10], v[20:21]
	v_add_f64_e32 v[11:12], v[11:12], v[24:25]
	;; [unrolled: 1-line block ×3, first 2 shown]
	v_cmp_eq_f64_e32 vcc_lo, 0, v[1:2]
	v_cmp_eq_f64_e64 s2, 0, v[3:4]
	s_load_b64 s[0:1], s[0:1], 0x60
	v_lshl_add_u32 v17, v17, 1, v17
	v_mul_f64_e64 v[13:14], v[22:23], -v[7:8]
	v_mul_f64_e32 v[22:23], v[5:6], v[22:23]
	v_mul_f64_e64 v[24:25], v[18:19], -v[7:8]
	v_mul_f64_e32 v[18:19], v[5:6], v[18:19]
	;; [unrolled: 2-line block ×3, first 2 shown]
	s_and_b32 s2, vcc_lo, s2
	v_fma_f64 v[13:14], v[5:6], v[9:10], v[13:14]
	v_fma_f64 v[15:16], v[7:8], v[9:10], v[22:23]
	;; [unrolled: 1-line block ×6, first 2 shown]
	v_ashrrev_i32_e32 v18, 31, v17
	s_wait_alu 0xfffe
	s_and_saveexec_b32 s3, s2
	s_wait_alu 0xfffe
	s_xor_b32 s2, exec_lo, s3
	s_cbranch_execz .LBB18_26
; %bb.25:
	v_lshlrev_b64_e32 v[0:1], 4, v[17:18]
                                        ; implicit-def: $vgpr17
	s_wait_kmcnt 0x0
	s_delay_alu instid0(VALU_DEP_1) | instskip(SKIP_1) | instid1(VALU_DEP_2)
	v_add_co_u32 v0, vcc_lo, s0, v0
	s_wait_alu 0xfffd
	v_add_co_ci_u32_e64 v1, null, s1, v1, vcc_lo
	s_clause 0x2
	global_store_b128 v[0:1], v[13:16], off
	global_store_b128 v[0:1], v[9:12], off offset:16
	global_store_b128 v[0:1], v[5:8], off offset:32
                                        ; implicit-def: $vgpr3_vgpr4
                                        ; implicit-def: $vgpr13_vgpr14
                                        ; implicit-def: $vgpr9_vgpr10
                                        ; implicit-def: $vgpr5_vgpr6
.LBB18_26:
	s_wait_alu 0xfffe
	s_and_not1_saveexec_b32 s2, s2
	s_cbranch_execz .LBB18_8
; %bb.27:
	v_lshlrev_b64_e32 v[17:18], 4, v[17:18]
	s_wait_kmcnt 0x0
	s_delay_alu instid0(VALU_DEP_1) | instskip(SKIP_1) | instid1(VALU_DEP_2)
	v_add_co_u32 v29, vcc_lo, s0, v17
	s_wait_alu 0xfffd
	v_add_co_ci_u32_e64 v30, null, s1, v18, vcc_lo
	s_clause 0x2
	global_load_b128 v[17:20], v[29:30], off
	global_load_b128 v[21:24], v[29:30], off offset:16
	global_load_b128 v[25:28], v[29:30], off offset:32
	s_wait_loadcnt 0x2
	v_fma_f64 v[13:14], v[1:2], v[17:18], v[13:14]
	v_fma_f64 v[15:16], v[3:4], v[17:18], v[15:16]
	s_wait_loadcnt 0x1
	v_fma_f64 v[9:10], v[1:2], v[21:22], v[9:10]
	v_fma_f64 v[11:12], v[3:4], v[21:22], v[11:12]
	;; [unrolled: 3-line block ×3, first 2 shown]
	v_fma_f64 v[5:6], -v[3:4], v[19:20], v[13:14]
	v_fma_f64 v[7:8], v[1:2], v[19:20], v[15:16]
	v_fma_f64 v[9:10], -v[3:4], v[23:24], v[9:10]
	v_fma_f64 v[11:12], v[1:2], v[23:24], v[11:12]
	;; [unrolled: 2-line block ×3, first 2 shown]
	s_clause 0x2
	global_store_b128 v[29:30], v[5:8], off
	global_store_b128 v[29:30], v[9:12], off offset:16
	global_store_b128 v[29:30], v[13:16], off offset:32
	s_endpgm
	.section	.rodata,"a",@progbits
	.p2align	6, 0x0
	.amdhsa_kernel _ZN9rocsparseL18bsrxmvn_3x3_kernelILj256ELj32E21rocsparse_complex_numIdEiiS2_S2_S2_EEvT3_20rocsparse_direction_NS_24const_host_device_scalarIT1_EES3_PKS3_PKT2_SC_S9_PKT4_PKT5_S7_PT6_21rocsparse_index_base_b
		.amdhsa_group_segment_fixed_size 0
		.amdhsa_private_segment_fixed_size 0
		.amdhsa_kernarg_size 112
		.amdhsa_user_sgpr_count 2
		.amdhsa_user_sgpr_dispatch_ptr 0
		.amdhsa_user_sgpr_queue_ptr 0
		.amdhsa_user_sgpr_kernarg_segment_ptr 1
		.amdhsa_user_sgpr_dispatch_id 0
		.amdhsa_user_sgpr_private_segment_size 0
		.amdhsa_wavefront_size32 1
		.amdhsa_uses_dynamic_stack 0
		.amdhsa_enable_private_segment 0
		.amdhsa_system_sgpr_workgroup_id_x 1
		.amdhsa_system_sgpr_workgroup_id_y 0
		.amdhsa_system_sgpr_workgroup_id_z 0
		.amdhsa_system_sgpr_workgroup_info 0
		.amdhsa_system_vgpr_workitem_id 0
		.amdhsa_next_free_vgpr 79
		.amdhsa_next_free_sgpr 14
		.amdhsa_reserve_vcc 1
		.amdhsa_float_round_mode_32 0
		.amdhsa_float_round_mode_16_64 0
		.amdhsa_float_denorm_mode_32 3
		.amdhsa_float_denorm_mode_16_64 3
		.amdhsa_fp16_overflow 0
		.amdhsa_workgroup_processor_mode 1
		.amdhsa_memory_ordered 1
		.amdhsa_forward_progress 1
		.amdhsa_inst_pref_size 27
		.amdhsa_round_robin_scheduling 0
		.amdhsa_exception_fp_ieee_invalid_op 0
		.amdhsa_exception_fp_denorm_src 0
		.amdhsa_exception_fp_ieee_div_zero 0
		.amdhsa_exception_fp_ieee_overflow 0
		.amdhsa_exception_fp_ieee_underflow 0
		.amdhsa_exception_fp_ieee_inexact 0
		.amdhsa_exception_int_div_zero 0
	.end_amdhsa_kernel
	.section	.text._ZN9rocsparseL18bsrxmvn_3x3_kernelILj256ELj32E21rocsparse_complex_numIdEiiS2_S2_S2_EEvT3_20rocsparse_direction_NS_24const_host_device_scalarIT1_EES3_PKS3_PKT2_SC_S9_PKT4_PKT5_S7_PT6_21rocsparse_index_base_b,"axG",@progbits,_ZN9rocsparseL18bsrxmvn_3x3_kernelILj256ELj32E21rocsparse_complex_numIdEiiS2_S2_S2_EEvT3_20rocsparse_direction_NS_24const_host_device_scalarIT1_EES3_PKS3_PKT2_SC_S9_PKT4_PKT5_S7_PT6_21rocsparse_index_base_b,comdat
.Lfunc_end18:
	.size	_ZN9rocsparseL18bsrxmvn_3x3_kernelILj256ELj32E21rocsparse_complex_numIdEiiS2_S2_S2_EEvT3_20rocsparse_direction_NS_24const_host_device_scalarIT1_EES3_PKS3_PKT2_SC_S9_PKT4_PKT5_S7_PT6_21rocsparse_index_base_b, .Lfunc_end18-_ZN9rocsparseL18bsrxmvn_3x3_kernelILj256ELj32E21rocsparse_complex_numIdEiiS2_S2_S2_EEvT3_20rocsparse_direction_NS_24const_host_device_scalarIT1_EES3_PKS3_PKT2_SC_S9_PKT4_PKT5_S7_PT6_21rocsparse_index_base_b
                                        ; -- End function
	.set _ZN9rocsparseL18bsrxmvn_3x3_kernelILj256ELj32E21rocsparse_complex_numIdEiiS2_S2_S2_EEvT3_20rocsparse_direction_NS_24const_host_device_scalarIT1_EES3_PKS3_PKT2_SC_S9_PKT4_PKT5_S7_PT6_21rocsparse_index_base_b.num_vgpr, 79
	.set _ZN9rocsparseL18bsrxmvn_3x3_kernelILj256ELj32E21rocsparse_complex_numIdEiiS2_S2_S2_EEvT3_20rocsparse_direction_NS_24const_host_device_scalarIT1_EES3_PKS3_PKT2_SC_S9_PKT4_PKT5_S7_PT6_21rocsparse_index_base_b.num_agpr, 0
	.set _ZN9rocsparseL18bsrxmvn_3x3_kernelILj256ELj32E21rocsparse_complex_numIdEiiS2_S2_S2_EEvT3_20rocsparse_direction_NS_24const_host_device_scalarIT1_EES3_PKS3_PKT2_SC_S9_PKT4_PKT5_S7_PT6_21rocsparse_index_base_b.numbered_sgpr, 14
	.set _ZN9rocsparseL18bsrxmvn_3x3_kernelILj256ELj32E21rocsparse_complex_numIdEiiS2_S2_S2_EEvT3_20rocsparse_direction_NS_24const_host_device_scalarIT1_EES3_PKS3_PKT2_SC_S9_PKT4_PKT5_S7_PT6_21rocsparse_index_base_b.num_named_barrier, 0
	.set _ZN9rocsparseL18bsrxmvn_3x3_kernelILj256ELj32E21rocsparse_complex_numIdEiiS2_S2_S2_EEvT3_20rocsparse_direction_NS_24const_host_device_scalarIT1_EES3_PKS3_PKT2_SC_S9_PKT4_PKT5_S7_PT6_21rocsparse_index_base_b.private_seg_size, 0
	.set _ZN9rocsparseL18bsrxmvn_3x3_kernelILj256ELj32E21rocsparse_complex_numIdEiiS2_S2_S2_EEvT3_20rocsparse_direction_NS_24const_host_device_scalarIT1_EES3_PKS3_PKT2_SC_S9_PKT4_PKT5_S7_PT6_21rocsparse_index_base_b.uses_vcc, 1
	.set _ZN9rocsparseL18bsrxmvn_3x3_kernelILj256ELj32E21rocsparse_complex_numIdEiiS2_S2_S2_EEvT3_20rocsparse_direction_NS_24const_host_device_scalarIT1_EES3_PKS3_PKT2_SC_S9_PKT4_PKT5_S7_PT6_21rocsparse_index_base_b.uses_flat_scratch, 0
	.set _ZN9rocsparseL18bsrxmvn_3x3_kernelILj256ELj32E21rocsparse_complex_numIdEiiS2_S2_S2_EEvT3_20rocsparse_direction_NS_24const_host_device_scalarIT1_EES3_PKS3_PKT2_SC_S9_PKT4_PKT5_S7_PT6_21rocsparse_index_base_b.has_dyn_sized_stack, 0
	.set _ZN9rocsparseL18bsrxmvn_3x3_kernelILj256ELj32E21rocsparse_complex_numIdEiiS2_S2_S2_EEvT3_20rocsparse_direction_NS_24const_host_device_scalarIT1_EES3_PKS3_PKT2_SC_S9_PKT4_PKT5_S7_PT6_21rocsparse_index_base_b.has_recursion, 0
	.set _ZN9rocsparseL18bsrxmvn_3x3_kernelILj256ELj32E21rocsparse_complex_numIdEiiS2_S2_S2_EEvT3_20rocsparse_direction_NS_24const_host_device_scalarIT1_EES3_PKS3_PKT2_SC_S9_PKT4_PKT5_S7_PT6_21rocsparse_index_base_b.has_indirect_call, 0
	.section	.AMDGPU.csdata,"",@progbits
; Kernel info:
; codeLenInByte = 3416
; TotalNumSgprs: 16
; NumVgprs: 79
; ScratchSize: 0
; MemoryBound: 0
; FloatMode: 240
; IeeeMode: 1
; LDSByteSize: 0 bytes/workgroup (compile time only)
; SGPRBlocks: 0
; VGPRBlocks: 9
; NumSGPRsForWavesPerEU: 16
; NumVGPRsForWavesPerEU: 79
; Occupancy: 16
; WaveLimiterHint : 1
; COMPUTE_PGM_RSRC2:SCRATCH_EN: 0
; COMPUTE_PGM_RSRC2:USER_SGPR: 2
; COMPUTE_PGM_RSRC2:TRAP_HANDLER: 0
; COMPUTE_PGM_RSRC2:TGID_X_EN: 1
; COMPUTE_PGM_RSRC2:TGID_Y_EN: 0
; COMPUTE_PGM_RSRC2:TGID_Z_EN: 0
; COMPUTE_PGM_RSRC2:TIDIG_COMP_CNT: 0
	.section	.text._ZN9rocsparseL18bsrxmvn_3x3_kernelILj256ELj64E21rocsparse_complex_numIdEiiS2_S2_S2_EEvT3_20rocsparse_direction_NS_24const_host_device_scalarIT1_EES3_PKS3_PKT2_SC_S9_PKT4_PKT5_S7_PT6_21rocsparse_index_base_b,"axG",@progbits,_ZN9rocsparseL18bsrxmvn_3x3_kernelILj256ELj64E21rocsparse_complex_numIdEiiS2_S2_S2_EEvT3_20rocsparse_direction_NS_24const_host_device_scalarIT1_EES3_PKS3_PKT2_SC_S9_PKT4_PKT5_S7_PT6_21rocsparse_index_base_b,comdat
	.globl	_ZN9rocsparseL18bsrxmvn_3x3_kernelILj256ELj64E21rocsparse_complex_numIdEiiS2_S2_S2_EEvT3_20rocsparse_direction_NS_24const_host_device_scalarIT1_EES3_PKS3_PKT2_SC_S9_PKT4_PKT5_S7_PT6_21rocsparse_index_base_b ; -- Begin function _ZN9rocsparseL18bsrxmvn_3x3_kernelILj256ELj64E21rocsparse_complex_numIdEiiS2_S2_S2_EEvT3_20rocsparse_direction_NS_24const_host_device_scalarIT1_EES3_PKS3_PKT2_SC_S9_PKT4_PKT5_S7_PT6_21rocsparse_index_base_b
	.p2align	8
	.type	_ZN9rocsparseL18bsrxmvn_3x3_kernelILj256ELj64E21rocsparse_complex_numIdEiiS2_S2_S2_EEvT3_20rocsparse_direction_NS_24const_host_device_scalarIT1_EES3_PKS3_PKT2_SC_S9_PKT4_PKT5_S7_PT6_21rocsparse_index_base_b,@function
_ZN9rocsparseL18bsrxmvn_3x3_kernelILj256ELj64E21rocsparse_complex_numIdEiiS2_S2_S2_EEvT3_20rocsparse_direction_NS_24const_host_device_scalarIT1_EES3_PKS3_PKT2_SC_S9_PKT4_PKT5_S7_PT6_21rocsparse_index_base_b: ; @_ZN9rocsparseL18bsrxmvn_3x3_kernelILj256ELj64E21rocsparse_complex_numIdEiiS2_S2_S2_EEvT3_20rocsparse_direction_NS_24const_host_device_scalarIT1_EES3_PKS3_PKT2_SC_S9_PKT4_PKT5_S7_PT6_21rocsparse_index_base_b
; %bb.0:
	s_clause 0x1
	s_load_b64 s[12:13], s[0:1], 0x68
	s_load_b64 s[2:3], s[0:1], 0x8
	s_add_nc_u64 s[4:5], s[0:1], 8
	s_load_b64 s[6:7], s[0:1], 0x50
	s_wait_kmcnt 0x0
	s_bitcmp1_b32 s13, 0
	s_cselect_b32 s2, s4, s2
	s_cselect_b32 s3, s5, s3
	s_delay_alu instid0(SALU_CYCLE_1)
	v_dual_mov_b32 v1, s2 :: v_dual_mov_b32 v2, s3
	s_add_nc_u64 s[2:3], s[0:1], 0x50
	s_wait_alu 0xfffe
	s_cselect_b32 s2, s2, s6
	s_cselect_b32 s3, s3, s7
	flat_load_b128 v[5:8], v[1:2]
	s_wait_alu 0xfffe
	v_dual_mov_b32 v1, s2 :: v_dual_mov_b32 v2, s3
	flat_load_b128 v[1:4], v[1:2]
	s_wait_loadcnt_dscnt 0x101
	v_cmp_eq_f64_e32 vcc_lo, 0, v[5:6]
	v_cmp_eq_f64_e64 s2, 0, v[7:8]
	s_and_b32 s4, vcc_lo, s2
	s_mov_b32 s2, -1
	s_and_saveexec_b32 s3, s4
	s_cbranch_execz .LBB19_2
; %bb.1:
	s_wait_loadcnt_dscnt 0x0
	v_cmp_neq_f64_e32 vcc_lo, 1.0, v[1:2]
	v_cmp_neq_f64_e64 s2, 0, v[3:4]
	s_wait_alu 0xfffe
	s_or_b32 s2, vcc_lo, s2
	s_wait_alu 0xfffe
	s_or_not1_b32 s2, s2, exec_lo
.LBB19_2:
	s_wait_alu 0xfffe
	s_or_b32 exec_lo, exec_lo, s3
	s_and_saveexec_b32 s3, s2
	s_cbranch_execz .LBB19_8
; %bb.3:
	s_clause 0x1
	s_load_b64 s[4:5], s[0:1], 0x20
	s_load_b64 s[2:3], s[0:1], 0x0
	v_lshrrev_b32_e32 v9, 6, v0
	s_delay_alu instid0(VALU_DEP_1)
	v_lshl_or_b32 v17, ttmp9, 2, v9
	s_wait_kmcnt 0x0
	s_cmp_lg_u64 s[4:5], 0
	s_cbranch_scc0 .LBB19_9
; %bb.4:
	s_load_b32 s6, s[0:1], 0x18
	s_mov_b32 s7, 0
                                        ; implicit-def: $vgpr9
	s_wait_kmcnt 0x0
	v_cmp_gt_i32_e32 vcc_lo, s6, v17
	s_mov_b32 s6, 0
	s_and_saveexec_b32 s8, vcc_lo
	s_delay_alu instid0(SALU_CYCLE_1)
	s_xor_b32 s8, exec_lo, s8
	s_cbranch_execz .LBB19_6
; %bb.5:
	v_ashrrev_i32_e32 v18, 31, v17
	s_mov_b32 s6, exec_lo
	s_delay_alu instid0(VALU_DEP_1) | instskip(NEXT) | instid1(VALU_DEP_1)
	v_lshlrev_b64_e32 v[9:10], 2, v[17:18]
	v_add_co_u32 v9, vcc_lo, s4, v9
	s_delay_alu instid0(VALU_DEP_1)
	v_add_co_ci_u32_e64 v10, null, s5, v10, vcc_lo
	global_load_b32 v9, v[9:10], off
	s_wait_loadcnt 0x0
	v_subrev_nc_u32_e32 v9, s12, v9
.LBB19_6:
	s_or_b32 exec_lo, exec_lo, s8
	s_delay_alu instid0(SALU_CYCLE_1)
	s_and_b32 vcc_lo, exec_lo, s7
	s_wait_alu 0xfffe
	s_cbranch_vccz .LBB19_10
.LBB19_7:
	v_cmp_gt_i32_e32 vcc_lo, s2, v17
	s_and_not1_b32 s2, s6, exec_lo
	s_and_b32 s4, vcc_lo, exec_lo
	s_wait_alu 0xfffe
	s_or_b32 s6, s2, s4
	s_wait_alu 0xfffe
	s_and_b32 exec_lo, exec_lo, s6
	s_cbranch_execnz .LBB19_11
.LBB19_8:
	s_endpgm
.LBB19_9:
	s_mov_b32 s6, 0
                                        ; implicit-def: $vgpr9
	s_cbranch_execnz .LBB19_7
.LBB19_10:
	v_mov_b32_e32 v17, v9
	s_and_b32 exec_lo, exec_lo, s6
	s_cbranch_execz .LBB19_8
.LBB19_11:
	s_load_b256 s[4:11], s[0:1], 0x28
	s_delay_alu instid0(VALU_DEP_1) | instskip(SKIP_1) | instid1(VALU_DEP_2)
	v_ashrrev_i32_e32 v18, 31, v17
	v_and_b32_e32 v0, 63, v0
	v_lshlrev_b64_e32 v[9:10], 2, v[17:18]
	s_wait_kmcnt 0x0
	s_delay_alu instid0(VALU_DEP_1) | instskip(SKIP_1) | instid1(VALU_DEP_2)
	v_add_co_u32 v11, vcc_lo, s4, v9
	s_wait_alu 0xfffd
	v_add_co_ci_u32_e64 v12, null, s5, v10, vcc_lo
	v_add_co_u32 v9, vcc_lo, s6, v9
	s_wait_alu 0xfffd
	v_add_co_ci_u32_e64 v10, null, s7, v10, vcc_lo
	;; [unrolled: 3-line block ×3, first 2 shown]
	s_cmp_eq_u64 s[6:7], 0
	global_load_b32 v11, v[11:12], off
	s_cselect_b32 vcc_lo, -1, 0
	s_load_b64 s[4:5], s[0:1], 0x48
	v_dual_cndmask_b32 v10, v10, v14 :: v_dual_cndmask_b32 v9, v9, v13
	s_cmp_eq_u32 s3, 1
	global_load_b32 v9, v[9:10], off
	s_wait_loadcnt 0x1
	v_subrev_nc_u32_e32 v10, s12, v11
	s_delay_alu instid0(VALU_DEP_1) | instskip(SKIP_2) | instid1(VALU_DEP_2)
	v_add_nc_u32_e32 v22, v10, v0
	s_wait_loadcnt 0x0
	v_subrev_nc_u32_e32 v30, s12, v9
	v_mad_co_i64_i32 v[24:25], null, 0x90, v22, s[10:11]
	s_delay_alu instid0(VALU_DEP_2)
	v_cmp_lt_i32_e64 s2, v22, v30
	s_cbranch_scc1 .LBB19_17
; %bb.12:
	v_mov_b32_e32 v9, 0
	v_dual_mov_b32 v13, 0 :: v_dual_mov_b32 v18, 0
	v_dual_mov_b32 v10, 0 :: v_dual_mov_b32 v11, 0
	;; [unrolled: 1-line block ×4, first 2 shown]
	v_mov_b32_e32 v12, 0
	v_dual_mov_b32 v16, 0 :: v_dual_mov_b32 v21, 0
	s_and_saveexec_b32 s6, s2
	s_cbranch_execz .LBB19_16
; %bb.13:
	v_dual_mov_b32 v9, 0 :: v_dual_mov_b32 v26, v22
	v_dual_mov_b32 v10, 0 :: v_dual_mov_b32 v11, 0
	;; [unrolled: 1-line block ×4, first 2 shown]
	v_mov_b32_e32 v18, 0
	v_dual_mov_b32 v20, 0 :: v_dual_mov_b32 v29, v25
	v_dual_mov_b32 v16, 0 :: v_dual_mov_b32 v19, 0
	;; [unrolled: 1-line block ×3, first 2 shown]
	s_mov_b32 s7, 0
.LBB19_14:                              ; =>This Inner Loop Header: Depth=1
	v_ashrrev_i32_e32 v27, 31, v26
	s_delay_alu instid0(VALU_DEP_1) | instskip(SKIP_1) | instid1(VALU_DEP_2)
	v_lshlrev_b64_e32 v[31:32], 2, v[26:27]
	v_add_nc_u32_e32 v26, 64, v26
	v_add_co_u32 v31, vcc_lo, s8, v31
	s_wait_alu 0xfffd
	s_delay_alu instid0(VALU_DEP_3)
	v_add_co_ci_u32_e64 v32, null, s9, v32, vcc_lo
	global_load_b32 v23, v[31:32], off
	s_clause 0x4
	global_load_b128 v[31:34], v[28:29], off offset:48
	global_load_b128 v[35:38], v[28:29], off offset:16
	global_load_b128 v[39:42], v[28:29], off
	global_load_b128 v[43:46], v[28:29], off offset:112
	global_load_b128 v[47:50], v[28:29], off offset:96
	s_wait_loadcnt 0x5
	v_subrev_nc_u32_e32 v23, s12, v23
	s_delay_alu instid0(VALU_DEP_1) | instskip(NEXT) | instid1(VALU_DEP_1)
	v_lshl_add_u32 v51, v23, 1, v23
	v_ashrrev_i32_e32 v52, 31, v51
	s_delay_alu instid0(VALU_DEP_1) | instskip(SKIP_1) | instid1(VALU_DEP_1)
	v_lshlrev_b64_e32 v[51:52], 4, v[51:52]
	s_wait_kmcnt 0x0
	v_add_co_u32 v75, vcc_lo, s4, v51
	s_wait_alu 0xfffd
	s_delay_alu instid0(VALU_DEP_2)
	v_add_co_ci_u32_e64 v76, null, s5, v52, vcc_lo
	v_cmp_ge_i32_e32 vcc_lo, v26, v30
	s_clause 0x1
	global_load_b128 v[51:54], v[75:76], off
	global_load_b128 v[55:58], v[75:76], off offset:16
	s_clause 0x3
	global_load_b128 v[59:62], v[28:29], off offset:64
	global_load_b128 v[63:66], v[28:29], off offset:80
	;; [unrolled: 1-line block ×5, first 2 shown]
	v_add_co_u32 v28, s3, 0x2400, v28
	s_wait_alu 0xf1ff
	v_add_co_ci_u32_e64 v29, null, 0, v29, s3
	s_wait_alu 0xfffe
	s_or_b32 s7, vcc_lo, s7
	s_wait_loadcnt 0x6
	v_fma_f64 v[11:12], v[39:40], v[51:52], v[11:12]
	v_fma_f64 v[9:10], v[41:42], v[51:52], v[9:10]
	;; [unrolled: 1-line block ×6, first 2 shown]
	v_fma_f64 v[11:12], -v[41:42], v[53:54], v[11:12]
	v_fma_f64 v[9:10], v[39:40], v[53:54], v[9:10]
	v_fma_f64 v[18:19], -v[33:34], v[53:54], v[18:19]
	v_fma_f64 v[20:21], v[31:32], v[53:54], v[20:21]
	;; [unrolled: 2-line block ×3, first 2 shown]
	s_wait_loadcnt 0x5
	v_fma_f64 v[11:12], v[35:36], v[55:56], v[11:12]
	v_fma_f64 v[9:10], v[37:38], v[55:56], v[9:10]
	s_wait_loadcnt 0x4
	v_fma_f64 v[18:19], v[59:60], v[55:56], v[18:19]
	v_fma_f64 v[20:21], v[61:62], v[55:56], v[20:21]
	;; [unrolled: 1-line block ×4, first 2 shown]
	v_fma_f64 v[11:12], -v[37:38], v[57:58], v[11:12]
	v_fma_f64 v[9:10], v[35:36], v[57:58], v[9:10]
	v_fma_f64 v[18:19], -v[61:62], v[57:58], v[18:19]
	v_fma_f64 v[20:21], v[59:60], v[57:58], v[20:21]
	v_fma_f64 v[13:14], -v[45:46], v[57:58], v[13:14]
	v_fma_f64 v[15:16], v[43:44], v[57:58], v[15:16]
	s_wait_loadcnt 0x0
	v_fma_f64 v[11:12], v[67:68], v[75:76], v[11:12]
	v_fma_f64 v[9:10], v[69:70], v[75:76], v[9:10]
	;; [unrolled: 1-line block ×6, first 2 shown]
	v_fma_f64 v[11:12], -v[69:70], v[77:78], v[11:12]
	v_fma_f64 v[9:10], v[67:68], v[77:78], v[9:10]
	v_fma_f64 v[18:19], -v[65:66], v[77:78], v[18:19]
	v_fma_f64 v[20:21], v[63:64], v[77:78], v[20:21]
	;; [unrolled: 2-line block ×3, first 2 shown]
	s_wait_alu 0xfffe
	s_and_not1_b32 exec_lo, exec_lo, s7
	s_cbranch_execnz .LBB19_14
; %bb.15:
	s_or_b32 exec_lo, exec_lo, s7
.LBB19_16:
	s_wait_alu 0xfffe
	s_or_b32 exec_lo, exec_lo, s6
	s_cbranch_execz .LBB19_18
	s_branch .LBB19_23
.LBB19_17:
                                        ; implicit-def: $vgpr9_vgpr10
                                        ; implicit-def: $vgpr11_vgpr12
                                        ; implicit-def: $vgpr13_vgpr14
                                        ; implicit-def: $vgpr15_vgpr16
                                        ; implicit-def: $vgpr18_vgpr19
                                        ; implicit-def: $vgpr20_vgpr21
.LBB19_18:
	v_mov_b32_e32 v9, 0
	v_dual_mov_b32 v13, 0 :: v_dual_mov_b32 v18, 0
	v_dual_mov_b32 v10, 0 :: v_dual_mov_b32 v11, 0
	;; [unrolled: 1-line block ×4, first 2 shown]
	v_mov_b32_e32 v12, 0
	v_dual_mov_b32 v16, 0 :: v_dual_mov_b32 v21, 0
	s_and_saveexec_b32 s3, s2
	s_cbranch_execz .LBB19_22
; %bb.19:
	v_mov_b32_e32 v9, 0
	v_dual_mov_b32 v13, 0 :: v_dual_mov_b32 v18, 0
	v_dual_mov_b32 v10, 0 :: v_dual_mov_b32 v11, 0
	;; [unrolled: 1-line block ×4, first 2 shown]
	v_mov_b32_e32 v12, 0
	v_dual_mov_b32 v16, 0 :: v_dual_mov_b32 v21, 0
	s_mov_b32 s6, 0
.LBB19_20:                              ; =>This Inner Loop Header: Depth=1
	v_ashrrev_i32_e32 v23, 31, v22
	s_delay_alu instid0(VALU_DEP_1) | instskip(SKIP_1) | instid1(VALU_DEP_2)
	v_lshlrev_b64_e32 v[26:27], 2, v[22:23]
	v_add_nc_u32_e32 v22, 64, v22
	v_add_co_u32 v26, vcc_lo, s8, v26
	s_wait_alu 0xfffd
	s_delay_alu instid0(VALU_DEP_3)
	v_add_co_ci_u32_e64 v27, null, s9, v27, vcc_lo
	global_load_b32 v23, v[26:27], off
	s_clause 0x3
	global_load_b128 v[26:29], v[24:25], off offset:48
	global_load_b128 v[31:34], v[24:25], off offset:32
	;; [unrolled: 1-line block ×3, first 2 shown]
	global_load_b128 v[39:42], v[24:25], off
	s_wait_loadcnt 0x4
	v_subrev_nc_u32_e32 v23, s12, v23
	s_delay_alu instid0(VALU_DEP_1) | instskip(NEXT) | instid1(VALU_DEP_1)
	v_lshl_add_u32 v43, v23, 1, v23
	v_ashrrev_i32_e32 v44, 31, v43
	s_delay_alu instid0(VALU_DEP_1) | instskip(SKIP_1) | instid1(VALU_DEP_1)
	v_lshlrev_b64_e32 v[43:44], 4, v[43:44]
	s_wait_kmcnt 0x0
	v_add_co_u32 v71, vcc_lo, s4, v43
	s_wait_alu 0xfffd
	s_delay_alu instid0(VALU_DEP_2)
	v_add_co_ci_u32_e64 v72, null, s5, v44, vcc_lo
	v_cmp_ge_i32_e32 vcc_lo, v22, v30
	s_clause 0x1
	global_load_b128 v[43:46], v[71:72], off
	global_load_b128 v[47:50], v[71:72], off offset:16
	s_clause 0x4
	global_load_b128 v[51:54], v[24:25], off offset:64
	global_load_b128 v[55:58], v[24:25], off offset:80
	;; [unrolled: 1-line block ×6, first 2 shown]
	v_add_co_u32 v24, s2, 0x2400, v24
	s_wait_alu 0xf1ff
	v_add_co_ci_u32_e64 v25, null, 0, v25, s2
	s_wait_alu 0xfffe
	s_or_b32 s6, vcc_lo, s6
	s_wait_loadcnt 0x7
	v_fma_f64 v[11:12], v[39:40], v[43:44], v[11:12]
	v_fma_f64 v[9:10], v[41:42], v[43:44], v[9:10]
	;; [unrolled: 1-line block ×6, first 2 shown]
	v_fma_f64 v[11:12], -v[41:42], v[45:46], v[11:12]
	v_fma_f64 v[9:10], v[39:40], v[45:46], v[9:10]
	v_fma_f64 v[18:19], -v[37:38], v[45:46], v[18:19]
	v_fma_f64 v[20:21], v[35:36], v[45:46], v[20:21]
	;; [unrolled: 2-line block ×3, first 2 shown]
	s_wait_loadcnt 0x6
	v_fma_f64 v[11:12], v[26:27], v[47:48], v[11:12]
	v_fma_f64 v[9:10], v[28:29], v[47:48], v[9:10]
	s_wait_loadcnt 0x5
	v_fma_f64 v[18:19], v[51:52], v[47:48], v[18:19]
	v_fma_f64 v[20:21], v[53:54], v[47:48], v[20:21]
	;; [unrolled: 3-line block ×3, first 2 shown]
	v_fma_f64 v[11:12], -v[28:29], v[49:50], v[11:12]
	v_fma_f64 v[9:10], v[26:27], v[49:50], v[9:10]
	v_fma_f64 v[18:19], -v[53:54], v[49:50], v[18:19]
	v_fma_f64 v[20:21], v[51:52], v[49:50], v[20:21]
	;; [unrolled: 2-line block ×3, first 2 shown]
	s_wait_loadcnt 0x0
	v_fma_f64 v[11:12], v[63:64], v[71:72], v[11:12]
	v_fma_f64 v[9:10], v[65:66], v[71:72], v[9:10]
	;; [unrolled: 1-line block ×6, first 2 shown]
	v_fma_f64 v[11:12], -v[65:66], v[73:74], v[11:12]
	v_fma_f64 v[9:10], v[63:64], v[73:74], v[9:10]
	v_fma_f64 v[18:19], -v[61:62], v[73:74], v[18:19]
	v_fma_f64 v[20:21], v[59:60], v[73:74], v[20:21]
	;; [unrolled: 2-line block ×3, first 2 shown]
	s_wait_alu 0xfffe
	s_and_not1_b32 exec_lo, exec_lo, s6
	s_cbranch_execnz .LBB19_20
; %bb.21:
	s_or_b32 exec_lo, exec_lo, s6
.LBB19_22:
	s_wait_alu 0xfffe
	s_or_b32 exec_lo, exec_lo, s3
.LBB19_23:
	v_mbcnt_lo_u32_b32 v34, -1, 0
	s_delay_alu instid0(VALU_DEP_1) | instskip(NEXT) | instid1(VALU_DEP_1)
	v_or_b32_e32 v22, 32, v34
	v_cmp_gt_i32_e32 vcc_lo, 32, v22
	s_wait_alu 0xfffd
	v_cndmask_b32_e32 v22, v34, v22, vcc_lo
	s_delay_alu instid0(VALU_DEP_1)
	v_lshlrev_b32_e32 v33, 2, v22
	ds_bpermute_b32 v22, v33, v11
	ds_bpermute_b32 v23, v33, v12
	ds_bpermute_b32 v24, v33, v9
	ds_bpermute_b32 v25, v33, v10
	ds_bpermute_b32 v26, v33, v18
	ds_bpermute_b32 v27, v33, v19
	ds_bpermute_b32 v28, v33, v20
	ds_bpermute_b32 v29, v33, v21
	ds_bpermute_b32 v30, v33, v13
	ds_bpermute_b32 v31, v33, v14
	ds_bpermute_b32 v32, v33, v15
	ds_bpermute_b32 v33, v33, v16
	s_wait_dscnt 0xa
	v_add_f64_e32 v[11:12], v[11:12], v[22:23]
	v_xor_b32_e32 v22, 16, v34
	s_wait_dscnt 0x8
	v_add_f64_e32 v[9:10], v[9:10], v[24:25]
	s_wait_dscnt 0x6
	v_add_f64_e32 v[18:19], v[18:19], v[26:27]
	s_wait_dscnt 0x4
	v_add_f64_e32 v[20:21], v[20:21], v[28:29]
	v_cmp_gt_i32_e32 vcc_lo, 32, v22
	s_wait_dscnt 0x2
	v_add_f64_e32 v[13:14], v[13:14], v[30:31]
	s_wait_dscnt 0x0
	v_add_f64_e32 v[15:16], v[15:16], v[32:33]
	s_wait_alu 0xfffd
	v_cndmask_b32_e32 v22, v34, v22, vcc_lo
	s_delay_alu instid0(VALU_DEP_1)
	v_lshlrev_b32_e32 v33, 2, v22
	ds_bpermute_b32 v22, v33, v11
	ds_bpermute_b32 v23, v33, v12
	ds_bpermute_b32 v24, v33, v9
	ds_bpermute_b32 v25, v33, v10
	ds_bpermute_b32 v26, v33, v18
	ds_bpermute_b32 v27, v33, v19
	ds_bpermute_b32 v28, v33, v20
	ds_bpermute_b32 v29, v33, v21
	ds_bpermute_b32 v30, v33, v13
	ds_bpermute_b32 v31, v33, v14
	ds_bpermute_b32 v32, v33, v15
	ds_bpermute_b32 v33, v33, v16
	s_wait_dscnt 0xa
	v_add_f64_e32 v[11:12], v[11:12], v[22:23]
	v_xor_b32_e32 v22, 8, v34
	s_wait_dscnt 0x8
	v_add_f64_e32 v[9:10], v[9:10], v[24:25]
	s_wait_dscnt 0x6
	v_add_f64_e32 v[18:19], v[18:19], v[26:27]
	s_wait_dscnt 0x4
	v_add_f64_e32 v[20:21], v[20:21], v[28:29]
	v_cmp_gt_i32_e32 vcc_lo, 32, v22
	s_wait_dscnt 0x2
	v_add_f64_e32 v[13:14], v[13:14], v[30:31]
	s_wait_dscnt 0x0
	v_add_f64_e32 v[15:16], v[15:16], v[32:33]
	;; [unrolled: 30-line block ×3, first 2 shown]
	s_wait_alu 0xfffd
	v_cndmask_b32_e32 v22, v34, v22, vcc_lo
	s_delay_alu instid0(VALU_DEP_1)
	v_lshlrev_b32_e32 v33, 2, v22
	ds_bpermute_b32 v22, v33, v11
	ds_bpermute_b32 v23, v33, v12
	;; [unrolled: 1-line block ×12, first 2 shown]
	s_wait_dscnt 0xa
	v_add_f64_e32 v[11:12], v[11:12], v[22:23]
	s_wait_dscnt 0x8
	v_add_f64_e32 v[22:23], v[9:10], v[24:25]
	v_xor_b32_e32 v9, 2, v34
	s_wait_dscnt 0x6
	v_add_f64_e32 v[18:19], v[18:19], v[26:27]
	s_wait_dscnt 0x4
	v_add_f64_e32 v[20:21], v[20:21], v[28:29]
	;; [unrolled: 2-line block ×3, first 2 shown]
	v_cmp_gt_i32_e32 vcc_lo, 32, v9
	s_wait_dscnt 0x0
	v_add_f64_e32 v[15:16], v[15:16], v[32:33]
	s_wait_alu 0xfffd
	v_cndmask_b32_e32 v9, v34, v9, vcc_lo
	s_delay_alu instid0(VALU_DEP_1)
	v_lshlrev_b32_e32 v33, 2, v9
	ds_bpermute_b32 v9, v33, v11
	ds_bpermute_b32 v10, v33, v12
	;; [unrolled: 1-line block ×12, first 2 shown]
	s_wait_dscnt 0xa
	v_add_f64_e32 v[9:10], v[11:12], v[9:10]
	s_wait_dscnt 0x8
	v_add_f64_e32 v[22:23], v[22:23], v[24:25]
	s_wait_dscnt 0x6
	v_add_f64_e32 v[11:12], v[18:19], v[26:27]
	s_wait_dscnt 0x4
	v_add_f64_e32 v[18:19], v[20:21], v[28:29]
	v_xor_b32_e32 v20, 1, v34
	s_wait_dscnt 0x2
	v_add_f64_e32 v[13:14], v[13:14], v[30:31]
	s_wait_dscnt 0x0
	v_add_f64_e32 v[15:16], v[15:16], v[32:33]
	v_cmp_gt_i32_e32 vcc_lo, 32, v20
	s_wait_alu 0xfffd
	v_cndmask_b32_e32 v20, v34, v20, vcc_lo
	v_cmp_eq_u32_e32 vcc_lo, 63, v0
	s_delay_alu instid0(VALU_DEP_2)
	v_lshlrev_b32_e32 v29, 2, v20
	ds_bpermute_b32 v20, v29, v9
	ds_bpermute_b32 v21, v29, v10
	;; [unrolled: 1-line block ×12, first 2 shown]
	s_and_b32 exec_lo, exec_lo, vcc_lo
	s_cbranch_execz .LBB19_8
; %bb.24:
	s_wait_dscnt 0x8
	v_add_f64_e32 v[22:23], v[22:23], v[32:33]
	s_wait_dscnt 0x4
	v_add_f64_e32 v[18:19], v[18:19], v[30:31]
	;; [unrolled: 2-line block ×3, first 2 shown]
	v_add_f64_e32 v[9:10], v[9:10], v[20:21]
	v_add_f64_e32 v[11:12], v[11:12], v[24:25]
	;; [unrolled: 1-line block ×3, first 2 shown]
	v_cmp_eq_f64_e32 vcc_lo, 0, v[1:2]
	v_cmp_eq_f64_e64 s2, 0, v[3:4]
	s_load_b64 s[0:1], s[0:1], 0x60
	v_lshl_add_u32 v17, v17, 1, v17
	v_mul_f64_e64 v[13:14], v[22:23], -v[7:8]
	v_mul_f64_e32 v[22:23], v[5:6], v[22:23]
	v_mul_f64_e64 v[24:25], v[18:19], -v[7:8]
	v_mul_f64_e32 v[18:19], v[5:6], v[18:19]
	;; [unrolled: 2-line block ×3, first 2 shown]
	s_and_b32 s2, vcc_lo, s2
	v_fma_f64 v[13:14], v[5:6], v[9:10], v[13:14]
	v_fma_f64 v[15:16], v[7:8], v[9:10], v[22:23]
	;; [unrolled: 1-line block ×6, first 2 shown]
	v_ashrrev_i32_e32 v18, 31, v17
	s_wait_alu 0xfffe
	s_and_saveexec_b32 s3, s2
	s_wait_alu 0xfffe
	s_xor_b32 s2, exec_lo, s3
	s_cbranch_execz .LBB19_26
; %bb.25:
	v_lshlrev_b64_e32 v[0:1], 4, v[17:18]
                                        ; implicit-def: $vgpr17
	s_wait_kmcnt 0x0
	s_delay_alu instid0(VALU_DEP_1) | instskip(SKIP_1) | instid1(VALU_DEP_2)
	v_add_co_u32 v0, vcc_lo, s0, v0
	s_wait_alu 0xfffd
	v_add_co_ci_u32_e64 v1, null, s1, v1, vcc_lo
	s_clause 0x2
	global_store_b128 v[0:1], v[13:16], off
	global_store_b128 v[0:1], v[9:12], off offset:16
	global_store_b128 v[0:1], v[5:8], off offset:32
                                        ; implicit-def: $vgpr3_vgpr4
                                        ; implicit-def: $vgpr13_vgpr14
                                        ; implicit-def: $vgpr9_vgpr10
                                        ; implicit-def: $vgpr5_vgpr6
.LBB19_26:
	s_wait_alu 0xfffe
	s_and_not1_saveexec_b32 s2, s2
	s_cbranch_execz .LBB19_8
; %bb.27:
	v_lshlrev_b64_e32 v[17:18], 4, v[17:18]
	s_wait_kmcnt 0x0
	s_delay_alu instid0(VALU_DEP_1) | instskip(SKIP_1) | instid1(VALU_DEP_2)
	v_add_co_u32 v29, vcc_lo, s0, v17
	s_wait_alu 0xfffd
	v_add_co_ci_u32_e64 v30, null, s1, v18, vcc_lo
	s_clause 0x2
	global_load_b128 v[17:20], v[29:30], off
	global_load_b128 v[21:24], v[29:30], off offset:16
	global_load_b128 v[25:28], v[29:30], off offset:32
	s_wait_loadcnt 0x2
	v_fma_f64 v[13:14], v[1:2], v[17:18], v[13:14]
	v_fma_f64 v[15:16], v[3:4], v[17:18], v[15:16]
	s_wait_loadcnt 0x1
	v_fma_f64 v[9:10], v[1:2], v[21:22], v[9:10]
	v_fma_f64 v[11:12], v[3:4], v[21:22], v[11:12]
	;; [unrolled: 3-line block ×3, first 2 shown]
	v_fma_f64 v[5:6], -v[3:4], v[19:20], v[13:14]
	v_fma_f64 v[7:8], v[1:2], v[19:20], v[15:16]
	v_fma_f64 v[9:10], -v[3:4], v[23:24], v[9:10]
	v_fma_f64 v[11:12], v[1:2], v[23:24], v[11:12]
	;; [unrolled: 2-line block ×3, first 2 shown]
	s_clause 0x2
	global_store_b128 v[29:30], v[5:8], off
	global_store_b128 v[29:30], v[9:12], off offset:16
	global_store_b128 v[29:30], v[13:16], off offset:32
	s_endpgm
	.section	.rodata,"a",@progbits
	.p2align	6, 0x0
	.amdhsa_kernel _ZN9rocsparseL18bsrxmvn_3x3_kernelILj256ELj64E21rocsparse_complex_numIdEiiS2_S2_S2_EEvT3_20rocsparse_direction_NS_24const_host_device_scalarIT1_EES3_PKS3_PKT2_SC_S9_PKT4_PKT5_S7_PT6_21rocsparse_index_base_b
		.amdhsa_group_segment_fixed_size 0
		.amdhsa_private_segment_fixed_size 0
		.amdhsa_kernarg_size 112
		.amdhsa_user_sgpr_count 2
		.amdhsa_user_sgpr_dispatch_ptr 0
		.amdhsa_user_sgpr_queue_ptr 0
		.amdhsa_user_sgpr_kernarg_segment_ptr 1
		.amdhsa_user_sgpr_dispatch_id 0
		.amdhsa_user_sgpr_private_segment_size 0
		.amdhsa_wavefront_size32 1
		.amdhsa_uses_dynamic_stack 0
		.amdhsa_enable_private_segment 0
		.amdhsa_system_sgpr_workgroup_id_x 1
		.amdhsa_system_sgpr_workgroup_id_y 0
		.amdhsa_system_sgpr_workgroup_id_z 0
		.amdhsa_system_sgpr_workgroup_info 0
		.amdhsa_system_vgpr_workitem_id 0
		.amdhsa_next_free_vgpr 79
		.amdhsa_next_free_sgpr 14
		.amdhsa_reserve_vcc 1
		.amdhsa_float_round_mode_32 0
		.amdhsa_float_round_mode_16_64 0
		.amdhsa_float_denorm_mode_32 3
		.amdhsa_float_denorm_mode_16_64 3
		.amdhsa_fp16_overflow 0
		.amdhsa_workgroup_processor_mode 1
		.amdhsa_memory_ordered 1
		.amdhsa_forward_progress 1
		.amdhsa_inst_pref_size 28
		.amdhsa_round_robin_scheduling 0
		.amdhsa_exception_fp_ieee_invalid_op 0
		.amdhsa_exception_fp_denorm_src 0
		.amdhsa_exception_fp_ieee_div_zero 0
		.amdhsa_exception_fp_ieee_overflow 0
		.amdhsa_exception_fp_ieee_underflow 0
		.amdhsa_exception_fp_ieee_inexact 0
		.amdhsa_exception_int_div_zero 0
	.end_amdhsa_kernel
	.section	.text._ZN9rocsparseL18bsrxmvn_3x3_kernelILj256ELj64E21rocsparse_complex_numIdEiiS2_S2_S2_EEvT3_20rocsparse_direction_NS_24const_host_device_scalarIT1_EES3_PKS3_PKT2_SC_S9_PKT4_PKT5_S7_PT6_21rocsparse_index_base_b,"axG",@progbits,_ZN9rocsparseL18bsrxmvn_3x3_kernelILj256ELj64E21rocsparse_complex_numIdEiiS2_S2_S2_EEvT3_20rocsparse_direction_NS_24const_host_device_scalarIT1_EES3_PKS3_PKT2_SC_S9_PKT4_PKT5_S7_PT6_21rocsparse_index_base_b,comdat
.Lfunc_end19:
	.size	_ZN9rocsparseL18bsrxmvn_3x3_kernelILj256ELj64E21rocsparse_complex_numIdEiiS2_S2_S2_EEvT3_20rocsparse_direction_NS_24const_host_device_scalarIT1_EES3_PKS3_PKT2_SC_S9_PKT4_PKT5_S7_PT6_21rocsparse_index_base_b, .Lfunc_end19-_ZN9rocsparseL18bsrxmvn_3x3_kernelILj256ELj64E21rocsparse_complex_numIdEiiS2_S2_S2_EEvT3_20rocsparse_direction_NS_24const_host_device_scalarIT1_EES3_PKS3_PKT2_SC_S9_PKT4_PKT5_S7_PT6_21rocsparse_index_base_b
                                        ; -- End function
	.set _ZN9rocsparseL18bsrxmvn_3x3_kernelILj256ELj64E21rocsparse_complex_numIdEiiS2_S2_S2_EEvT3_20rocsparse_direction_NS_24const_host_device_scalarIT1_EES3_PKS3_PKT2_SC_S9_PKT4_PKT5_S7_PT6_21rocsparse_index_base_b.num_vgpr, 79
	.set _ZN9rocsparseL18bsrxmvn_3x3_kernelILj256ELj64E21rocsparse_complex_numIdEiiS2_S2_S2_EEvT3_20rocsparse_direction_NS_24const_host_device_scalarIT1_EES3_PKS3_PKT2_SC_S9_PKT4_PKT5_S7_PT6_21rocsparse_index_base_b.num_agpr, 0
	.set _ZN9rocsparseL18bsrxmvn_3x3_kernelILj256ELj64E21rocsparse_complex_numIdEiiS2_S2_S2_EEvT3_20rocsparse_direction_NS_24const_host_device_scalarIT1_EES3_PKS3_PKT2_SC_S9_PKT4_PKT5_S7_PT6_21rocsparse_index_base_b.numbered_sgpr, 14
	.set _ZN9rocsparseL18bsrxmvn_3x3_kernelILj256ELj64E21rocsparse_complex_numIdEiiS2_S2_S2_EEvT3_20rocsparse_direction_NS_24const_host_device_scalarIT1_EES3_PKS3_PKT2_SC_S9_PKT4_PKT5_S7_PT6_21rocsparse_index_base_b.num_named_barrier, 0
	.set _ZN9rocsparseL18bsrxmvn_3x3_kernelILj256ELj64E21rocsparse_complex_numIdEiiS2_S2_S2_EEvT3_20rocsparse_direction_NS_24const_host_device_scalarIT1_EES3_PKS3_PKT2_SC_S9_PKT4_PKT5_S7_PT6_21rocsparse_index_base_b.private_seg_size, 0
	.set _ZN9rocsparseL18bsrxmvn_3x3_kernelILj256ELj64E21rocsparse_complex_numIdEiiS2_S2_S2_EEvT3_20rocsparse_direction_NS_24const_host_device_scalarIT1_EES3_PKS3_PKT2_SC_S9_PKT4_PKT5_S7_PT6_21rocsparse_index_base_b.uses_vcc, 1
	.set _ZN9rocsparseL18bsrxmvn_3x3_kernelILj256ELj64E21rocsparse_complex_numIdEiiS2_S2_S2_EEvT3_20rocsparse_direction_NS_24const_host_device_scalarIT1_EES3_PKS3_PKT2_SC_S9_PKT4_PKT5_S7_PT6_21rocsparse_index_base_b.uses_flat_scratch, 0
	.set _ZN9rocsparseL18bsrxmvn_3x3_kernelILj256ELj64E21rocsparse_complex_numIdEiiS2_S2_S2_EEvT3_20rocsparse_direction_NS_24const_host_device_scalarIT1_EES3_PKS3_PKT2_SC_S9_PKT4_PKT5_S7_PT6_21rocsparse_index_base_b.has_dyn_sized_stack, 0
	.set _ZN9rocsparseL18bsrxmvn_3x3_kernelILj256ELj64E21rocsparse_complex_numIdEiiS2_S2_S2_EEvT3_20rocsparse_direction_NS_24const_host_device_scalarIT1_EES3_PKS3_PKT2_SC_S9_PKT4_PKT5_S7_PT6_21rocsparse_index_base_b.has_recursion, 0
	.set _ZN9rocsparseL18bsrxmvn_3x3_kernelILj256ELj64E21rocsparse_complex_numIdEiiS2_S2_S2_EEvT3_20rocsparse_direction_NS_24const_host_device_scalarIT1_EES3_PKS3_PKT2_SC_S9_PKT4_PKT5_S7_PT6_21rocsparse_index_base_b.has_indirect_call, 0
	.section	.AMDGPU.csdata,"",@progbits
; Kernel info:
; codeLenInByte = 3584
; TotalNumSgprs: 16
; NumVgprs: 79
; ScratchSize: 0
; MemoryBound: 0
; FloatMode: 240
; IeeeMode: 1
; LDSByteSize: 0 bytes/workgroup (compile time only)
; SGPRBlocks: 0
; VGPRBlocks: 9
; NumSGPRsForWavesPerEU: 16
; NumVGPRsForWavesPerEU: 79
; Occupancy: 16
; WaveLimiterHint : 1
; COMPUTE_PGM_RSRC2:SCRATCH_EN: 0
; COMPUTE_PGM_RSRC2:USER_SGPR: 2
; COMPUTE_PGM_RSRC2:TRAP_HANDLER: 0
; COMPUTE_PGM_RSRC2:TGID_X_EN: 1
; COMPUTE_PGM_RSRC2:TGID_Y_EN: 0
; COMPUTE_PGM_RSRC2:TGID_Z_EN: 0
; COMPUTE_PGM_RSRC2:TIDIG_COMP_CNT: 0
	.section	.text._ZN9rocsparseL18bsrxmvn_3x3_kernelILj256ELj4EflifffEEvT3_20rocsparse_direction_NS_24const_host_device_scalarIT1_EES1_PKS1_PKT2_SA_S7_PKT4_PKT5_S5_PT6_21rocsparse_index_base_b,"axG",@progbits,_ZN9rocsparseL18bsrxmvn_3x3_kernelILj256ELj4EflifffEEvT3_20rocsparse_direction_NS_24const_host_device_scalarIT1_EES1_PKS1_PKT2_SA_S7_PKT4_PKT5_S5_PT6_21rocsparse_index_base_b,comdat
	.globl	_ZN9rocsparseL18bsrxmvn_3x3_kernelILj256ELj4EflifffEEvT3_20rocsparse_direction_NS_24const_host_device_scalarIT1_EES1_PKS1_PKT2_SA_S7_PKT4_PKT5_S5_PT6_21rocsparse_index_base_b ; -- Begin function _ZN9rocsparseL18bsrxmvn_3x3_kernelILj256ELj4EflifffEEvT3_20rocsparse_direction_NS_24const_host_device_scalarIT1_EES1_PKS1_PKT2_SA_S7_PKT4_PKT5_S5_PT6_21rocsparse_index_base_b
	.p2align	8
	.type	_ZN9rocsparseL18bsrxmvn_3x3_kernelILj256ELj4EflifffEEvT3_20rocsparse_direction_NS_24const_host_device_scalarIT1_EES1_PKS1_PKT2_SA_S7_PKT4_PKT5_S5_PT6_21rocsparse_index_base_b,@function
_ZN9rocsparseL18bsrxmvn_3x3_kernelILj256ELj4EflifffEEvT3_20rocsparse_direction_NS_24const_host_device_scalarIT1_EES1_PKS1_PKT2_SA_S7_PKT4_PKT5_S5_PT6_21rocsparse_index_base_b: ; @_ZN9rocsparseL18bsrxmvn_3x3_kernelILj256ELj4EflifffEEvT3_20rocsparse_direction_NS_24const_host_device_scalarIT1_EES1_PKS1_PKT2_SA_S7_PKT4_PKT5_S5_PT6_21rocsparse_index_base_b
; %bb.0:
	s_clause 0x2
	s_load_b64 s[16:17], s[0:1], 0x58
	s_load_b64 s[14:15], s[0:1], 0x8
	;; [unrolled: 1-line block ×3, first 2 shown]
	s_wait_kmcnt 0x0
	s_bitcmp1_b32 s17, 0
	s_cselect_b32 s2, -1, 0
	s_delay_alu instid0(SALU_CYCLE_1)
	s_and_b32 vcc_lo, exec_lo, s2
	s_xor_b32 s2, s2, -1
	s_cbranch_vccnz .LBB20_2
; %bb.1:
	s_load_b32 s14, s[14:15], 0x0
.LBB20_2:
	s_and_not1_b32 vcc_lo, exec_lo, s2
	s_cbranch_vccnz .LBB20_4
; %bb.3:
	s_load_b32 s12, s[12:13], 0x0
.LBB20_4:
	s_wait_kmcnt 0x0
	s_cmp_neq_f32 s14, 0
	s_mov_b32 s6, 0
	s_cselect_b32 s2, -1, 0
	s_cmp_neq_f32 s12, 1.0
	s_cselect_b32 s3, -1, 0
	s_delay_alu instid0(SALU_CYCLE_1) | instskip(NEXT) | instid1(SALU_CYCLE_1)
	s_or_b32 s2, s2, s3
	s_and_not1_b32 vcc_lo, exec_lo, s2
	s_cbranch_vccnz .LBB20_10
; %bb.5:
	s_clause 0x1
	s_load_b64 s[4:5], s[0:1], 0x18
	s_load_b64 s[2:3], s[0:1], 0x0
	v_lshrrev_b32_e32 v1, 2, v0
	s_delay_alu instid0(VALU_DEP_1)
	v_lshl_or_b32 v1, ttmp9, 6, v1
	s_wait_kmcnt 0x0
	s_cmp_lg_u64 s[4:5], 0
	s_cbranch_scc0 .LBB20_11
; %bb.6:
	s_load_b32 s6, s[0:1], 0x10
	s_mov_b32 s7, 0
                                        ; implicit-def: $vgpr2
	s_wait_kmcnt 0x0
	v_cmp_gt_i32_e32 vcc_lo, s6, v1
	s_mov_b32 s6, 0
	s_and_saveexec_b32 s8, vcc_lo
	s_delay_alu instid0(SALU_CYCLE_1)
	s_xor_b32 s8, exec_lo, s8
	s_cbranch_execz .LBB20_8
; %bb.7:
	v_ashrrev_i32_e32 v2, 31, v1
	s_mov_b32 s6, exec_lo
	s_delay_alu instid0(VALU_DEP_1) | instskip(NEXT) | instid1(VALU_DEP_1)
	v_lshlrev_b64_e32 v[2:3], 2, v[1:2]
	v_add_co_u32 v2, vcc_lo, s4, v2
	s_delay_alu instid0(VALU_DEP_1)
	v_add_co_ci_u32_e64 v3, null, s5, v3, vcc_lo
	global_load_b32 v2, v[2:3], off
	s_wait_loadcnt 0x0
	v_subrev_nc_u32_e32 v2, s16, v2
.LBB20_8:
	s_or_b32 exec_lo, exec_lo, s8
	s_delay_alu instid0(SALU_CYCLE_1)
	s_and_b32 vcc_lo, exec_lo, s7
	s_wait_alu 0xfffe
	s_cbranch_vccz .LBB20_12
.LBB20_9:
	v_cmp_gt_i32_e32 vcc_lo, s2, v1
	s_and_not1_b32 s2, s6, exec_lo
	s_and_b32 s4, vcc_lo, exec_lo
	s_wait_alu 0xfffe
	s_or_b32 s6, s2, s4
	s_wait_alu 0xfffe
	s_and_saveexec_b32 s2, s6
	s_cbranch_execnz .LBB20_13
.LBB20_10:
	s_endpgm
.LBB20_11:
                                        ; implicit-def: $vgpr2
	s_cbranch_execnz .LBB20_9
.LBB20_12:
	v_mov_b32_e32 v1, v2
	s_and_saveexec_b32 s2, s6
	s_cbranch_execz .LBB20_10
.LBB20_13:
	s_load_b256 s[4:11], s[0:1], 0x20
	s_delay_alu instid0(VALU_DEP_1) | instskip(SKIP_2) | instid1(VALU_DEP_3)
	v_ashrrev_i32_e32 v2, 31, v1
	v_and_b32_e32 v0, 3, v0
	v_mov_b32_e32 v14, 0
	v_lshlrev_b64_e32 v[2:3], 3, v[1:2]
	s_wait_kmcnt 0x0
	s_delay_alu instid0(VALU_DEP_1) | instskip(SKIP_1) | instid1(VALU_DEP_2)
	v_add_co_u32 v4, vcc_lo, s4, v2
	s_wait_alu 0xfffd
	v_add_co_ci_u32_e64 v5, null, s5, v3, vcc_lo
	v_add_co_u32 v2, vcc_lo, s6, v2
	s_wait_alu 0xfffd
	v_add_co_ci_u32_e64 v3, null, s7, v3, vcc_lo
	global_load_b64 v[6:7], v[4:5], off
	v_add_co_u32 v4, vcc_lo, v4, 8
	s_wait_alu 0xfffd
	v_add_co_ci_u32_e64 v5, null, 0, v5, vcc_lo
	s_cmp_eq_u64 s[6:7], 0
	s_load_b64 s[4:5], s[0:1], 0x40
	s_cselect_b32 vcc_lo, -1, 0
	s_cmp_eq_u32 s3, 1
	s_wait_alu 0xfffe
	v_dual_cndmask_b32 v3, v3, v5 :: v_dual_cndmask_b32 v2, v2, v4
	global_load_b64 v[8:9], v[2:3], off
	s_wait_loadcnt 0x1
	v_sub_co_u32 v2, vcc_lo, v6, s16
	s_wait_alu 0xfffd
	v_subrev_co_ci_u32_e64 v3, null, 0, v7, vcc_lo
	s_delay_alu instid0(VALU_DEP_2) | instskip(SKIP_1) | instid1(VALU_DEP_2)
	v_add_co_u32 v2, vcc_lo, v2, v0
	s_wait_alu 0xfffd
	v_add_co_ci_u32_e64 v3, null, 0, v3, vcc_lo
	s_delay_alu instid0(VALU_DEP_2) | instskip(NEXT) | instid1(VALU_DEP_1)
	v_mad_co_u64_u32 v[4:5], null, v2, 36, s[10:11]
	v_mad_co_u64_u32 v[5:6], null, v3, 36, v[5:6]
	s_wait_loadcnt 0x0
	v_sub_co_u32 v6, vcc_lo, v8, s16
	s_wait_alu 0xfffd
	v_subrev_co_ci_u32_e64 v7, null, 0, v9, vcc_lo
	s_delay_alu instid0(VALU_DEP_1)
	v_cmp_lt_i64_e64 s2, v[2:3], v[6:7]
	s_cbranch_scc1 .LBB20_19
; %bb.14:
	v_dual_mov_b32 v15, 0 :: v_dual_mov_b32 v16, 0
	s_and_saveexec_b32 s6, s2
	s_cbranch_execz .LBB20_18
; %bb.15:
	v_lshlrev_b64_e32 v[10:11], 2, v[2:3]
	v_dual_mov_b32 v14, 0 :: v_dual_mov_b32 v9, v5
	v_dual_mov_b32 v8, v4 :: v_dual_mov_b32 v13, v3
	;; [unrolled: 1-line block ×3, first 2 shown]
	s_delay_alu instid0(VALU_DEP_4)
	v_add_co_u32 v10, vcc_lo, s8, v10
	s_wait_alu 0xfffd
	v_add_co_ci_u32_e64 v11, null, s9, v11, vcc_lo
	v_mov_b32_e32 v16, 0
	s_mov_b32 s7, 0
.LBB20_16:                              ; =>This Inner Loop Header: Depth=1
	global_load_b32 v21, v[10:11], off
	global_load_b128 v[17:20], v[8:9], off offset:16
	s_wait_loadcnt 0x1
	v_subrev_nc_u32_e32 v21, s16, v21
	s_delay_alu instid0(VALU_DEP_1) | instskip(NEXT) | instid1(VALU_DEP_1)
	v_lshl_add_u32 v21, v21, 1, v21
	v_ashrrev_i32_e32 v22, 31, v21
	s_delay_alu instid0(VALU_DEP_1) | instskip(SKIP_1) | instid1(VALU_DEP_1)
	v_lshlrev_b64_e32 v[21:22], 2, v[21:22]
	s_wait_kmcnt 0x0
	v_add_co_u32 v25, vcc_lo, s4, v21
	s_wait_alu 0xfffd
	s_delay_alu instid0(VALU_DEP_2)
	v_add_co_ci_u32_e64 v26, null, s5, v22, vcc_lo
	global_load_b128 v[21:24], v[8:9], off
	global_load_b96 v[25:27], v[25:26], off
	global_load_b32 v28, v[8:9], off offset:32
	v_add_co_u32 v8, vcc_lo, 0x90, v8
	s_wait_alu 0xfffd
	v_add_co_ci_u32_e64 v9, null, 0, v9, vcc_lo
	v_add_co_u32 v12, vcc_lo, v12, 4
	s_wait_alu 0xfffd
	v_add_co_ci_u32_e64 v13, null, 0, v13, vcc_lo
	;; [unrolled: 3-line block ×3, first 2 shown]
	s_delay_alu instid0(VALU_DEP_3) | instskip(SKIP_4) | instid1(VALU_DEP_1)
	v_cmp_ge_i64_e64 s3, v[12:13], v[6:7]
	s_wait_alu 0xfffe
	s_or_b32 s7, s3, s7
	s_wait_loadcnt 0x1
	v_fmac_f32_e32 v15, v24, v25
	v_dual_fmac_f32 v14, v19, v25 :: v_dual_fmac_f32 v15, v17, v26
	v_fmac_f32_e32 v16, v21, v25
	s_delay_alu instid0(VALU_DEP_2) | instskip(NEXT) | instid1(VALU_DEP_2)
	v_dual_fmac_f32 v14, v20, v26 :: v_dual_fmac_f32 v15, v18, v27
	v_fmac_f32_e32 v16, v22, v26
	s_wait_loadcnt 0x0
	s_delay_alu instid0(VALU_DEP_2) | instskip(NEXT) | instid1(VALU_DEP_2)
	v_fmac_f32_e32 v14, v28, v27
	v_fmac_f32_e32 v16, v23, v27
	s_wait_alu 0xfffe
	s_and_not1_b32 exec_lo, exec_lo, s7
	s_cbranch_execnz .LBB20_16
; %bb.17:
	s_or_b32 exec_lo, exec_lo, s7
.LBB20_18:
	s_wait_alu 0xfffe
	s_or_b32 exec_lo, exec_lo, s6
	s_cbranch_execz .LBB20_20
	s_branch .LBB20_25
.LBB20_19:
                                        ; implicit-def: $vgpr14
                                        ; implicit-def: $vgpr15
                                        ; implicit-def: $vgpr16
.LBB20_20:
	v_dual_mov_b32 v14, 0 :: v_dual_mov_b32 v15, 0
	v_mov_b32_e32 v16, 0
	s_and_saveexec_b32 s3, s2
	s_cbranch_execz .LBB20_24
; %bb.21:
	v_lshlrev_b64_e32 v[8:9], 2, v[2:3]
	v_dual_mov_b32 v14, 0 :: v_dual_mov_b32 v15, 0
	v_mov_b32_e32 v16, 0
	s_mov_b32 s6, 0
	s_delay_alu instid0(VALU_DEP_3)
	v_add_co_u32 v8, vcc_lo, s8, v8
	s_wait_alu 0xfffd
	v_add_co_ci_u32_e64 v9, null, s9, v9, vcc_lo
.LBB20_22:                              ; =>This Inner Loop Header: Depth=1
	global_load_b32 v17, v[8:9], off
	global_load_b128 v[10:13], v[4:5], off offset:16
	s_wait_loadcnt 0x1
	v_subrev_nc_u32_e32 v17, s16, v17
	s_delay_alu instid0(VALU_DEP_1) | instskip(NEXT) | instid1(VALU_DEP_1)
	v_lshl_add_u32 v17, v17, 1, v17
	v_ashrrev_i32_e32 v18, 31, v17
	s_delay_alu instid0(VALU_DEP_1) | instskip(SKIP_1) | instid1(VALU_DEP_1)
	v_lshlrev_b64_e32 v[17:18], 2, v[17:18]
	s_wait_kmcnt 0x0
	v_add_co_u32 v21, vcc_lo, s4, v17
	s_wait_alu 0xfffd
	s_delay_alu instid0(VALU_DEP_2)
	v_add_co_ci_u32_e64 v22, null, s5, v18, vcc_lo
	global_load_b128 v[17:20], v[4:5], off
	global_load_b96 v[21:23], v[21:22], off
	global_load_b32 v24, v[4:5], off offset:32
	v_add_co_u32 v4, vcc_lo, 0x90, v4
	s_wait_alu 0xfffd
	v_add_co_ci_u32_e64 v5, null, 0, v5, vcc_lo
	v_add_co_u32 v2, vcc_lo, v2, 4
	s_wait_alu 0xfffd
	v_add_co_ci_u32_e64 v3, null, 0, v3, vcc_lo
	;; [unrolled: 3-line block ×3, first 2 shown]
	s_delay_alu instid0(VALU_DEP_3) | instskip(SKIP_4) | instid1(VALU_DEP_1)
	v_cmp_ge_i64_e64 s2, v[2:3], v[6:7]
	s_wait_alu 0xfffe
	s_or_b32 s6, s2, s6
	s_wait_loadcnt 0x1
	v_fmac_f32_e32 v15, v18, v21
	v_dual_fmac_f32 v16, v17, v21 :: v_dual_fmac_f32 v15, v10, v22
	v_fmac_f32_e32 v14, v19, v21
	s_delay_alu instid0(VALU_DEP_2) | instskip(NEXT) | instid1(VALU_DEP_2)
	v_dual_fmac_f32 v16, v20, v22 :: v_dual_fmac_f32 v15, v13, v23
	v_fmac_f32_e32 v14, v11, v22
	s_delay_alu instid0(VALU_DEP_2) | instskip(SKIP_1) | instid1(VALU_DEP_2)
	v_fmac_f32_e32 v16, v12, v23
	s_wait_loadcnt 0x0
	v_fmac_f32_e32 v14, v24, v23
	s_wait_alu 0xfffe
	s_and_not1_b32 exec_lo, exec_lo, s6
	s_cbranch_execnz .LBB20_22
; %bb.23:
	s_or_b32 exec_lo, exec_lo, s6
.LBB20_24:
	s_wait_alu 0xfffe
	s_or_b32 exec_lo, exec_lo, s3
.LBB20_25:
	v_mbcnt_lo_u32_b32 v2, -1, 0
	s_mov_b32 s2, -1
	s_delay_alu instid0(VALU_DEP_1) | instskip(NEXT) | instid1(VALU_DEP_1)
	v_xor_b32_e32 v3, 2, v2
	v_cmp_gt_i32_e32 vcc_lo, 32, v3
	s_wait_alu 0xfffd
	v_cndmask_b32_e32 v3, v2, v3, vcc_lo
	s_delay_alu instid0(VALU_DEP_1) | instskip(SKIP_4) | instid1(VALU_DEP_1)
	v_lshlrev_b32_e32 v3, 2, v3
	ds_bpermute_b32 v4, v3, v16
	ds_bpermute_b32 v5, v3, v15
	;; [unrolled: 1-line block ×3, first 2 shown]
	v_xor_b32_e32 v3, 1, v2
	v_cmp_gt_i32_e32 vcc_lo, 32, v3
	s_wait_alu 0xfffd
	v_cndmask_b32_e32 v2, v2, v3, vcc_lo
	v_cmp_eq_u32_e32 vcc_lo, 3, v0
	s_wait_dscnt 0x1
	v_add_f32_e32 v3, v15, v5
	s_delay_alu instid0(VALU_DEP_3)
	v_dual_add_f32 v2, v16, v4 :: v_dual_lshlrev_b32 v7, 2, v2
	s_wait_dscnt 0x0
	v_add_f32_e32 v4, v14, v6
	ds_bpermute_b32 v6, v7, v3
	ds_bpermute_b32 v5, v7, v2
	;; [unrolled: 1-line block ×3, first 2 shown]
	s_and_b32 exec_lo, exec_lo, vcc_lo
	s_cbranch_execz .LBB20_10
; %bb.26:
	s_load_b64 s[0:1], s[0:1], 0x50
	s_wait_dscnt 0x1
	v_add_f32_e32 v0, v2, v5
	v_add_f32_e32 v2, v3, v6
	s_wait_dscnt 0x0
	v_add_f32_e32 v4, v4, v7
	v_lshl_add_u32 v3, v1, 1, v1
	s_cmp_eq_f32 s12, 0
	v_dual_mul_f32 v1, s14, v2 :: v_dual_mul_f32 v0, s14, v0
	s_delay_alu instid0(VALU_DEP_3) | instskip(NEXT) | instid1(VALU_DEP_3)
	v_mul_f32_e32 v2, s14, v4
	v_ashrrev_i32_e32 v4, 31, v3
	s_cbranch_scc0 .LBB20_28
; %bb.27:
	s_delay_alu instid0(VALU_DEP_1) | instskip(SKIP_2) | instid1(VALU_DEP_1)
	v_lshlrev_b64_e32 v[5:6], 2, v[3:4]
	s_mov_b32 s2, 0
	s_wait_kmcnt 0x0
	v_add_co_u32 v5, vcc_lo, s0, v5
	s_wait_alu 0xfffd
	s_delay_alu instid0(VALU_DEP_2)
	v_add_co_ci_u32_e64 v6, null, s1, v6, vcc_lo
	global_store_b96 v[5:6], v[0:2], off
.LBB20_28:
	s_wait_alu 0xfffe
	s_and_not1_b32 vcc_lo, exec_lo, s2
	s_wait_alu 0xfffe
	s_cbranch_vccnz .LBB20_10
; %bb.29:
	v_lshlrev_b64_e32 v[3:4], 2, v[3:4]
	s_wait_kmcnt 0x0
	s_delay_alu instid0(VALU_DEP_1) | instskip(SKIP_1) | instid1(VALU_DEP_2)
	v_add_co_u32 v6, vcc_lo, s0, v3
	s_wait_alu 0xfffd
	v_add_co_ci_u32_e64 v7, null, s1, v4, vcc_lo
	global_load_b96 v[3:5], v[6:7], off
	s_wait_loadcnt 0x0
	v_dual_fmac_f32 v0, s12, v3 :: v_dual_fmac_f32 v1, s12, v4
	v_fmac_f32_e32 v2, s12, v5
	global_store_b96 v[6:7], v[0:2], off
	s_endpgm
	.section	.rodata,"a",@progbits
	.p2align	6, 0x0
	.amdhsa_kernel _ZN9rocsparseL18bsrxmvn_3x3_kernelILj256ELj4EflifffEEvT3_20rocsparse_direction_NS_24const_host_device_scalarIT1_EES1_PKS1_PKT2_SA_S7_PKT4_PKT5_S5_PT6_21rocsparse_index_base_b
		.amdhsa_group_segment_fixed_size 0
		.amdhsa_private_segment_fixed_size 0
		.amdhsa_kernarg_size 96
		.amdhsa_user_sgpr_count 2
		.amdhsa_user_sgpr_dispatch_ptr 0
		.amdhsa_user_sgpr_queue_ptr 0
		.amdhsa_user_sgpr_kernarg_segment_ptr 1
		.amdhsa_user_sgpr_dispatch_id 0
		.amdhsa_user_sgpr_private_segment_size 0
		.amdhsa_wavefront_size32 1
		.amdhsa_uses_dynamic_stack 0
		.amdhsa_enable_private_segment 0
		.amdhsa_system_sgpr_workgroup_id_x 1
		.amdhsa_system_sgpr_workgroup_id_y 0
		.amdhsa_system_sgpr_workgroup_id_z 0
		.amdhsa_system_sgpr_workgroup_info 0
		.amdhsa_system_vgpr_workitem_id 0
		.amdhsa_next_free_vgpr 29
		.amdhsa_next_free_sgpr 18
		.amdhsa_reserve_vcc 1
		.amdhsa_float_round_mode_32 0
		.amdhsa_float_round_mode_16_64 0
		.amdhsa_float_denorm_mode_32 3
		.amdhsa_float_denorm_mode_16_64 3
		.amdhsa_fp16_overflow 0
		.amdhsa_workgroup_processor_mode 1
		.amdhsa_memory_ordered 1
		.amdhsa_forward_progress 1
		.amdhsa_inst_pref_size 13
		.amdhsa_round_robin_scheduling 0
		.amdhsa_exception_fp_ieee_invalid_op 0
		.amdhsa_exception_fp_denorm_src 0
		.amdhsa_exception_fp_ieee_div_zero 0
		.amdhsa_exception_fp_ieee_overflow 0
		.amdhsa_exception_fp_ieee_underflow 0
		.amdhsa_exception_fp_ieee_inexact 0
		.amdhsa_exception_int_div_zero 0
	.end_amdhsa_kernel
	.section	.text._ZN9rocsparseL18bsrxmvn_3x3_kernelILj256ELj4EflifffEEvT3_20rocsparse_direction_NS_24const_host_device_scalarIT1_EES1_PKS1_PKT2_SA_S7_PKT4_PKT5_S5_PT6_21rocsparse_index_base_b,"axG",@progbits,_ZN9rocsparseL18bsrxmvn_3x3_kernelILj256ELj4EflifffEEvT3_20rocsparse_direction_NS_24const_host_device_scalarIT1_EES1_PKS1_PKT2_SA_S7_PKT4_PKT5_S5_PT6_21rocsparse_index_base_b,comdat
.Lfunc_end20:
	.size	_ZN9rocsparseL18bsrxmvn_3x3_kernelILj256ELj4EflifffEEvT3_20rocsparse_direction_NS_24const_host_device_scalarIT1_EES1_PKS1_PKT2_SA_S7_PKT4_PKT5_S5_PT6_21rocsparse_index_base_b, .Lfunc_end20-_ZN9rocsparseL18bsrxmvn_3x3_kernelILj256ELj4EflifffEEvT3_20rocsparse_direction_NS_24const_host_device_scalarIT1_EES1_PKS1_PKT2_SA_S7_PKT4_PKT5_S5_PT6_21rocsparse_index_base_b
                                        ; -- End function
	.set _ZN9rocsparseL18bsrxmvn_3x3_kernelILj256ELj4EflifffEEvT3_20rocsparse_direction_NS_24const_host_device_scalarIT1_EES1_PKS1_PKT2_SA_S7_PKT4_PKT5_S5_PT6_21rocsparse_index_base_b.num_vgpr, 29
	.set _ZN9rocsparseL18bsrxmvn_3x3_kernelILj256ELj4EflifffEEvT3_20rocsparse_direction_NS_24const_host_device_scalarIT1_EES1_PKS1_PKT2_SA_S7_PKT4_PKT5_S5_PT6_21rocsparse_index_base_b.num_agpr, 0
	.set _ZN9rocsparseL18bsrxmvn_3x3_kernelILj256ELj4EflifffEEvT3_20rocsparse_direction_NS_24const_host_device_scalarIT1_EES1_PKS1_PKT2_SA_S7_PKT4_PKT5_S5_PT6_21rocsparse_index_base_b.numbered_sgpr, 18
	.set _ZN9rocsparseL18bsrxmvn_3x3_kernelILj256ELj4EflifffEEvT3_20rocsparse_direction_NS_24const_host_device_scalarIT1_EES1_PKS1_PKT2_SA_S7_PKT4_PKT5_S5_PT6_21rocsparse_index_base_b.num_named_barrier, 0
	.set _ZN9rocsparseL18bsrxmvn_3x3_kernelILj256ELj4EflifffEEvT3_20rocsparse_direction_NS_24const_host_device_scalarIT1_EES1_PKS1_PKT2_SA_S7_PKT4_PKT5_S5_PT6_21rocsparse_index_base_b.private_seg_size, 0
	.set _ZN9rocsparseL18bsrxmvn_3x3_kernelILj256ELj4EflifffEEvT3_20rocsparse_direction_NS_24const_host_device_scalarIT1_EES1_PKS1_PKT2_SA_S7_PKT4_PKT5_S5_PT6_21rocsparse_index_base_b.uses_vcc, 1
	.set _ZN9rocsparseL18bsrxmvn_3x3_kernelILj256ELj4EflifffEEvT3_20rocsparse_direction_NS_24const_host_device_scalarIT1_EES1_PKS1_PKT2_SA_S7_PKT4_PKT5_S5_PT6_21rocsparse_index_base_b.uses_flat_scratch, 0
	.set _ZN9rocsparseL18bsrxmvn_3x3_kernelILj256ELj4EflifffEEvT3_20rocsparse_direction_NS_24const_host_device_scalarIT1_EES1_PKS1_PKT2_SA_S7_PKT4_PKT5_S5_PT6_21rocsparse_index_base_b.has_dyn_sized_stack, 0
	.set _ZN9rocsparseL18bsrxmvn_3x3_kernelILj256ELj4EflifffEEvT3_20rocsparse_direction_NS_24const_host_device_scalarIT1_EES1_PKS1_PKT2_SA_S7_PKT4_PKT5_S5_PT6_21rocsparse_index_base_b.has_recursion, 0
	.set _ZN9rocsparseL18bsrxmvn_3x3_kernelILj256ELj4EflifffEEvT3_20rocsparse_direction_NS_24const_host_device_scalarIT1_EES1_PKS1_PKT2_SA_S7_PKT4_PKT5_S5_PT6_21rocsparse_index_base_b.has_indirect_call, 0
	.section	.AMDGPU.csdata,"",@progbits
; Kernel info:
; codeLenInByte = 1656
; TotalNumSgprs: 20
; NumVgprs: 29
; ScratchSize: 0
; MemoryBound: 0
; FloatMode: 240
; IeeeMode: 1
; LDSByteSize: 0 bytes/workgroup (compile time only)
; SGPRBlocks: 0
; VGPRBlocks: 3
; NumSGPRsForWavesPerEU: 20
; NumVGPRsForWavesPerEU: 29
; Occupancy: 16
; WaveLimiterHint : 1
; COMPUTE_PGM_RSRC2:SCRATCH_EN: 0
; COMPUTE_PGM_RSRC2:USER_SGPR: 2
; COMPUTE_PGM_RSRC2:TRAP_HANDLER: 0
; COMPUTE_PGM_RSRC2:TGID_X_EN: 1
; COMPUTE_PGM_RSRC2:TGID_Y_EN: 0
; COMPUTE_PGM_RSRC2:TGID_Z_EN: 0
; COMPUTE_PGM_RSRC2:TIDIG_COMP_CNT: 0
	.section	.text._ZN9rocsparseL18bsrxmvn_3x3_kernelILj256ELj8EflifffEEvT3_20rocsparse_direction_NS_24const_host_device_scalarIT1_EES1_PKS1_PKT2_SA_S7_PKT4_PKT5_S5_PT6_21rocsparse_index_base_b,"axG",@progbits,_ZN9rocsparseL18bsrxmvn_3x3_kernelILj256ELj8EflifffEEvT3_20rocsparse_direction_NS_24const_host_device_scalarIT1_EES1_PKS1_PKT2_SA_S7_PKT4_PKT5_S5_PT6_21rocsparse_index_base_b,comdat
	.globl	_ZN9rocsparseL18bsrxmvn_3x3_kernelILj256ELj8EflifffEEvT3_20rocsparse_direction_NS_24const_host_device_scalarIT1_EES1_PKS1_PKT2_SA_S7_PKT4_PKT5_S5_PT6_21rocsparse_index_base_b ; -- Begin function _ZN9rocsparseL18bsrxmvn_3x3_kernelILj256ELj8EflifffEEvT3_20rocsparse_direction_NS_24const_host_device_scalarIT1_EES1_PKS1_PKT2_SA_S7_PKT4_PKT5_S5_PT6_21rocsparse_index_base_b
	.p2align	8
	.type	_ZN9rocsparseL18bsrxmvn_3x3_kernelILj256ELj8EflifffEEvT3_20rocsparse_direction_NS_24const_host_device_scalarIT1_EES1_PKS1_PKT2_SA_S7_PKT4_PKT5_S5_PT6_21rocsparse_index_base_b,@function
_ZN9rocsparseL18bsrxmvn_3x3_kernelILj256ELj8EflifffEEvT3_20rocsparse_direction_NS_24const_host_device_scalarIT1_EES1_PKS1_PKT2_SA_S7_PKT4_PKT5_S5_PT6_21rocsparse_index_base_b: ; @_ZN9rocsparseL18bsrxmvn_3x3_kernelILj256ELj8EflifffEEvT3_20rocsparse_direction_NS_24const_host_device_scalarIT1_EES1_PKS1_PKT2_SA_S7_PKT4_PKT5_S5_PT6_21rocsparse_index_base_b
; %bb.0:
	s_clause 0x2
	s_load_b64 s[16:17], s[0:1], 0x58
	s_load_b64 s[14:15], s[0:1], 0x8
	s_load_b64 s[12:13], s[0:1], 0x48
	s_wait_kmcnt 0x0
	s_bitcmp1_b32 s17, 0
	s_cselect_b32 s2, -1, 0
	s_delay_alu instid0(SALU_CYCLE_1)
	s_and_b32 vcc_lo, exec_lo, s2
	s_xor_b32 s2, s2, -1
	s_cbranch_vccnz .LBB21_2
; %bb.1:
	s_load_b32 s14, s[14:15], 0x0
.LBB21_2:
	s_and_not1_b32 vcc_lo, exec_lo, s2
	s_cbranch_vccnz .LBB21_4
; %bb.3:
	s_load_b32 s12, s[12:13], 0x0
.LBB21_4:
	s_wait_kmcnt 0x0
	s_cmp_neq_f32 s14, 0
	s_mov_b32 s6, 0
	s_cselect_b32 s2, -1, 0
	s_cmp_neq_f32 s12, 1.0
	s_cselect_b32 s3, -1, 0
	s_delay_alu instid0(SALU_CYCLE_1) | instskip(NEXT) | instid1(SALU_CYCLE_1)
	s_or_b32 s2, s2, s3
	s_and_not1_b32 vcc_lo, exec_lo, s2
	s_cbranch_vccnz .LBB21_10
; %bb.5:
	s_clause 0x1
	s_load_b64 s[4:5], s[0:1], 0x18
	s_load_b64 s[2:3], s[0:1], 0x0
	v_lshrrev_b32_e32 v1, 3, v0
	s_delay_alu instid0(VALU_DEP_1)
	v_lshl_or_b32 v1, ttmp9, 5, v1
	s_wait_kmcnt 0x0
	s_cmp_lg_u64 s[4:5], 0
	s_cbranch_scc0 .LBB21_11
; %bb.6:
	s_load_b32 s6, s[0:1], 0x10
	s_mov_b32 s7, 0
                                        ; implicit-def: $vgpr2
	s_wait_kmcnt 0x0
	v_cmp_gt_i32_e32 vcc_lo, s6, v1
	s_mov_b32 s6, 0
	s_and_saveexec_b32 s8, vcc_lo
	s_delay_alu instid0(SALU_CYCLE_1)
	s_xor_b32 s8, exec_lo, s8
	s_cbranch_execz .LBB21_8
; %bb.7:
	v_ashrrev_i32_e32 v2, 31, v1
	s_mov_b32 s6, exec_lo
	s_delay_alu instid0(VALU_DEP_1) | instskip(NEXT) | instid1(VALU_DEP_1)
	v_lshlrev_b64_e32 v[2:3], 2, v[1:2]
	v_add_co_u32 v2, vcc_lo, s4, v2
	s_delay_alu instid0(VALU_DEP_1)
	v_add_co_ci_u32_e64 v3, null, s5, v3, vcc_lo
	global_load_b32 v2, v[2:3], off
	s_wait_loadcnt 0x0
	v_subrev_nc_u32_e32 v2, s16, v2
.LBB21_8:
	s_or_b32 exec_lo, exec_lo, s8
	s_delay_alu instid0(SALU_CYCLE_1)
	s_and_b32 vcc_lo, exec_lo, s7
	s_wait_alu 0xfffe
	s_cbranch_vccz .LBB21_12
.LBB21_9:
	v_cmp_gt_i32_e32 vcc_lo, s2, v1
	s_and_not1_b32 s2, s6, exec_lo
	s_and_b32 s4, vcc_lo, exec_lo
	s_wait_alu 0xfffe
	s_or_b32 s6, s2, s4
	s_wait_alu 0xfffe
	s_and_saveexec_b32 s2, s6
	s_cbranch_execnz .LBB21_13
.LBB21_10:
	s_endpgm
.LBB21_11:
                                        ; implicit-def: $vgpr2
	s_cbranch_execnz .LBB21_9
.LBB21_12:
	v_mov_b32_e32 v1, v2
	s_and_saveexec_b32 s2, s6
	s_cbranch_execz .LBB21_10
.LBB21_13:
	s_load_b256 s[4:11], s[0:1], 0x20
	s_delay_alu instid0(VALU_DEP_1) | instskip(SKIP_2) | instid1(VALU_DEP_3)
	v_ashrrev_i32_e32 v2, 31, v1
	v_and_b32_e32 v0, 7, v0
	v_mov_b32_e32 v14, 0
	v_lshlrev_b64_e32 v[2:3], 3, v[1:2]
	s_wait_kmcnt 0x0
	s_delay_alu instid0(VALU_DEP_1) | instskip(SKIP_1) | instid1(VALU_DEP_2)
	v_add_co_u32 v4, vcc_lo, s4, v2
	s_wait_alu 0xfffd
	v_add_co_ci_u32_e64 v5, null, s5, v3, vcc_lo
	v_add_co_u32 v2, vcc_lo, s6, v2
	s_wait_alu 0xfffd
	v_add_co_ci_u32_e64 v3, null, s7, v3, vcc_lo
	global_load_b64 v[6:7], v[4:5], off
	v_add_co_u32 v4, vcc_lo, v4, 8
	s_wait_alu 0xfffd
	v_add_co_ci_u32_e64 v5, null, 0, v5, vcc_lo
	s_cmp_eq_u64 s[6:7], 0
	s_load_b64 s[4:5], s[0:1], 0x40
	s_cselect_b32 vcc_lo, -1, 0
	s_cmp_eq_u32 s3, 1
	s_wait_alu 0xfffe
	v_dual_cndmask_b32 v3, v3, v5 :: v_dual_cndmask_b32 v2, v2, v4
	global_load_b64 v[8:9], v[2:3], off
	s_wait_loadcnt 0x1
	v_sub_co_u32 v2, vcc_lo, v6, s16
	s_wait_alu 0xfffd
	v_subrev_co_ci_u32_e64 v3, null, 0, v7, vcc_lo
	s_delay_alu instid0(VALU_DEP_2) | instskip(SKIP_1) | instid1(VALU_DEP_2)
	v_add_co_u32 v2, vcc_lo, v2, v0
	s_wait_alu 0xfffd
	v_add_co_ci_u32_e64 v3, null, 0, v3, vcc_lo
	s_delay_alu instid0(VALU_DEP_2) | instskip(NEXT) | instid1(VALU_DEP_1)
	v_mad_co_u64_u32 v[4:5], null, v2, 36, s[10:11]
	v_mad_co_u64_u32 v[5:6], null, v3, 36, v[5:6]
	s_wait_loadcnt 0x0
	v_sub_co_u32 v6, vcc_lo, v8, s16
	s_wait_alu 0xfffd
	v_subrev_co_ci_u32_e64 v7, null, 0, v9, vcc_lo
	s_delay_alu instid0(VALU_DEP_1)
	v_cmp_lt_i64_e64 s2, v[2:3], v[6:7]
	s_cbranch_scc1 .LBB21_19
; %bb.14:
	v_dual_mov_b32 v15, 0 :: v_dual_mov_b32 v16, 0
	s_and_saveexec_b32 s6, s2
	s_cbranch_execz .LBB21_18
; %bb.15:
	v_lshlrev_b64_e32 v[10:11], 2, v[2:3]
	v_dual_mov_b32 v14, 0 :: v_dual_mov_b32 v9, v5
	v_dual_mov_b32 v8, v4 :: v_dual_mov_b32 v13, v3
	;; [unrolled: 1-line block ×3, first 2 shown]
	s_delay_alu instid0(VALU_DEP_4)
	v_add_co_u32 v10, vcc_lo, s8, v10
	s_wait_alu 0xfffd
	v_add_co_ci_u32_e64 v11, null, s9, v11, vcc_lo
	v_mov_b32_e32 v16, 0
	s_mov_b32 s7, 0
.LBB21_16:                              ; =>This Inner Loop Header: Depth=1
	global_load_b32 v21, v[10:11], off
	global_load_b128 v[17:20], v[8:9], off offset:16
	s_wait_loadcnt 0x1
	v_subrev_nc_u32_e32 v21, s16, v21
	s_delay_alu instid0(VALU_DEP_1) | instskip(NEXT) | instid1(VALU_DEP_1)
	v_lshl_add_u32 v21, v21, 1, v21
	v_ashrrev_i32_e32 v22, 31, v21
	s_delay_alu instid0(VALU_DEP_1) | instskip(SKIP_1) | instid1(VALU_DEP_1)
	v_lshlrev_b64_e32 v[21:22], 2, v[21:22]
	s_wait_kmcnt 0x0
	v_add_co_u32 v25, vcc_lo, s4, v21
	s_wait_alu 0xfffd
	s_delay_alu instid0(VALU_DEP_2)
	v_add_co_ci_u32_e64 v26, null, s5, v22, vcc_lo
	global_load_b128 v[21:24], v[8:9], off
	global_load_b96 v[25:27], v[25:26], off
	global_load_b32 v28, v[8:9], off offset:32
	v_add_co_u32 v8, vcc_lo, 0x120, v8
	s_wait_alu 0xfffd
	v_add_co_ci_u32_e64 v9, null, 0, v9, vcc_lo
	v_add_co_u32 v12, vcc_lo, v12, 8
	s_wait_alu 0xfffd
	v_add_co_ci_u32_e64 v13, null, 0, v13, vcc_lo
	;; [unrolled: 3-line block ×3, first 2 shown]
	s_delay_alu instid0(VALU_DEP_3) | instskip(SKIP_4) | instid1(VALU_DEP_1)
	v_cmp_ge_i64_e64 s3, v[12:13], v[6:7]
	s_wait_alu 0xfffe
	s_or_b32 s7, s3, s7
	s_wait_loadcnt 0x1
	v_fmac_f32_e32 v15, v24, v25
	v_dual_fmac_f32 v14, v19, v25 :: v_dual_fmac_f32 v15, v17, v26
	v_fmac_f32_e32 v16, v21, v25
	s_delay_alu instid0(VALU_DEP_2) | instskip(NEXT) | instid1(VALU_DEP_2)
	v_dual_fmac_f32 v14, v20, v26 :: v_dual_fmac_f32 v15, v18, v27
	v_fmac_f32_e32 v16, v22, v26
	s_wait_loadcnt 0x0
	s_delay_alu instid0(VALU_DEP_2) | instskip(NEXT) | instid1(VALU_DEP_2)
	v_fmac_f32_e32 v14, v28, v27
	v_fmac_f32_e32 v16, v23, v27
	s_wait_alu 0xfffe
	s_and_not1_b32 exec_lo, exec_lo, s7
	s_cbranch_execnz .LBB21_16
; %bb.17:
	s_or_b32 exec_lo, exec_lo, s7
.LBB21_18:
	s_wait_alu 0xfffe
	s_or_b32 exec_lo, exec_lo, s6
	s_cbranch_execz .LBB21_20
	s_branch .LBB21_25
.LBB21_19:
                                        ; implicit-def: $vgpr14
                                        ; implicit-def: $vgpr15
                                        ; implicit-def: $vgpr16
.LBB21_20:
	v_dual_mov_b32 v14, 0 :: v_dual_mov_b32 v15, 0
	v_mov_b32_e32 v16, 0
	s_and_saveexec_b32 s3, s2
	s_cbranch_execz .LBB21_24
; %bb.21:
	v_lshlrev_b64_e32 v[8:9], 2, v[2:3]
	v_dual_mov_b32 v14, 0 :: v_dual_mov_b32 v15, 0
	v_mov_b32_e32 v16, 0
	s_mov_b32 s6, 0
	s_delay_alu instid0(VALU_DEP_3)
	v_add_co_u32 v8, vcc_lo, s8, v8
	s_wait_alu 0xfffd
	v_add_co_ci_u32_e64 v9, null, s9, v9, vcc_lo
.LBB21_22:                              ; =>This Inner Loop Header: Depth=1
	global_load_b32 v17, v[8:9], off
	global_load_b128 v[10:13], v[4:5], off offset:16
	s_wait_loadcnt 0x1
	v_subrev_nc_u32_e32 v17, s16, v17
	s_delay_alu instid0(VALU_DEP_1) | instskip(NEXT) | instid1(VALU_DEP_1)
	v_lshl_add_u32 v17, v17, 1, v17
	v_ashrrev_i32_e32 v18, 31, v17
	s_delay_alu instid0(VALU_DEP_1) | instskip(SKIP_1) | instid1(VALU_DEP_1)
	v_lshlrev_b64_e32 v[17:18], 2, v[17:18]
	s_wait_kmcnt 0x0
	v_add_co_u32 v21, vcc_lo, s4, v17
	s_wait_alu 0xfffd
	s_delay_alu instid0(VALU_DEP_2)
	v_add_co_ci_u32_e64 v22, null, s5, v18, vcc_lo
	global_load_b128 v[17:20], v[4:5], off
	global_load_b96 v[21:23], v[21:22], off
	global_load_b32 v24, v[4:5], off offset:32
	v_add_co_u32 v4, vcc_lo, 0x120, v4
	s_wait_alu 0xfffd
	v_add_co_ci_u32_e64 v5, null, 0, v5, vcc_lo
	v_add_co_u32 v2, vcc_lo, v2, 8
	s_wait_alu 0xfffd
	v_add_co_ci_u32_e64 v3, null, 0, v3, vcc_lo
	;; [unrolled: 3-line block ×3, first 2 shown]
	s_delay_alu instid0(VALU_DEP_3) | instskip(SKIP_4) | instid1(VALU_DEP_1)
	v_cmp_ge_i64_e64 s2, v[2:3], v[6:7]
	s_wait_alu 0xfffe
	s_or_b32 s6, s2, s6
	s_wait_loadcnt 0x1
	v_fmac_f32_e32 v15, v18, v21
	v_dual_fmac_f32 v16, v17, v21 :: v_dual_fmac_f32 v15, v10, v22
	v_fmac_f32_e32 v14, v19, v21
	s_delay_alu instid0(VALU_DEP_2) | instskip(NEXT) | instid1(VALU_DEP_2)
	v_dual_fmac_f32 v16, v20, v22 :: v_dual_fmac_f32 v15, v13, v23
	v_fmac_f32_e32 v14, v11, v22
	s_delay_alu instid0(VALU_DEP_2) | instskip(SKIP_1) | instid1(VALU_DEP_2)
	v_fmac_f32_e32 v16, v12, v23
	s_wait_loadcnt 0x0
	v_fmac_f32_e32 v14, v24, v23
	s_wait_alu 0xfffe
	s_and_not1_b32 exec_lo, exec_lo, s6
	s_cbranch_execnz .LBB21_22
; %bb.23:
	s_or_b32 exec_lo, exec_lo, s6
.LBB21_24:
	s_wait_alu 0xfffe
	s_or_b32 exec_lo, exec_lo, s3
.LBB21_25:
	v_mbcnt_lo_u32_b32 v2, -1, 0
	s_mov_b32 s2, -1
	s_delay_alu instid0(VALU_DEP_1) | instskip(SKIP_2) | instid1(VALU_DEP_3)
	v_xor_b32_e32 v3, 4, v2
	v_xor_b32_e32 v6, 2, v2
	;; [unrolled: 1-line block ×3, first 2 shown]
	v_cmp_gt_i32_e32 vcc_lo, 32, v3
	s_wait_alu 0xfffd
	v_cndmask_b32_e32 v3, v2, v3, vcc_lo
	v_cmp_gt_i32_e32 vcc_lo, 32, v6
	s_wait_alu 0xfffd
	v_cndmask_b32_e32 v6, v2, v6, vcc_lo
	v_cmp_gt_i32_e32 vcc_lo, 32, v9
	s_delay_alu instid0(VALU_DEP_2)
	v_lshlrev_b32_e32 v6, 2, v6
	v_lshlrev_b32_e32 v3, 2, v3
	ds_bpermute_b32 v4, v3, v16
	s_wait_dscnt 0x0
	v_add_f32_e32 v4, v16, v4
	ds_bpermute_b32 v5, v3, v15
	ds_bpermute_b32 v3, v3, v14
	s_wait_dscnt 0x1
	v_add_f32_e32 v5, v15, v5
	s_wait_dscnt 0x0
	v_add_f32_e32 v7, v14, v3
	ds_bpermute_b32 v3, v6, v4
	ds_bpermute_b32 v8, v6, v5
	ds_bpermute_b32 v6, v6, v7
	s_wait_alu 0xfffd
	v_cndmask_b32_e32 v2, v2, v9, vcc_lo
	v_cmp_eq_u32_e32 vcc_lo, 7, v0
	s_wait_dscnt 0x2
	s_delay_alu instid0(VALU_DEP_2)
	v_dual_add_f32 v2, v4, v3 :: v_dual_lshlrev_b32 v9, 2, v2
	s_wait_dscnt 0x0
	v_dual_add_f32 v3, v5, v8 :: v_dual_add_f32 v4, v7, v6
	ds_bpermute_b32 v5, v9, v2
	ds_bpermute_b32 v6, v9, v3
	;; [unrolled: 1-line block ×3, first 2 shown]
	s_and_b32 exec_lo, exec_lo, vcc_lo
	s_cbranch_execz .LBB21_10
; %bb.26:
	s_load_b64 s[0:1], s[0:1], 0x50
	s_wait_dscnt 0x2
	v_add_f32_e32 v0, v2, v5
	s_wait_dscnt 0x1
	v_add_f32_e32 v2, v3, v6
	;; [unrolled: 2-line block ×3, first 2 shown]
	v_lshl_add_u32 v3, v1, 1, v1
	s_cmp_eq_f32 s12, 0
	v_dual_mul_f32 v1, s14, v2 :: v_dual_mul_f32 v0, s14, v0
	s_delay_alu instid0(VALU_DEP_3) | instskip(NEXT) | instid1(VALU_DEP_3)
	v_mul_f32_e32 v2, s14, v4
	v_ashrrev_i32_e32 v4, 31, v3
	s_cbranch_scc0 .LBB21_28
; %bb.27:
	s_delay_alu instid0(VALU_DEP_1) | instskip(SKIP_2) | instid1(VALU_DEP_1)
	v_lshlrev_b64_e32 v[5:6], 2, v[3:4]
	s_mov_b32 s2, 0
	s_wait_kmcnt 0x0
	v_add_co_u32 v5, vcc_lo, s0, v5
	s_wait_alu 0xfffd
	s_delay_alu instid0(VALU_DEP_2)
	v_add_co_ci_u32_e64 v6, null, s1, v6, vcc_lo
	global_store_b96 v[5:6], v[0:2], off
.LBB21_28:
	s_wait_alu 0xfffe
	s_and_not1_b32 vcc_lo, exec_lo, s2
	s_wait_alu 0xfffe
	s_cbranch_vccnz .LBB21_10
; %bb.29:
	v_lshlrev_b64_e32 v[3:4], 2, v[3:4]
	s_wait_kmcnt 0x0
	s_delay_alu instid0(VALU_DEP_1) | instskip(SKIP_1) | instid1(VALU_DEP_2)
	v_add_co_u32 v6, vcc_lo, s0, v3
	s_wait_alu 0xfffd
	v_add_co_ci_u32_e64 v7, null, s1, v4, vcc_lo
	global_load_b96 v[3:5], v[6:7], off
	s_wait_loadcnt 0x0
	v_dual_fmac_f32 v0, s12, v3 :: v_dual_fmac_f32 v1, s12, v4
	v_fmac_f32_e32 v2, s12, v5
	global_store_b96 v[6:7], v[0:2], off
	s_endpgm
	.section	.rodata,"a",@progbits
	.p2align	6, 0x0
	.amdhsa_kernel _ZN9rocsparseL18bsrxmvn_3x3_kernelILj256ELj8EflifffEEvT3_20rocsparse_direction_NS_24const_host_device_scalarIT1_EES1_PKS1_PKT2_SA_S7_PKT4_PKT5_S5_PT6_21rocsparse_index_base_b
		.amdhsa_group_segment_fixed_size 0
		.amdhsa_private_segment_fixed_size 0
		.amdhsa_kernarg_size 96
		.amdhsa_user_sgpr_count 2
		.amdhsa_user_sgpr_dispatch_ptr 0
		.amdhsa_user_sgpr_queue_ptr 0
		.amdhsa_user_sgpr_kernarg_segment_ptr 1
		.amdhsa_user_sgpr_dispatch_id 0
		.amdhsa_user_sgpr_private_segment_size 0
		.amdhsa_wavefront_size32 1
		.amdhsa_uses_dynamic_stack 0
		.amdhsa_enable_private_segment 0
		.amdhsa_system_sgpr_workgroup_id_x 1
		.amdhsa_system_sgpr_workgroup_id_y 0
		.amdhsa_system_sgpr_workgroup_id_z 0
		.amdhsa_system_sgpr_workgroup_info 0
		.amdhsa_system_vgpr_workitem_id 0
		.amdhsa_next_free_vgpr 29
		.amdhsa_next_free_sgpr 18
		.amdhsa_reserve_vcc 1
		.amdhsa_float_round_mode_32 0
		.amdhsa_float_round_mode_16_64 0
		.amdhsa_float_denorm_mode_32 3
		.amdhsa_float_denorm_mode_16_64 3
		.amdhsa_fp16_overflow 0
		.amdhsa_workgroup_processor_mode 1
		.amdhsa_memory_ordered 1
		.amdhsa_forward_progress 1
		.amdhsa_inst_pref_size 14
		.amdhsa_round_robin_scheduling 0
		.amdhsa_exception_fp_ieee_invalid_op 0
		.amdhsa_exception_fp_denorm_src 0
		.amdhsa_exception_fp_ieee_div_zero 0
		.amdhsa_exception_fp_ieee_overflow 0
		.amdhsa_exception_fp_ieee_underflow 0
		.amdhsa_exception_fp_ieee_inexact 0
		.amdhsa_exception_int_div_zero 0
	.end_amdhsa_kernel
	.section	.text._ZN9rocsparseL18bsrxmvn_3x3_kernelILj256ELj8EflifffEEvT3_20rocsparse_direction_NS_24const_host_device_scalarIT1_EES1_PKS1_PKT2_SA_S7_PKT4_PKT5_S5_PT6_21rocsparse_index_base_b,"axG",@progbits,_ZN9rocsparseL18bsrxmvn_3x3_kernelILj256ELj8EflifffEEvT3_20rocsparse_direction_NS_24const_host_device_scalarIT1_EES1_PKS1_PKT2_SA_S7_PKT4_PKT5_S5_PT6_21rocsparse_index_base_b,comdat
.Lfunc_end21:
	.size	_ZN9rocsparseL18bsrxmvn_3x3_kernelILj256ELj8EflifffEEvT3_20rocsparse_direction_NS_24const_host_device_scalarIT1_EES1_PKS1_PKT2_SA_S7_PKT4_PKT5_S5_PT6_21rocsparse_index_base_b, .Lfunc_end21-_ZN9rocsparseL18bsrxmvn_3x3_kernelILj256ELj8EflifffEEvT3_20rocsparse_direction_NS_24const_host_device_scalarIT1_EES1_PKS1_PKT2_SA_S7_PKT4_PKT5_S5_PT6_21rocsparse_index_base_b
                                        ; -- End function
	.set _ZN9rocsparseL18bsrxmvn_3x3_kernelILj256ELj8EflifffEEvT3_20rocsparse_direction_NS_24const_host_device_scalarIT1_EES1_PKS1_PKT2_SA_S7_PKT4_PKT5_S5_PT6_21rocsparse_index_base_b.num_vgpr, 29
	.set _ZN9rocsparseL18bsrxmvn_3x3_kernelILj256ELj8EflifffEEvT3_20rocsparse_direction_NS_24const_host_device_scalarIT1_EES1_PKS1_PKT2_SA_S7_PKT4_PKT5_S5_PT6_21rocsparse_index_base_b.num_agpr, 0
	.set _ZN9rocsparseL18bsrxmvn_3x3_kernelILj256ELj8EflifffEEvT3_20rocsparse_direction_NS_24const_host_device_scalarIT1_EES1_PKS1_PKT2_SA_S7_PKT4_PKT5_S5_PT6_21rocsparse_index_base_b.numbered_sgpr, 18
	.set _ZN9rocsparseL18bsrxmvn_3x3_kernelILj256ELj8EflifffEEvT3_20rocsparse_direction_NS_24const_host_device_scalarIT1_EES1_PKS1_PKT2_SA_S7_PKT4_PKT5_S5_PT6_21rocsparse_index_base_b.num_named_barrier, 0
	.set _ZN9rocsparseL18bsrxmvn_3x3_kernelILj256ELj8EflifffEEvT3_20rocsparse_direction_NS_24const_host_device_scalarIT1_EES1_PKS1_PKT2_SA_S7_PKT4_PKT5_S5_PT6_21rocsparse_index_base_b.private_seg_size, 0
	.set _ZN9rocsparseL18bsrxmvn_3x3_kernelILj256ELj8EflifffEEvT3_20rocsparse_direction_NS_24const_host_device_scalarIT1_EES1_PKS1_PKT2_SA_S7_PKT4_PKT5_S5_PT6_21rocsparse_index_base_b.uses_vcc, 1
	.set _ZN9rocsparseL18bsrxmvn_3x3_kernelILj256ELj8EflifffEEvT3_20rocsparse_direction_NS_24const_host_device_scalarIT1_EES1_PKS1_PKT2_SA_S7_PKT4_PKT5_S5_PT6_21rocsparse_index_base_b.uses_flat_scratch, 0
	.set _ZN9rocsparseL18bsrxmvn_3x3_kernelILj256ELj8EflifffEEvT3_20rocsparse_direction_NS_24const_host_device_scalarIT1_EES1_PKS1_PKT2_SA_S7_PKT4_PKT5_S5_PT6_21rocsparse_index_base_b.has_dyn_sized_stack, 0
	.set _ZN9rocsparseL18bsrxmvn_3x3_kernelILj256ELj8EflifffEEvT3_20rocsparse_direction_NS_24const_host_device_scalarIT1_EES1_PKS1_PKT2_SA_S7_PKT4_PKT5_S5_PT6_21rocsparse_index_base_b.has_recursion, 0
	.set _ZN9rocsparseL18bsrxmvn_3x3_kernelILj256ELj8EflifffEEvT3_20rocsparse_direction_NS_24const_host_device_scalarIT1_EES1_PKS1_PKT2_SA_S7_PKT4_PKT5_S5_PT6_21rocsparse_index_base_b.has_indirect_call, 0
	.section	.AMDGPU.csdata,"",@progbits
; Kernel info:
; codeLenInByte = 1728
; TotalNumSgprs: 20
; NumVgprs: 29
; ScratchSize: 0
; MemoryBound: 0
; FloatMode: 240
; IeeeMode: 1
; LDSByteSize: 0 bytes/workgroup (compile time only)
; SGPRBlocks: 0
; VGPRBlocks: 3
; NumSGPRsForWavesPerEU: 20
; NumVGPRsForWavesPerEU: 29
; Occupancy: 16
; WaveLimiterHint : 1
; COMPUTE_PGM_RSRC2:SCRATCH_EN: 0
; COMPUTE_PGM_RSRC2:USER_SGPR: 2
; COMPUTE_PGM_RSRC2:TRAP_HANDLER: 0
; COMPUTE_PGM_RSRC2:TGID_X_EN: 1
; COMPUTE_PGM_RSRC2:TGID_Y_EN: 0
; COMPUTE_PGM_RSRC2:TGID_Z_EN: 0
; COMPUTE_PGM_RSRC2:TIDIG_COMP_CNT: 0
	.section	.text._ZN9rocsparseL18bsrxmvn_3x3_kernelILj256ELj16EflifffEEvT3_20rocsparse_direction_NS_24const_host_device_scalarIT1_EES1_PKS1_PKT2_SA_S7_PKT4_PKT5_S5_PT6_21rocsparse_index_base_b,"axG",@progbits,_ZN9rocsparseL18bsrxmvn_3x3_kernelILj256ELj16EflifffEEvT3_20rocsparse_direction_NS_24const_host_device_scalarIT1_EES1_PKS1_PKT2_SA_S7_PKT4_PKT5_S5_PT6_21rocsparse_index_base_b,comdat
	.globl	_ZN9rocsparseL18bsrxmvn_3x3_kernelILj256ELj16EflifffEEvT3_20rocsparse_direction_NS_24const_host_device_scalarIT1_EES1_PKS1_PKT2_SA_S7_PKT4_PKT5_S5_PT6_21rocsparse_index_base_b ; -- Begin function _ZN9rocsparseL18bsrxmvn_3x3_kernelILj256ELj16EflifffEEvT3_20rocsparse_direction_NS_24const_host_device_scalarIT1_EES1_PKS1_PKT2_SA_S7_PKT4_PKT5_S5_PT6_21rocsparse_index_base_b
	.p2align	8
	.type	_ZN9rocsparseL18bsrxmvn_3x3_kernelILj256ELj16EflifffEEvT3_20rocsparse_direction_NS_24const_host_device_scalarIT1_EES1_PKS1_PKT2_SA_S7_PKT4_PKT5_S5_PT6_21rocsparse_index_base_b,@function
_ZN9rocsparseL18bsrxmvn_3x3_kernelILj256ELj16EflifffEEvT3_20rocsparse_direction_NS_24const_host_device_scalarIT1_EES1_PKS1_PKT2_SA_S7_PKT4_PKT5_S5_PT6_21rocsparse_index_base_b: ; @_ZN9rocsparseL18bsrxmvn_3x3_kernelILj256ELj16EflifffEEvT3_20rocsparse_direction_NS_24const_host_device_scalarIT1_EES1_PKS1_PKT2_SA_S7_PKT4_PKT5_S5_PT6_21rocsparse_index_base_b
; %bb.0:
	s_clause 0x2
	s_load_b64 s[16:17], s[0:1], 0x58
	s_load_b64 s[14:15], s[0:1], 0x8
	;; [unrolled: 1-line block ×3, first 2 shown]
	s_wait_kmcnt 0x0
	s_bitcmp1_b32 s17, 0
	s_cselect_b32 s2, -1, 0
	s_delay_alu instid0(SALU_CYCLE_1)
	s_and_b32 vcc_lo, exec_lo, s2
	s_xor_b32 s2, s2, -1
	s_cbranch_vccnz .LBB22_2
; %bb.1:
	s_load_b32 s14, s[14:15], 0x0
.LBB22_2:
	s_and_not1_b32 vcc_lo, exec_lo, s2
	s_cbranch_vccnz .LBB22_4
; %bb.3:
	s_load_b32 s12, s[12:13], 0x0
.LBB22_4:
	s_wait_kmcnt 0x0
	s_cmp_neq_f32 s14, 0
	s_mov_b32 s6, 0
	s_cselect_b32 s2, -1, 0
	s_cmp_neq_f32 s12, 1.0
	s_cselect_b32 s3, -1, 0
	s_delay_alu instid0(SALU_CYCLE_1) | instskip(NEXT) | instid1(SALU_CYCLE_1)
	s_or_b32 s2, s2, s3
	s_and_not1_b32 vcc_lo, exec_lo, s2
	s_cbranch_vccnz .LBB22_10
; %bb.5:
	s_clause 0x1
	s_load_b64 s[4:5], s[0:1], 0x18
	s_load_b64 s[2:3], s[0:1], 0x0
	v_lshrrev_b32_e32 v1, 4, v0
	s_delay_alu instid0(VALU_DEP_1)
	v_lshl_or_b32 v1, ttmp9, 4, v1
	s_wait_kmcnt 0x0
	s_cmp_lg_u64 s[4:5], 0
	s_cbranch_scc0 .LBB22_11
; %bb.6:
	s_load_b32 s6, s[0:1], 0x10
	s_mov_b32 s7, 0
                                        ; implicit-def: $vgpr2
	s_wait_kmcnt 0x0
	v_cmp_gt_i32_e32 vcc_lo, s6, v1
	s_mov_b32 s6, 0
	s_and_saveexec_b32 s8, vcc_lo
	s_delay_alu instid0(SALU_CYCLE_1)
	s_xor_b32 s8, exec_lo, s8
	s_cbranch_execz .LBB22_8
; %bb.7:
	v_ashrrev_i32_e32 v2, 31, v1
	s_mov_b32 s6, exec_lo
	s_delay_alu instid0(VALU_DEP_1) | instskip(NEXT) | instid1(VALU_DEP_1)
	v_lshlrev_b64_e32 v[2:3], 2, v[1:2]
	v_add_co_u32 v2, vcc_lo, s4, v2
	s_delay_alu instid0(VALU_DEP_1)
	v_add_co_ci_u32_e64 v3, null, s5, v3, vcc_lo
	global_load_b32 v2, v[2:3], off
	s_wait_loadcnt 0x0
	v_subrev_nc_u32_e32 v2, s16, v2
.LBB22_8:
	s_or_b32 exec_lo, exec_lo, s8
	s_delay_alu instid0(SALU_CYCLE_1)
	s_and_b32 vcc_lo, exec_lo, s7
	s_wait_alu 0xfffe
	s_cbranch_vccz .LBB22_12
.LBB22_9:
	v_cmp_gt_i32_e32 vcc_lo, s2, v1
	s_and_not1_b32 s2, s6, exec_lo
	s_and_b32 s4, vcc_lo, exec_lo
	s_wait_alu 0xfffe
	s_or_b32 s6, s2, s4
	s_wait_alu 0xfffe
	s_and_saveexec_b32 s2, s6
	s_cbranch_execnz .LBB22_13
.LBB22_10:
	s_endpgm
.LBB22_11:
                                        ; implicit-def: $vgpr2
	s_cbranch_execnz .LBB22_9
.LBB22_12:
	v_mov_b32_e32 v1, v2
	s_and_saveexec_b32 s2, s6
	s_cbranch_execz .LBB22_10
.LBB22_13:
	s_load_b256 s[4:11], s[0:1], 0x20
	s_delay_alu instid0(VALU_DEP_1) | instskip(SKIP_2) | instid1(VALU_DEP_3)
	v_ashrrev_i32_e32 v2, 31, v1
	v_and_b32_e32 v0, 15, v0
	v_mov_b32_e32 v14, 0
	v_lshlrev_b64_e32 v[2:3], 3, v[1:2]
	s_wait_kmcnt 0x0
	s_delay_alu instid0(VALU_DEP_1) | instskip(SKIP_1) | instid1(VALU_DEP_2)
	v_add_co_u32 v4, vcc_lo, s4, v2
	s_wait_alu 0xfffd
	v_add_co_ci_u32_e64 v5, null, s5, v3, vcc_lo
	v_add_co_u32 v2, vcc_lo, s6, v2
	s_wait_alu 0xfffd
	v_add_co_ci_u32_e64 v3, null, s7, v3, vcc_lo
	global_load_b64 v[6:7], v[4:5], off
	v_add_co_u32 v4, vcc_lo, v4, 8
	s_wait_alu 0xfffd
	v_add_co_ci_u32_e64 v5, null, 0, v5, vcc_lo
	s_cmp_eq_u64 s[6:7], 0
	s_load_b64 s[4:5], s[0:1], 0x40
	s_cselect_b32 vcc_lo, -1, 0
	s_cmp_eq_u32 s3, 1
	s_wait_alu 0xfffe
	v_dual_cndmask_b32 v3, v3, v5 :: v_dual_cndmask_b32 v2, v2, v4
	global_load_b64 v[8:9], v[2:3], off
	s_wait_loadcnt 0x1
	v_sub_co_u32 v2, vcc_lo, v6, s16
	s_wait_alu 0xfffd
	v_subrev_co_ci_u32_e64 v3, null, 0, v7, vcc_lo
	s_delay_alu instid0(VALU_DEP_2) | instskip(SKIP_1) | instid1(VALU_DEP_2)
	v_add_co_u32 v2, vcc_lo, v2, v0
	s_wait_alu 0xfffd
	v_add_co_ci_u32_e64 v3, null, 0, v3, vcc_lo
	s_delay_alu instid0(VALU_DEP_2) | instskip(NEXT) | instid1(VALU_DEP_1)
	v_mad_co_u64_u32 v[4:5], null, v2, 36, s[10:11]
	v_mad_co_u64_u32 v[5:6], null, v3, 36, v[5:6]
	s_wait_loadcnt 0x0
	v_sub_co_u32 v6, vcc_lo, v8, s16
	s_wait_alu 0xfffd
	v_subrev_co_ci_u32_e64 v7, null, 0, v9, vcc_lo
	s_delay_alu instid0(VALU_DEP_1)
	v_cmp_lt_i64_e64 s2, v[2:3], v[6:7]
	s_cbranch_scc1 .LBB22_19
; %bb.14:
	v_dual_mov_b32 v15, 0 :: v_dual_mov_b32 v16, 0
	s_and_saveexec_b32 s6, s2
	s_cbranch_execz .LBB22_18
; %bb.15:
	v_lshlrev_b64_e32 v[10:11], 2, v[2:3]
	v_dual_mov_b32 v14, 0 :: v_dual_mov_b32 v9, v5
	v_dual_mov_b32 v8, v4 :: v_dual_mov_b32 v13, v3
	;; [unrolled: 1-line block ×3, first 2 shown]
	s_delay_alu instid0(VALU_DEP_4)
	v_add_co_u32 v10, vcc_lo, s8, v10
	s_wait_alu 0xfffd
	v_add_co_ci_u32_e64 v11, null, s9, v11, vcc_lo
	v_mov_b32_e32 v16, 0
	s_mov_b32 s7, 0
.LBB22_16:                              ; =>This Inner Loop Header: Depth=1
	global_load_b32 v21, v[10:11], off
	global_load_b128 v[17:20], v[8:9], off offset:16
	s_wait_loadcnt 0x1
	v_subrev_nc_u32_e32 v21, s16, v21
	s_delay_alu instid0(VALU_DEP_1) | instskip(NEXT) | instid1(VALU_DEP_1)
	v_lshl_add_u32 v21, v21, 1, v21
	v_ashrrev_i32_e32 v22, 31, v21
	s_delay_alu instid0(VALU_DEP_1) | instskip(SKIP_1) | instid1(VALU_DEP_1)
	v_lshlrev_b64_e32 v[21:22], 2, v[21:22]
	s_wait_kmcnt 0x0
	v_add_co_u32 v25, vcc_lo, s4, v21
	s_wait_alu 0xfffd
	s_delay_alu instid0(VALU_DEP_2)
	v_add_co_ci_u32_e64 v26, null, s5, v22, vcc_lo
	global_load_b128 v[21:24], v[8:9], off
	global_load_b96 v[25:27], v[25:26], off
	global_load_b32 v28, v[8:9], off offset:32
	v_add_co_u32 v8, vcc_lo, 0x240, v8
	s_wait_alu 0xfffd
	v_add_co_ci_u32_e64 v9, null, 0, v9, vcc_lo
	v_add_co_u32 v12, vcc_lo, v12, 16
	s_wait_alu 0xfffd
	v_add_co_ci_u32_e64 v13, null, 0, v13, vcc_lo
	;; [unrolled: 3-line block ×3, first 2 shown]
	s_delay_alu instid0(VALU_DEP_3) | instskip(SKIP_4) | instid1(VALU_DEP_1)
	v_cmp_ge_i64_e64 s3, v[12:13], v[6:7]
	s_wait_alu 0xfffe
	s_or_b32 s7, s3, s7
	s_wait_loadcnt 0x1
	v_fmac_f32_e32 v15, v24, v25
	v_dual_fmac_f32 v14, v19, v25 :: v_dual_fmac_f32 v15, v17, v26
	v_fmac_f32_e32 v16, v21, v25
	s_delay_alu instid0(VALU_DEP_2) | instskip(NEXT) | instid1(VALU_DEP_2)
	v_dual_fmac_f32 v14, v20, v26 :: v_dual_fmac_f32 v15, v18, v27
	v_fmac_f32_e32 v16, v22, v26
	s_wait_loadcnt 0x0
	s_delay_alu instid0(VALU_DEP_2) | instskip(NEXT) | instid1(VALU_DEP_2)
	v_fmac_f32_e32 v14, v28, v27
	v_fmac_f32_e32 v16, v23, v27
	s_wait_alu 0xfffe
	s_and_not1_b32 exec_lo, exec_lo, s7
	s_cbranch_execnz .LBB22_16
; %bb.17:
	s_or_b32 exec_lo, exec_lo, s7
.LBB22_18:
	s_wait_alu 0xfffe
	s_or_b32 exec_lo, exec_lo, s6
	s_cbranch_execz .LBB22_20
	s_branch .LBB22_25
.LBB22_19:
                                        ; implicit-def: $vgpr14
                                        ; implicit-def: $vgpr15
                                        ; implicit-def: $vgpr16
.LBB22_20:
	v_dual_mov_b32 v14, 0 :: v_dual_mov_b32 v15, 0
	v_mov_b32_e32 v16, 0
	s_and_saveexec_b32 s3, s2
	s_cbranch_execz .LBB22_24
; %bb.21:
	v_lshlrev_b64_e32 v[8:9], 2, v[2:3]
	v_dual_mov_b32 v14, 0 :: v_dual_mov_b32 v15, 0
	v_mov_b32_e32 v16, 0
	s_mov_b32 s6, 0
	s_delay_alu instid0(VALU_DEP_3)
	v_add_co_u32 v8, vcc_lo, s8, v8
	s_wait_alu 0xfffd
	v_add_co_ci_u32_e64 v9, null, s9, v9, vcc_lo
.LBB22_22:                              ; =>This Inner Loop Header: Depth=1
	global_load_b32 v17, v[8:9], off
	global_load_b128 v[10:13], v[4:5], off offset:16
	s_wait_loadcnt 0x1
	v_subrev_nc_u32_e32 v17, s16, v17
	s_delay_alu instid0(VALU_DEP_1) | instskip(NEXT) | instid1(VALU_DEP_1)
	v_lshl_add_u32 v17, v17, 1, v17
	v_ashrrev_i32_e32 v18, 31, v17
	s_delay_alu instid0(VALU_DEP_1) | instskip(SKIP_1) | instid1(VALU_DEP_1)
	v_lshlrev_b64_e32 v[17:18], 2, v[17:18]
	s_wait_kmcnt 0x0
	v_add_co_u32 v21, vcc_lo, s4, v17
	s_wait_alu 0xfffd
	s_delay_alu instid0(VALU_DEP_2)
	v_add_co_ci_u32_e64 v22, null, s5, v18, vcc_lo
	global_load_b128 v[17:20], v[4:5], off
	global_load_b96 v[21:23], v[21:22], off
	global_load_b32 v24, v[4:5], off offset:32
	v_add_co_u32 v4, vcc_lo, 0x240, v4
	s_wait_alu 0xfffd
	v_add_co_ci_u32_e64 v5, null, 0, v5, vcc_lo
	v_add_co_u32 v2, vcc_lo, v2, 16
	s_wait_alu 0xfffd
	v_add_co_ci_u32_e64 v3, null, 0, v3, vcc_lo
	;; [unrolled: 3-line block ×3, first 2 shown]
	s_delay_alu instid0(VALU_DEP_3) | instskip(SKIP_4) | instid1(VALU_DEP_1)
	v_cmp_ge_i64_e64 s2, v[2:3], v[6:7]
	s_wait_alu 0xfffe
	s_or_b32 s6, s2, s6
	s_wait_loadcnt 0x1
	v_fmac_f32_e32 v15, v18, v21
	v_dual_fmac_f32 v16, v17, v21 :: v_dual_fmac_f32 v15, v10, v22
	v_fmac_f32_e32 v14, v19, v21
	s_delay_alu instid0(VALU_DEP_2) | instskip(NEXT) | instid1(VALU_DEP_2)
	v_dual_fmac_f32 v16, v20, v22 :: v_dual_fmac_f32 v15, v13, v23
	v_fmac_f32_e32 v14, v11, v22
	s_delay_alu instid0(VALU_DEP_2) | instskip(SKIP_1) | instid1(VALU_DEP_2)
	v_fmac_f32_e32 v16, v12, v23
	s_wait_loadcnt 0x0
	v_fmac_f32_e32 v14, v24, v23
	s_wait_alu 0xfffe
	s_and_not1_b32 exec_lo, exec_lo, s6
	s_cbranch_execnz .LBB22_22
; %bb.23:
	s_or_b32 exec_lo, exec_lo, s6
.LBB22_24:
	s_wait_alu 0xfffe
	s_or_b32 exec_lo, exec_lo, s3
.LBB22_25:
	v_mbcnt_lo_u32_b32 v2, -1, 0
	s_mov_b32 s2, -1
	s_delay_alu instid0(VALU_DEP_1) | instskip(SKIP_2) | instid1(VALU_DEP_3)
	v_xor_b32_e32 v3, 8, v2
	v_xor_b32_e32 v6, 4, v2
	;; [unrolled: 1-line block ×3, first 2 shown]
	v_cmp_gt_i32_e32 vcc_lo, 32, v3
	s_wait_alu 0xfffd
	v_cndmask_b32_e32 v3, v2, v3, vcc_lo
	v_cmp_gt_i32_e32 vcc_lo, 32, v6
	s_wait_alu 0xfffd
	v_cndmask_b32_e32 v6, v2, v6, vcc_lo
	v_cmp_gt_i32_e32 vcc_lo, 32, v9
	s_delay_alu instid0(VALU_DEP_2)
	v_lshlrev_b32_e32 v6, 2, v6
	v_lshlrev_b32_e32 v3, 2, v3
	ds_bpermute_b32 v4, v3, v16
	s_wait_dscnt 0x0
	v_add_f32_e32 v4, v16, v4
	ds_bpermute_b32 v5, v3, v15
	ds_bpermute_b32 v3, v3, v14
	;; [unrolled: 1-line block ×3, first 2 shown]
	s_wait_alu 0xfffd
	v_cndmask_b32_e32 v9, v2, v9, vcc_lo
	s_wait_dscnt 0x2
	v_add_f32_e32 v5, v15, v5
	s_wait_dscnt 0x1
	v_add_f32_e32 v3, v14, v3
	;; [unrolled: 2-line block ×3, first 2 shown]
	ds_bpermute_b32 v8, v6, v5
	ds_bpermute_b32 v6, v6, v3
	v_lshlrev_b32_e32 v9, 2, v9
	s_wait_dscnt 0x0
	v_dual_add_f32 v5, v5, v8 :: v_dual_add_f32 v6, v3, v6
	ds_bpermute_b32 v3, v9, v4
	ds_bpermute_b32 v7, v9, v5
	;; [unrolled: 1-line block ×3, first 2 shown]
	v_xor_b32_e32 v9, 1, v2
	s_delay_alu instid0(VALU_DEP_1) | instskip(SKIP_4) | instid1(VALU_DEP_2)
	v_cmp_gt_i32_e32 vcc_lo, 32, v9
	s_wait_alu 0xfffd
	v_cndmask_b32_e32 v2, v2, v9, vcc_lo
	v_cmp_eq_u32_e32 vcc_lo, 15, v0
	s_wait_dscnt 0x2
	v_dual_add_f32 v2, v4, v3 :: v_dual_lshlrev_b32 v9, 2, v2
	s_wait_dscnt 0x0
	v_dual_add_f32 v3, v5, v7 :: v_dual_add_f32 v4, v6, v8
	ds_bpermute_b32 v5, v9, v2
	ds_bpermute_b32 v6, v9, v3
	;; [unrolled: 1-line block ×3, first 2 shown]
	s_and_b32 exec_lo, exec_lo, vcc_lo
	s_cbranch_execz .LBB22_10
; %bb.26:
	s_load_b64 s[0:1], s[0:1], 0x50
	s_wait_dscnt 0x2
	v_add_f32_e32 v0, v2, v5
	s_wait_dscnt 0x1
	v_add_f32_e32 v2, v3, v6
	;; [unrolled: 2-line block ×3, first 2 shown]
	v_lshl_add_u32 v3, v1, 1, v1
	s_cmp_eq_f32 s12, 0
	v_dual_mul_f32 v1, s14, v2 :: v_dual_mul_f32 v0, s14, v0
	s_delay_alu instid0(VALU_DEP_3) | instskip(NEXT) | instid1(VALU_DEP_3)
	v_mul_f32_e32 v2, s14, v4
	v_ashrrev_i32_e32 v4, 31, v3
	s_cbranch_scc0 .LBB22_28
; %bb.27:
	s_delay_alu instid0(VALU_DEP_1) | instskip(SKIP_2) | instid1(VALU_DEP_1)
	v_lshlrev_b64_e32 v[5:6], 2, v[3:4]
	s_mov_b32 s2, 0
	s_wait_kmcnt 0x0
	v_add_co_u32 v5, vcc_lo, s0, v5
	s_wait_alu 0xfffd
	s_delay_alu instid0(VALU_DEP_2)
	v_add_co_ci_u32_e64 v6, null, s1, v6, vcc_lo
	global_store_b96 v[5:6], v[0:2], off
.LBB22_28:
	s_wait_alu 0xfffe
	s_and_not1_b32 vcc_lo, exec_lo, s2
	s_wait_alu 0xfffe
	s_cbranch_vccnz .LBB22_10
; %bb.29:
	v_lshlrev_b64_e32 v[3:4], 2, v[3:4]
	s_wait_kmcnt 0x0
	s_delay_alu instid0(VALU_DEP_1) | instskip(SKIP_1) | instid1(VALU_DEP_2)
	v_add_co_u32 v6, vcc_lo, s0, v3
	s_wait_alu 0xfffd
	v_add_co_ci_u32_e64 v7, null, s1, v4, vcc_lo
	global_load_b96 v[3:5], v[6:7], off
	s_wait_loadcnt 0x0
	v_dual_fmac_f32 v0, s12, v3 :: v_dual_fmac_f32 v1, s12, v4
	v_fmac_f32_e32 v2, s12, v5
	global_store_b96 v[6:7], v[0:2], off
	s_endpgm
	.section	.rodata,"a",@progbits
	.p2align	6, 0x0
	.amdhsa_kernel _ZN9rocsparseL18bsrxmvn_3x3_kernelILj256ELj16EflifffEEvT3_20rocsparse_direction_NS_24const_host_device_scalarIT1_EES1_PKS1_PKT2_SA_S7_PKT4_PKT5_S5_PT6_21rocsparse_index_base_b
		.amdhsa_group_segment_fixed_size 0
		.amdhsa_private_segment_fixed_size 0
		.amdhsa_kernarg_size 96
		.amdhsa_user_sgpr_count 2
		.amdhsa_user_sgpr_dispatch_ptr 0
		.amdhsa_user_sgpr_queue_ptr 0
		.amdhsa_user_sgpr_kernarg_segment_ptr 1
		.amdhsa_user_sgpr_dispatch_id 0
		.amdhsa_user_sgpr_private_segment_size 0
		.amdhsa_wavefront_size32 1
		.amdhsa_uses_dynamic_stack 0
		.amdhsa_enable_private_segment 0
		.amdhsa_system_sgpr_workgroup_id_x 1
		.amdhsa_system_sgpr_workgroup_id_y 0
		.amdhsa_system_sgpr_workgroup_id_z 0
		.amdhsa_system_sgpr_workgroup_info 0
		.amdhsa_system_vgpr_workitem_id 0
		.amdhsa_next_free_vgpr 29
		.amdhsa_next_free_sgpr 18
		.amdhsa_reserve_vcc 1
		.amdhsa_float_round_mode_32 0
		.amdhsa_float_round_mode_16_64 0
		.amdhsa_float_denorm_mode_32 3
		.amdhsa_float_denorm_mode_16_64 3
		.amdhsa_fp16_overflow 0
		.amdhsa_workgroup_processor_mode 1
		.amdhsa_memory_ordered 1
		.amdhsa_forward_progress 1
		.amdhsa_inst_pref_size 14
		.amdhsa_round_robin_scheduling 0
		.amdhsa_exception_fp_ieee_invalid_op 0
		.amdhsa_exception_fp_denorm_src 0
		.amdhsa_exception_fp_ieee_div_zero 0
		.amdhsa_exception_fp_ieee_overflow 0
		.amdhsa_exception_fp_ieee_underflow 0
		.amdhsa_exception_fp_ieee_inexact 0
		.amdhsa_exception_int_div_zero 0
	.end_amdhsa_kernel
	.section	.text._ZN9rocsparseL18bsrxmvn_3x3_kernelILj256ELj16EflifffEEvT3_20rocsparse_direction_NS_24const_host_device_scalarIT1_EES1_PKS1_PKT2_SA_S7_PKT4_PKT5_S5_PT6_21rocsparse_index_base_b,"axG",@progbits,_ZN9rocsparseL18bsrxmvn_3x3_kernelILj256ELj16EflifffEEvT3_20rocsparse_direction_NS_24const_host_device_scalarIT1_EES1_PKS1_PKT2_SA_S7_PKT4_PKT5_S5_PT6_21rocsparse_index_base_b,comdat
.Lfunc_end22:
	.size	_ZN9rocsparseL18bsrxmvn_3x3_kernelILj256ELj16EflifffEEvT3_20rocsparse_direction_NS_24const_host_device_scalarIT1_EES1_PKS1_PKT2_SA_S7_PKT4_PKT5_S5_PT6_21rocsparse_index_base_b, .Lfunc_end22-_ZN9rocsparseL18bsrxmvn_3x3_kernelILj256ELj16EflifffEEvT3_20rocsparse_direction_NS_24const_host_device_scalarIT1_EES1_PKS1_PKT2_SA_S7_PKT4_PKT5_S5_PT6_21rocsparse_index_base_b
                                        ; -- End function
	.set _ZN9rocsparseL18bsrxmvn_3x3_kernelILj256ELj16EflifffEEvT3_20rocsparse_direction_NS_24const_host_device_scalarIT1_EES1_PKS1_PKT2_SA_S7_PKT4_PKT5_S5_PT6_21rocsparse_index_base_b.num_vgpr, 29
	.set _ZN9rocsparseL18bsrxmvn_3x3_kernelILj256ELj16EflifffEEvT3_20rocsparse_direction_NS_24const_host_device_scalarIT1_EES1_PKS1_PKT2_SA_S7_PKT4_PKT5_S5_PT6_21rocsparse_index_base_b.num_agpr, 0
	.set _ZN9rocsparseL18bsrxmvn_3x3_kernelILj256ELj16EflifffEEvT3_20rocsparse_direction_NS_24const_host_device_scalarIT1_EES1_PKS1_PKT2_SA_S7_PKT4_PKT5_S5_PT6_21rocsparse_index_base_b.numbered_sgpr, 18
	.set _ZN9rocsparseL18bsrxmvn_3x3_kernelILj256ELj16EflifffEEvT3_20rocsparse_direction_NS_24const_host_device_scalarIT1_EES1_PKS1_PKT2_SA_S7_PKT4_PKT5_S5_PT6_21rocsparse_index_base_b.num_named_barrier, 0
	.set _ZN9rocsparseL18bsrxmvn_3x3_kernelILj256ELj16EflifffEEvT3_20rocsparse_direction_NS_24const_host_device_scalarIT1_EES1_PKS1_PKT2_SA_S7_PKT4_PKT5_S5_PT6_21rocsparse_index_base_b.private_seg_size, 0
	.set _ZN9rocsparseL18bsrxmvn_3x3_kernelILj256ELj16EflifffEEvT3_20rocsparse_direction_NS_24const_host_device_scalarIT1_EES1_PKS1_PKT2_SA_S7_PKT4_PKT5_S5_PT6_21rocsparse_index_base_b.uses_vcc, 1
	.set _ZN9rocsparseL18bsrxmvn_3x3_kernelILj256ELj16EflifffEEvT3_20rocsparse_direction_NS_24const_host_device_scalarIT1_EES1_PKS1_PKT2_SA_S7_PKT4_PKT5_S5_PT6_21rocsparse_index_base_b.uses_flat_scratch, 0
	.set _ZN9rocsparseL18bsrxmvn_3x3_kernelILj256ELj16EflifffEEvT3_20rocsparse_direction_NS_24const_host_device_scalarIT1_EES1_PKS1_PKT2_SA_S7_PKT4_PKT5_S5_PT6_21rocsparse_index_base_b.has_dyn_sized_stack, 0
	.set _ZN9rocsparseL18bsrxmvn_3x3_kernelILj256ELj16EflifffEEvT3_20rocsparse_direction_NS_24const_host_device_scalarIT1_EES1_PKS1_PKT2_SA_S7_PKT4_PKT5_S5_PT6_21rocsparse_index_base_b.has_recursion, 0
	.set _ZN9rocsparseL18bsrxmvn_3x3_kernelILj256ELj16EflifffEEvT3_20rocsparse_direction_NS_24const_host_device_scalarIT1_EES1_PKS1_PKT2_SA_S7_PKT4_PKT5_S5_PT6_21rocsparse_index_base_b.has_indirect_call, 0
	.section	.AMDGPU.csdata,"",@progbits
; Kernel info:
; codeLenInByte = 1792
; TotalNumSgprs: 20
; NumVgprs: 29
; ScratchSize: 0
; MemoryBound: 0
; FloatMode: 240
; IeeeMode: 1
; LDSByteSize: 0 bytes/workgroup (compile time only)
; SGPRBlocks: 0
; VGPRBlocks: 3
; NumSGPRsForWavesPerEU: 20
; NumVGPRsForWavesPerEU: 29
; Occupancy: 16
; WaveLimiterHint : 1
; COMPUTE_PGM_RSRC2:SCRATCH_EN: 0
; COMPUTE_PGM_RSRC2:USER_SGPR: 2
; COMPUTE_PGM_RSRC2:TRAP_HANDLER: 0
; COMPUTE_PGM_RSRC2:TGID_X_EN: 1
; COMPUTE_PGM_RSRC2:TGID_Y_EN: 0
; COMPUTE_PGM_RSRC2:TGID_Z_EN: 0
; COMPUTE_PGM_RSRC2:TIDIG_COMP_CNT: 0
	.section	.text._ZN9rocsparseL18bsrxmvn_3x3_kernelILj256ELj32EflifffEEvT3_20rocsparse_direction_NS_24const_host_device_scalarIT1_EES1_PKS1_PKT2_SA_S7_PKT4_PKT5_S5_PT6_21rocsparse_index_base_b,"axG",@progbits,_ZN9rocsparseL18bsrxmvn_3x3_kernelILj256ELj32EflifffEEvT3_20rocsparse_direction_NS_24const_host_device_scalarIT1_EES1_PKS1_PKT2_SA_S7_PKT4_PKT5_S5_PT6_21rocsparse_index_base_b,comdat
	.globl	_ZN9rocsparseL18bsrxmvn_3x3_kernelILj256ELj32EflifffEEvT3_20rocsparse_direction_NS_24const_host_device_scalarIT1_EES1_PKS1_PKT2_SA_S7_PKT4_PKT5_S5_PT6_21rocsparse_index_base_b ; -- Begin function _ZN9rocsparseL18bsrxmvn_3x3_kernelILj256ELj32EflifffEEvT3_20rocsparse_direction_NS_24const_host_device_scalarIT1_EES1_PKS1_PKT2_SA_S7_PKT4_PKT5_S5_PT6_21rocsparse_index_base_b
	.p2align	8
	.type	_ZN9rocsparseL18bsrxmvn_3x3_kernelILj256ELj32EflifffEEvT3_20rocsparse_direction_NS_24const_host_device_scalarIT1_EES1_PKS1_PKT2_SA_S7_PKT4_PKT5_S5_PT6_21rocsparse_index_base_b,@function
_ZN9rocsparseL18bsrxmvn_3x3_kernelILj256ELj32EflifffEEvT3_20rocsparse_direction_NS_24const_host_device_scalarIT1_EES1_PKS1_PKT2_SA_S7_PKT4_PKT5_S5_PT6_21rocsparse_index_base_b: ; @_ZN9rocsparseL18bsrxmvn_3x3_kernelILj256ELj32EflifffEEvT3_20rocsparse_direction_NS_24const_host_device_scalarIT1_EES1_PKS1_PKT2_SA_S7_PKT4_PKT5_S5_PT6_21rocsparse_index_base_b
; %bb.0:
	s_clause 0x2
	s_load_b64 s[16:17], s[0:1], 0x58
	s_load_b64 s[14:15], s[0:1], 0x8
	;; [unrolled: 1-line block ×3, first 2 shown]
	s_wait_kmcnt 0x0
	s_bitcmp1_b32 s17, 0
	s_cselect_b32 s2, -1, 0
	s_delay_alu instid0(SALU_CYCLE_1)
	s_and_b32 vcc_lo, exec_lo, s2
	s_xor_b32 s2, s2, -1
	s_cbranch_vccnz .LBB23_2
; %bb.1:
	s_load_b32 s14, s[14:15], 0x0
.LBB23_2:
	s_and_not1_b32 vcc_lo, exec_lo, s2
	s_cbranch_vccnz .LBB23_4
; %bb.3:
	s_load_b32 s12, s[12:13], 0x0
.LBB23_4:
	s_wait_kmcnt 0x0
	s_cmp_neq_f32 s14, 0
	s_mov_b32 s6, 0
	s_cselect_b32 s2, -1, 0
	s_cmp_neq_f32 s12, 1.0
	s_cselect_b32 s3, -1, 0
	s_delay_alu instid0(SALU_CYCLE_1) | instskip(NEXT) | instid1(SALU_CYCLE_1)
	s_or_b32 s2, s2, s3
	s_and_not1_b32 vcc_lo, exec_lo, s2
	s_cbranch_vccnz .LBB23_10
; %bb.5:
	s_clause 0x1
	s_load_b64 s[4:5], s[0:1], 0x18
	s_load_b64 s[2:3], s[0:1], 0x0
	v_lshrrev_b32_e32 v1, 5, v0
	s_delay_alu instid0(VALU_DEP_1)
	v_lshl_or_b32 v1, ttmp9, 3, v1
	s_wait_kmcnt 0x0
	s_cmp_lg_u64 s[4:5], 0
	s_cbranch_scc0 .LBB23_11
; %bb.6:
	s_load_b32 s6, s[0:1], 0x10
	s_mov_b32 s7, 0
                                        ; implicit-def: $vgpr2
	s_wait_kmcnt 0x0
	v_cmp_gt_i32_e32 vcc_lo, s6, v1
	s_mov_b32 s6, 0
	s_and_saveexec_b32 s8, vcc_lo
	s_delay_alu instid0(SALU_CYCLE_1)
	s_xor_b32 s8, exec_lo, s8
	s_cbranch_execz .LBB23_8
; %bb.7:
	v_ashrrev_i32_e32 v2, 31, v1
	s_mov_b32 s6, exec_lo
	s_delay_alu instid0(VALU_DEP_1) | instskip(NEXT) | instid1(VALU_DEP_1)
	v_lshlrev_b64_e32 v[2:3], 2, v[1:2]
	v_add_co_u32 v2, vcc_lo, s4, v2
	s_delay_alu instid0(VALU_DEP_1)
	v_add_co_ci_u32_e64 v3, null, s5, v3, vcc_lo
	global_load_b32 v2, v[2:3], off
	s_wait_loadcnt 0x0
	v_subrev_nc_u32_e32 v2, s16, v2
.LBB23_8:
	s_or_b32 exec_lo, exec_lo, s8
	s_delay_alu instid0(SALU_CYCLE_1)
	s_and_b32 vcc_lo, exec_lo, s7
	s_wait_alu 0xfffe
	s_cbranch_vccz .LBB23_12
.LBB23_9:
	v_cmp_gt_i32_e32 vcc_lo, s2, v1
	s_and_not1_b32 s2, s6, exec_lo
	s_and_b32 s4, vcc_lo, exec_lo
	s_wait_alu 0xfffe
	s_or_b32 s6, s2, s4
	s_wait_alu 0xfffe
	s_and_saveexec_b32 s2, s6
	s_cbranch_execnz .LBB23_13
.LBB23_10:
	s_endpgm
.LBB23_11:
                                        ; implicit-def: $vgpr2
	s_cbranch_execnz .LBB23_9
.LBB23_12:
	v_mov_b32_e32 v1, v2
	s_and_saveexec_b32 s2, s6
	s_cbranch_execz .LBB23_10
.LBB23_13:
	s_load_b256 s[4:11], s[0:1], 0x20
	s_delay_alu instid0(VALU_DEP_1) | instskip(SKIP_2) | instid1(VALU_DEP_3)
	v_ashrrev_i32_e32 v2, 31, v1
	v_and_b32_e32 v0, 31, v0
	v_mov_b32_e32 v14, 0
	v_lshlrev_b64_e32 v[2:3], 3, v[1:2]
	s_wait_kmcnt 0x0
	s_delay_alu instid0(VALU_DEP_1) | instskip(SKIP_1) | instid1(VALU_DEP_2)
	v_add_co_u32 v4, vcc_lo, s4, v2
	s_wait_alu 0xfffd
	v_add_co_ci_u32_e64 v5, null, s5, v3, vcc_lo
	v_add_co_u32 v2, vcc_lo, s6, v2
	s_wait_alu 0xfffd
	v_add_co_ci_u32_e64 v3, null, s7, v3, vcc_lo
	global_load_b64 v[6:7], v[4:5], off
	v_add_co_u32 v4, vcc_lo, v4, 8
	s_wait_alu 0xfffd
	v_add_co_ci_u32_e64 v5, null, 0, v5, vcc_lo
	s_cmp_eq_u64 s[6:7], 0
	s_load_b64 s[4:5], s[0:1], 0x40
	s_cselect_b32 vcc_lo, -1, 0
	s_cmp_eq_u32 s3, 1
	s_wait_alu 0xfffe
	v_dual_cndmask_b32 v3, v3, v5 :: v_dual_cndmask_b32 v2, v2, v4
	global_load_b64 v[8:9], v[2:3], off
	s_wait_loadcnt 0x1
	v_sub_co_u32 v2, vcc_lo, v6, s16
	s_wait_alu 0xfffd
	v_subrev_co_ci_u32_e64 v3, null, 0, v7, vcc_lo
	s_delay_alu instid0(VALU_DEP_2) | instskip(SKIP_1) | instid1(VALU_DEP_2)
	v_add_co_u32 v2, vcc_lo, v2, v0
	s_wait_alu 0xfffd
	v_add_co_ci_u32_e64 v3, null, 0, v3, vcc_lo
	s_delay_alu instid0(VALU_DEP_2) | instskip(NEXT) | instid1(VALU_DEP_1)
	v_mad_co_u64_u32 v[4:5], null, v2, 36, s[10:11]
	v_mad_co_u64_u32 v[5:6], null, v3, 36, v[5:6]
	s_wait_loadcnt 0x0
	v_sub_co_u32 v6, vcc_lo, v8, s16
	s_wait_alu 0xfffd
	v_subrev_co_ci_u32_e64 v7, null, 0, v9, vcc_lo
	s_delay_alu instid0(VALU_DEP_1)
	v_cmp_lt_i64_e64 s2, v[2:3], v[6:7]
	s_cbranch_scc1 .LBB23_19
; %bb.14:
	v_dual_mov_b32 v15, 0 :: v_dual_mov_b32 v16, 0
	s_and_saveexec_b32 s6, s2
	s_cbranch_execz .LBB23_18
; %bb.15:
	v_lshlrev_b64_e32 v[10:11], 2, v[2:3]
	v_dual_mov_b32 v14, 0 :: v_dual_mov_b32 v9, v5
	v_dual_mov_b32 v8, v4 :: v_dual_mov_b32 v13, v3
	;; [unrolled: 1-line block ×3, first 2 shown]
	s_delay_alu instid0(VALU_DEP_4)
	v_add_co_u32 v10, vcc_lo, s8, v10
	s_wait_alu 0xfffd
	v_add_co_ci_u32_e64 v11, null, s9, v11, vcc_lo
	v_mov_b32_e32 v16, 0
	s_mov_b32 s7, 0
.LBB23_16:                              ; =>This Inner Loop Header: Depth=1
	global_load_b32 v21, v[10:11], off
	global_load_b128 v[17:20], v[8:9], off offset:16
	s_wait_loadcnt 0x1
	v_subrev_nc_u32_e32 v21, s16, v21
	s_delay_alu instid0(VALU_DEP_1) | instskip(NEXT) | instid1(VALU_DEP_1)
	v_lshl_add_u32 v21, v21, 1, v21
	v_ashrrev_i32_e32 v22, 31, v21
	s_delay_alu instid0(VALU_DEP_1) | instskip(SKIP_1) | instid1(VALU_DEP_1)
	v_lshlrev_b64_e32 v[21:22], 2, v[21:22]
	s_wait_kmcnt 0x0
	v_add_co_u32 v25, vcc_lo, s4, v21
	s_wait_alu 0xfffd
	s_delay_alu instid0(VALU_DEP_2)
	v_add_co_ci_u32_e64 v26, null, s5, v22, vcc_lo
	global_load_b128 v[21:24], v[8:9], off
	global_load_b96 v[25:27], v[25:26], off
	global_load_b32 v28, v[8:9], off offset:32
	v_add_co_u32 v8, vcc_lo, 0x480, v8
	s_wait_alu 0xfffd
	v_add_co_ci_u32_e64 v9, null, 0, v9, vcc_lo
	v_add_co_u32 v12, vcc_lo, v12, 32
	s_wait_alu 0xfffd
	v_add_co_ci_u32_e64 v13, null, 0, v13, vcc_lo
	;; [unrolled: 3-line block ×3, first 2 shown]
	s_delay_alu instid0(VALU_DEP_3) | instskip(SKIP_4) | instid1(VALU_DEP_1)
	v_cmp_ge_i64_e64 s3, v[12:13], v[6:7]
	s_wait_alu 0xfffe
	s_or_b32 s7, s3, s7
	s_wait_loadcnt 0x1
	v_fmac_f32_e32 v15, v24, v25
	v_dual_fmac_f32 v14, v19, v25 :: v_dual_fmac_f32 v15, v17, v26
	v_fmac_f32_e32 v16, v21, v25
	s_delay_alu instid0(VALU_DEP_2) | instskip(NEXT) | instid1(VALU_DEP_2)
	v_dual_fmac_f32 v14, v20, v26 :: v_dual_fmac_f32 v15, v18, v27
	v_fmac_f32_e32 v16, v22, v26
	s_wait_loadcnt 0x0
	s_delay_alu instid0(VALU_DEP_2) | instskip(NEXT) | instid1(VALU_DEP_2)
	v_fmac_f32_e32 v14, v28, v27
	v_fmac_f32_e32 v16, v23, v27
	s_wait_alu 0xfffe
	s_and_not1_b32 exec_lo, exec_lo, s7
	s_cbranch_execnz .LBB23_16
; %bb.17:
	s_or_b32 exec_lo, exec_lo, s7
.LBB23_18:
	s_wait_alu 0xfffe
	s_or_b32 exec_lo, exec_lo, s6
	s_cbranch_execz .LBB23_20
	s_branch .LBB23_25
.LBB23_19:
                                        ; implicit-def: $vgpr14
                                        ; implicit-def: $vgpr15
                                        ; implicit-def: $vgpr16
.LBB23_20:
	v_dual_mov_b32 v14, 0 :: v_dual_mov_b32 v15, 0
	v_mov_b32_e32 v16, 0
	s_and_saveexec_b32 s3, s2
	s_cbranch_execz .LBB23_24
; %bb.21:
	v_lshlrev_b64_e32 v[8:9], 2, v[2:3]
	v_dual_mov_b32 v14, 0 :: v_dual_mov_b32 v15, 0
	v_mov_b32_e32 v16, 0
	s_mov_b32 s6, 0
	s_delay_alu instid0(VALU_DEP_3)
	v_add_co_u32 v8, vcc_lo, s8, v8
	s_wait_alu 0xfffd
	v_add_co_ci_u32_e64 v9, null, s9, v9, vcc_lo
.LBB23_22:                              ; =>This Inner Loop Header: Depth=1
	global_load_b32 v17, v[8:9], off
	global_load_b128 v[10:13], v[4:5], off offset:16
	s_wait_loadcnt 0x1
	v_subrev_nc_u32_e32 v17, s16, v17
	s_delay_alu instid0(VALU_DEP_1) | instskip(NEXT) | instid1(VALU_DEP_1)
	v_lshl_add_u32 v17, v17, 1, v17
	v_ashrrev_i32_e32 v18, 31, v17
	s_delay_alu instid0(VALU_DEP_1) | instskip(SKIP_1) | instid1(VALU_DEP_1)
	v_lshlrev_b64_e32 v[17:18], 2, v[17:18]
	s_wait_kmcnt 0x0
	v_add_co_u32 v21, vcc_lo, s4, v17
	s_wait_alu 0xfffd
	s_delay_alu instid0(VALU_DEP_2)
	v_add_co_ci_u32_e64 v22, null, s5, v18, vcc_lo
	global_load_b128 v[17:20], v[4:5], off
	global_load_b96 v[21:23], v[21:22], off
	global_load_b32 v24, v[4:5], off offset:32
	v_add_co_u32 v4, vcc_lo, 0x480, v4
	s_wait_alu 0xfffd
	v_add_co_ci_u32_e64 v5, null, 0, v5, vcc_lo
	v_add_co_u32 v2, vcc_lo, v2, 32
	s_wait_alu 0xfffd
	v_add_co_ci_u32_e64 v3, null, 0, v3, vcc_lo
	;; [unrolled: 3-line block ×3, first 2 shown]
	s_delay_alu instid0(VALU_DEP_3) | instskip(SKIP_4) | instid1(VALU_DEP_1)
	v_cmp_ge_i64_e64 s2, v[2:3], v[6:7]
	s_wait_alu 0xfffe
	s_or_b32 s6, s2, s6
	s_wait_loadcnt 0x1
	v_fmac_f32_e32 v15, v18, v21
	v_dual_fmac_f32 v16, v17, v21 :: v_dual_fmac_f32 v15, v10, v22
	v_fmac_f32_e32 v14, v19, v21
	s_delay_alu instid0(VALU_DEP_2) | instskip(NEXT) | instid1(VALU_DEP_2)
	v_dual_fmac_f32 v16, v20, v22 :: v_dual_fmac_f32 v15, v13, v23
	v_fmac_f32_e32 v14, v11, v22
	s_delay_alu instid0(VALU_DEP_2) | instskip(SKIP_1) | instid1(VALU_DEP_2)
	v_fmac_f32_e32 v16, v12, v23
	s_wait_loadcnt 0x0
	v_fmac_f32_e32 v14, v24, v23
	s_wait_alu 0xfffe
	s_and_not1_b32 exec_lo, exec_lo, s6
	s_cbranch_execnz .LBB23_22
; %bb.23:
	s_or_b32 exec_lo, exec_lo, s6
.LBB23_24:
	s_wait_alu 0xfffe
	s_or_b32 exec_lo, exec_lo, s3
.LBB23_25:
	v_mbcnt_lo_u32_b32 v2, -1, 0
	s_mov_b32 s2, -1
	s_delay_alu instid0(VALU_DEP_1) | instskip(SKIP_2) | instid1(VALU_DEP_3)
	v_xor_b32_e32 v3, 16, v2
	v_xor_b32_e32 v6, 8, v2
	;; [unrolled: 1-line block ×3, first 2 shown]
	v_cmp_gt_i32_e32 vcc_lo, 32, v3
	s_wait_alu 0xfffd
	v_cndmask_b32_e32 v3, v2, v3, vcc_lo
	v_cmp_gt_i32_e32 vcc_lo, 32, v6
	s_wait_alu 0xfffd
	v_cndmask_b32_e32 v6, v2, v6, vcc_lo
	v_cmp_gt_i32_e32 vcc_lo, 32, v9
	s_delay_alu instid0(VALU_DEP_2)
	v_lshlrev_b32_e32 v6, 2, v6
	v_lshlrev_b32_e32 v3, 2, v3
	ds_bpermute_b32 v4, v3, v16
	s_wait_dscnt 0x0
	v_add_f32_e32 v4, v16, v4
	ds_bpermute_b32 v5, v3, v15
	ds_bpermute_b32 v3, v3, v14
	;; [unrolled: 1-line block ×3, first 2 shown]
	s_wait_alu 0xfffd
	v_cndmask_b32_e32 v9, v2, v9, vcc_lo
	s_wait_dscnt 0x0
	v_dual_add_f32 v5, v15, v5 :: v_dual_add_f32 v4, v4, v7
	v_add_f32_e32 v3, v14, v3
	ds_bpermute_b32 v8, v6, v5
	ds_bpermute_b32 v6, v6, v3
	s_wait_dscnt 0x1
	v_add_f32_e32 v5, v5, v8
	s_wait_dscnt 0x0
	v_add_f32_e32 v3, v3, v6
	v_lshlrev_b32_e32 v9, 2, v9
	ds_bpermute_b32 v6, v9, v4
	ds_bpermute_b32 v8, v9, v3
	s_wait_dscnt 0x1
	v_add_f32_e32 v4, v4, v6
	s_wait_dscnt 0x0
	v_add_f32_e32 v6, v3, v8
	ds_bpermute_b32 v7, v9, v5
	v_xor_b32_e32 v9, 2, v2
	s_delay_alu instid0(VALU_DEP_1) | instskip(SKIP_2) | instid1(VALU_DEP_1)
	v_cmp_gt_i32_e32 vcc_lo, 32, v9
	s_wait_alu 0xfffd
	v_cndmask_b32_e32 v9, v2, v9, vcc_lo
	v_lshlrev_b32_e32 v9, 2, v9
	s_wait_dscnt 0x0
	v_add_f32_e32 v5, v5, v7
	ds_bpermute_b32 v3, v9, v4
	ds_bpermute_b32 v8, v9, v6
	;; [unrolled: 1-line block ×3, first 2 shown]
	v_xor_b32_e32 v9, 1, v2
	s_delay_alu instid0(VALU_DEP_1) | instskip(SKIP_4) | instid1(VALU_DEP_2)
	v_cmp_gt_i32_e32 vcc_lo, 32, v9
	s_wait_alu 0xfffd
	v_cndmask_b32_e32 v2, v2, v9, vcc_lo
	v_cmp_eq_u32_e32 vcc_lo, 31, v0
	s_wait_dscnt 0x2
	v_dual_add_f32 v2, v4, v3 :: v_dual_lshlrev_b32 v9, 2, v2
	s_wait_dscnt 0x0
	v_dual_add_f32 v4, v6, v8 :: v_dual_add_f32 v3, v5, v7
	ds_bpermute_b32 v5, v9, v2
	ds_bpermute_b32 v7, v9, v4
	;; [unrolled: 1-line block ×3, first 2 shown]
	s_and_b32 exec_lo, exec_lo, vcc_lo
	s_cbranch_execz .LBB23_10
; %bb.26:
	s_load_b64 s[0:1], s[0:1], 0x50
	s_wait_dscnt 0x2
	v_add_f32_e32 v0, v2, v5
	s_wait_dscnt 0x0
	v_add_f32_e32 v2, v3, v6
	v_add_f32_e32 v4, v4, v7
	v_lshl_add_u32 v3, v1, 1, v1
	s_cmp_eq_f32 s12, 0
	s_delay_alu instid0(VALU_DEP_3) | instskip(NEXT) | instid1(VALU_DEP_3)
	v_dual_mul_f32 v1, s14, v2 :: v_dual_mul_f32 v0, s14, v0
	v_mul_f32_e32 v2, s14, v4
	s_delay_alu instid0(VALU_DEP_3)
	v_ashrrev_i32_e32 v4, 31, v3
	s_cbranch_scc0 .LBB23_28
; %bb.27:
	s_delay_alu instid0(VALU_DEP_1) | instskip(SKIP_2) | instid1(VALU_DEP_1)
	v_lshlrev_b64_e32 v[5:6], 2, v[3:4]
	s_mov_b32 s2, 0
	s_wait_kmcnt 0x0
	v_add_co_u32 v5, vcc_lo, s0, v5
	s_wait_alu 0xfffd
	s_delay_alu instid0(VALU_DEP_2)
	v_add_co_ci_u32_e64 v6, null, s1, v6, vcc_lo
	global_store_b96 v[5:6], v[0:2], off
.LBB23_28:
	s_wait_alu 0xfffe
	s_and_not1_b32 vcc_lo, exec_lo, s2
	s_wait_alu 0xfffe
	s_cbranch_vccnz .LBB23_10
; %bb.29:
	v_lshlrev_b64_e32 v[3:4], 2, v[3:4]
	s_wait_kmcnt 0x0
	s_delay_alu instid0(VALU_DEP_1) | instskip(SKIP_1) | instid1(VALU_DEP_2)
	v_add_co_u32 v6, vcc_lo, s0, v3
	s_wait_alu 0xfffd
	v_add_co_ci_u32_e64 v7, null, s1, v4, vcc_lo
	global_load_b96 v[3:5], v[6:7], off
	s_wait_loadcnt 0x0
	v_dual_fmac_f32 v0, s12, v3 :: v_dual_fmac_f32 v1, s12, v4
	v_fmac_f32_e32 v2, s12, v5
	global_store_b96 v[6:7], v[0:2], off
	s_endpgm
	.section	.rodata,"a",@progbits
	.p2align	6, 0x0
	.amdhsa_kernel _ZN9rocsparseL18bsrxmvn_3x3_kernelILj256ELj32EflifffEEvT3_20rocsparse_direction_NS_24const_host_device_scalarIT1_EES1_PKS1_PKT2_SA_S7_PKT4_PKT5_S5_PT6_21rocsparse_index_base_b
		.amdhsa_group_segment_fixed_size 0
		.amdhsa_private_segment_fixed_size 0
		.amdhsa_kernarg_size 96
		.amdhsa_user_sgpr_count 2
		.amdhsa_user_sgpr_dispatch_ptr 0
		.amdhsa_user_sgpr_queue_ptr 0
		.amdhsa_user_sgpr_kernarg_segment_ptr 1
		.amdhsa_user_sgpr_dispatch_id 0
		.amdhsa_user_sgpr_private_segment_size 0
		.amdhsa_wavefront_size32 1
		.amdhsa_uses_dynamic_stack 0
		.amdhsa_enable_private_segment 0
		.amdhsa_system_sgpr_workgroup_id_x 1
		.amdhsa_system_sgpr_workgroup_id_y 0
		.amdhsa_system_sgpr_workgroup_id_z 0
		.amdhsa_system_sgpr_workgroup_info 0
		.amdhsa_system_vgpr_workitem_id 0
		.amdhsa_next_free_vgpr 29
		.amdhsa_next_free_sgpr 18
		.amdhsa_reserve_vcc 1
		.amdhsa_float_round_mode_32 0
		.amdhsa_float_round_mode_16_64 0
		.amdhsa_float_denorm_mode_32 3
		.amdhsa_float_denorm_mode_16_64 3
		.amdhsa_fp16_overflow 0
		.amdhsa_workgroup_processor_mode 1
		.amdhsa_memory_ordered 1
		.amdhsa_forward_progress 1
		.amdhsa_inst_pref_size 15
		.amdhsa_round_robin_scheduling 0
		.amdhsa_exception_fp_ieee_invalid_op 0
		.amdhsa_exception_fp_denorm_src 0
		.amdhsa_exception_fp_ieee_div_zero 0
		.amdhsa_exception_fp_ieee_overflow 0
		.amdhsa_exception_fp_ieee_underflow 0
		.amdhsa_exception_fp_ieee_inexact 0
		.amdhsa_exception_int_div_zero 0
	.end_amdhsa_kernel
	.section	.text._ZN9rocsparseL18bsrxmvn_3x3_kernelILj256ELj32EflifffEEvT3_20rocsparse_direction_NS_24const_host_device_scalarIT1_EES1_PKS1_PKT2_SA_S7_PKT4_PKT5_S5_PT6_21rocsparse_index_base_b,"axG",@progbits,_ZN9rocsparseL18bsrxmvn_3x3_kernelILj256ELj32EflifffEEvT3_20rocsparse_direction_NS_24const_host_device_scalarIT1_EES1_PKS1_PKT2_SA_S7_PKT4_PKT5_S5_PT6_21rocsparse_index_base_b,comdat
.Lfunc_end23:
	.size	_ZN9rocsparseL18bsrxmvn_3x3_kernelILj256ELj32EflifffEEvT3_20rocsparse_direction_NS_24const_host_device_scalarIT1_EES1_PKS1_PKT2_SA_S7_PKT4_PKT5_S5_PT6_21rocsparse_index_base_b, .Lfunc_end23-_ZN9rocsparseL18bsrxmvn_3x3_kernelILj256ELj32EflifffEEvT3_20rocsparse_direction_NS_24const_host_device_scalarIT1_EES1_PKS1_PKT2_SA_S7_PKT4_PKT5_S5_PT6_21rocsparse_index_base_b
                                        ; -- End function
	.set _ZN9rocsparseL18bsrxmvn_3x3_kernelILj256ELj32EflifffEEvT3_20rocsparse_direction_NS_24const_host_device_scalarIT1_EES1_PKS1_PKT2_SA_S7_PKT4_PKT5_S5_PT6_21rocsparse_index_base_b.num_vgpr, 29
	.set _ZN9rocsparseL18bsrxmvn_3x3_kernelILj256ELj32EflifffEEvT3_20rocsparse_direction_NS_24const_host_device_scalarIT1_EES1_PKS1_PKT2_SA_S7_PKT4_PKT5_S5_PT6_21rocsparse_index_base_b.num_agpr, 0
	.set _ZN9rocsparseL18bsrxmvn_3x3_kernelILj256ELj32EflifffEEvT3_20rocsparse_direction_NS_24const_host_device_scalarIT1_EES1_PKS1_PKT2_SA_S7_PKT4_PKT5_S5_PT6_21rocsparse_index_base_b.numbered_sgpr, 18
	.set _ZN9rocsparseL18bsrxmvn_3x3_kernelILj256ELj32EflifffEEvT3_20rocsparse_direction_NS_24const_host_device_scalarIT1_EES1_PKS1_PKT2_SA_S7_PKT4_PKT5_S5_PT6_21rocsparse_index_base_b.num_named_barrier, 0
	.set _ZN9rocsparseL18bsrxmvn_3x3_kernelILj256ELj32EflifffEEvT3_20rocsparse_direction_NS_24const_host_device_scalarIT1_EES1_PKS1_PKT2_SA_S7_PKT4_PKT5_S5_PT6_21rocsparse_index_base_b.private_seg_size, 0
	.set _ZN9rocsparseL18bsrxmvn_3x3_kernelILj256ELj32EflifffEEvT3_20rocsparse_direction_NS_24const_host_device_scalarIT1_EES1_PKS1_PKT2_SA_S7_PKT4_PKT5_S5_PT6_21rocsparse_index_base_b.uses_vcc, 1
	.set _ZN9rocsparseL18bsrxmvn_3x3_kernelILj256ELj32EflifffEEvT3_20rocsparse_direction_NS_24const_host_device_scalarIT1_EES1_PKS1_PKT2_SA_S7_PKT4_PKT5_S5_PT6_21rocsparse_index_base_b.uses_flat_scratch, 0
	.set _ZN9rocsparseL18bsrxmvn_3x3_kernelILj256ELj32EflifffEEvT3_20rocsparse_direction_NS_24const_host_device_scalarIT1_EES1_PKS1_PKT2_SA_S7_PKT4_PKT5_S5_PT6_21rocsparse_index_base_b.has_dyn_sized_stack, 0
	.set _ZN9rocsparseL18bsrxmvn_3x3_kernelILj256ELj32EflifffEEvT3_20rocsparse_direction_NS_24const_host_device_scalarIT1_EES1_PKS1_PKT2_SA_S7_PKT4_PKT5_S5_PT6_21rocsparse_index_base_b.has_recursion, 0
	.set _ZN9rocsparseL18bsrxmvn_3x3_kernelILj256ELj32EflifffEEvT3_20rocsparse_direction_NS_24const_host_device_scalarIT1_EES1_PKS1_PKT2_SA_S7_PKT4_PKT5_S5_PT6_21rocsparse_index_base_b.has_indirect_call, 0
	.section	.AMDGPU.csdata,"",@progbits
; Kernel info:
; codeLenInByte = 1868
; TotalNumSgprs: 20
; NumVgprs: 29
; ScratchSize: 0
; MemoryBound: 0
; FloatMode: 240
; IeeeMode: 1
; LDSByteSize: 0 bytes/workgroup (compile time only)
; SGPRBlocks: 0
; VGPRBlocks: 3
; NumSGPRsForWavesPerEU: 20
; NumVGPRsForWavesPerEU: 29
; Occupancy: 16
; WaveLimiterHint : 1
; COMPUTE_PGM_RSRC2:SCRATCH_EN: 0
; COMPUTE_PGM_RSRC2:USER_SGPR: 2
; COMPUTE_PGM_RSRC2:TRAP_HANDLER: 0
; COMPUTE_PGM_RSRC2:TGID_X_EN: 1
; COMPUTE_PGM_RSRC2:TGID_Y_EN: 0
; COMPUTE_PGM_RSRC2:TGID_Z_EN: 0
; COMPUTE_PGM_RSRC2:TIDIG_COMP_CNT: 0
	.section	.text._ZN9rocsparseL18bsrxmvn_3x3_kernelILj256ELj64EflifffEEvT3_20rocsparse_direction_NS_24const_host_device_scalarIT1_EES1_PKS1_PKT2_SA_S7_PKT4_PKT5_S5_PT6_21rocsparse_index_base_b,"axG",@progbits,_ZN9rocsparseL18bsrxmvn_3x3_kernelILj256ELj64EflifffEEvT3_20rocsparse_direction_NS_24const_host_device_scalarIT1_EES1_PKS1_PKT2_SA_S7_PKT4_PKT5_S5_PT6_21rocsparse_index_base_b,comdat
	.globl	_ZN9rocsparseL18bsrxmvn_3x3_kernelILj256ELj64EflifffEEvT3_20rocsparse_direction_NS_24const_host_device_scalarIT1_EES1_PKS1_PKT2_SA_S7_PKT4_PKT5_S5_PT6_21rocsparse_index_base_b ; -- Begin function _ZN9rocsparseL18bsrxmvn_3x3_kernelILj256ELj64EflifffEEvT3_20rocsparse_direction_NS_24const_host_device_scalarIT1_EES1_PKS1_PKT2_SA_S7_PKT4_PKT5_S5_PT6_21rocsparse_index_base_b
	.p2align	8
	.type	_ZN9rocsparseL18bsrxmvn_3x3_kernelILj256ELj64EflifffEEvT3_20rocsparse_direction_NS_24const_host_device_scalarIT1_EES1_PKS1_PKT2_SA_S7_PKT4_PKT5_S5_PT6_21rocsparse_index_base_b,@function
_ZN9rocsparseL18bsrxmvn_3x3_kernelILj256ELj64EflifffEEvT3_20rocsparse_direction_NS_24const_host_device_scalarIT1_EES1_PKS1_PKT2_SA_S7_PKT4_PKT5_S5_PT6_21rocsparse_index_base_b: ; @_ZN9rocsparseL18bsrxmvn_3x3_kernelILj256ELj64EflifffEEvT3_20rocsparse_direction_NS_24const_host_device_scalarIT1_EES1_PKS1_PKT2_SA_S7_PKT4_PKT5_S5_PT6_21rocsparse_index_base_b
; %bb.0:
	s_clause 0x2
	s_load_b64 s[16:17], s[0:1], 0x58
	s_load_b64 s[14:15], s[0:1], 0x8
	;; [unrolled: 1-line block ×3, first 2 shown]
	s_wait_kmcnt 0x0
	s_bitcmp1_b32 s17, 0
	s_cselect_b32 s2, -1, 0
	s_delay_alu instid0(SALU_CYCLE_1)
	s_and_b32 vcc_lo, exec_lo, s2
	s_xor_b32 s2, s2, -1
	s_cbranch_vccnz .LBB24_2
; %bb.1:
	s_load_b32 s14, s[14:15], 0x0
.LBB24_2:
	s_and_not1_b32 vcc_lo, exec_lo, s2
	s_cbranch_vccnz .LBB24_4
; %bb.3:
	s_load_b32 s12, s[12:13], 0x0
.LBB24_4:
	s_wait_kmcnt 0x0
	s_cmp_neq_f32 s14, 0
	s_mov_b32 s6, 0
	s_cselect_b32 s2, -1, 0
	s_cmp_neq_f32 s12, 1.0
	s_cselect_b32 s3, -1, 0
	s_delay_alu instid0(SALU_CYCLE_1) | instskip(NEXT) | instid1(SALU_CYCLE_1)
	s_or_b32 s2, s2, s3
	s_and_not1_b32 vcc_lo, exec_lo, s2
	s_cbranch_vccnz .LBB24_10
; %bb.5:
	s_clause 0x1
	s_load_b64 s[4:5], s[0:1], 0x18
	s_load_b64 s[2:3], s[0:1], 0x0
	v_lshrrev_b32_e32 v1, 6, v0
	s_delay_alu instid0(VALU_DEP_1)
	v_lshl_or_b32 v1, ttmp9, 2, v1
	s_wait_kmcnt 0x0
	s_cmp_lg_u64 s[4:5], 0
	s_cbranch_scc0 .LBB24_11
; %bb.6:
	s_load_b32 s6, s[0:1], 0x10
	s_mov_b32 s7, 0
                                        ; implicit-def: $vgpr2
	s_wait_kmcnt 0x0
	v_cmp_gt_i32_e32 vcc_lo, s6, v1
	s_mov_b32 s6, 0
	s_and_saveexec_b32 s8, vcc_lo
	s_delay_alu instid0(SALU_CYCLE_1)
	s_xor_b32 s8, exec_lo, s8
	s_cbranch_execz .LBB24_8
; %bb.7:
	v_ashrrev_i32_e32 v2, 31, v1
	s_mov_b32 s6, exec_lo
	s_delay_alu instid0(VALU_DEP_1) | instskip(NEXT) | instid1(VALU_DEP_1)
	v_lshlrev_b64_e32 v[2:3], 2, v[1:2]
	v_add_co_u32 v2, vcc_lo, s4, v2
	s_delay_alu instid0(VALU_DEP_1)
	v_add_co_ci_u32_e64 v3, null, s5, v3, vcc_lo
	global_load_b32 v2, v[2:3], off
	s_wait_loadcnt 0x0
	v_subrev_nc_u32_e32 v2, s16, v2
.LBB24_8:
	s_or_b32 exec_lo, exec_lo, s8
	s_delay_alu instid0(SALU_CYCLE_1)
	s_and_b32 vcc_lo, exec_lo, s7
	s_wait_alu 0xfffe
	s_cbranch_vccz .LBB24_12
.LBB24_9:
	v_cmp_gt_i32_e32 vcc_lo, s2, v1
	s_and_not1_b32 s2, s6, exec_lo
	s_and_b32 s4, vcc_lo, exec_lo
	s_wait_alu 0xfffe
	s_or_b32 s6, s2, s4
	s_wait_alu 0xfffe
	s_and_saveexec_b32 s2, s6
	s_cbranch_execnz .LBB24_13
.LBB24_10:
	s_endpgm
.LBB24_11:
                                        ; implicit-def: $vgpr2
	s_cbranch_execnz .LBB24_9
.LBB24_12:
	v_mov_b32_e32 v1, v2
	s_and_saveexec_b32 s2, s6
	s_cbranch_execz .LBB24_10
.LBB24_13:
	s_load_b256 s[4:11], s[0:1], 0x20
	s_delay_alu instid0(VALU_DEP_1) | instskip(SKIP_2) | instid1(VALU_DEP_3)
	v_ashrrev_i32_e32 v2, 31, v1
	v_and_b32_e32 v0, 63, v0
	v_mov_b32_e32 v14, 0
	v_lshlrev_b64_e32 v[2:3], 3, v[1:2]
	s_wait_kmcnt 0x0
	s_delay_alu instid0(VALU_DEP_1) | instskip(SKIP_1) | instid1(VALU_DEP_2)
	v_add_co_u32 v4, vcc_lo, s4, v2
	s_wait_alu 0xfffd
	v_add_co_ci_u32_e64 v5, null, s5, v3, vcc_lo
	v_add_co_u32 v2, vcc_lo, s6, v2
	s_wait_alu 0xfffd
	v_add_co_ci_u32_e64 v3, null, s7, v3, vcc_lo
	global_load_b64 v[6:7], v[4:5], off
	v_add_co_u32 v4, vcc_lo, v4, 8
	s_wait_alu 0xfffd
	v_add_co_ci_u32_e64 v5, null, 0, v5, vcc_lo
	s_cmp_eq_u64 s[6:7], 0
	s_load_b64 s[4:5], s[0:1], 0x40
	s_cselect_b32 vcc_lo, -1, 0
	s_cmp_eq_u32 s3, 1
	s_wait_alu 0xfffe
	v_dual_cndmask_b32 v3, v3, v5 :: v_dual_cndmask_b32 v2, v2, v4
	global_load_b64 v[8:9], v[2:3], off
	s_wait_loadcnt 0x1
	v_sub_co_u32 v2, vcc_lo, v6, s16
	s_wait_alu 0xfffd
	v_subrev_co_ci_u32_e64 v3, null, 0, v7, vcc_lo
	s_delay_alu instid0(VALU_DEP_2) | instskip(SKIP_1) | instid1(VALU_DEP_2)
	v_add_co_u32 v2, vcc_lo, v2, v0
	s_wait_alu 0xfffd
	v_add_co_ci_u32_e64 v3, null, 0, v3, vcc_lo
	s_delay_alu instid0(VALU_DEP_2) | instskip(NEXT) | instid1(VALU_DEP_1)
	v_mad_co_u64_u32 v[4:5], null, v2, 36, s[10:11]
	v_mad_co_u64_u32 v[5:6], null, v3, 36, v[5:6]
	s_wait_loadcnt 0x0
	v_sub_co_u32 v6, vcc_lo, v8, s16
	s_wait_alu 0xfffd
	v_subrev_co_ci_u32_e64 v7, null, 0, v9, vcc_lo
	s_delay_alu instid0(VALU_DEP_1)
	v_cmp_lt_i64_e64 s2, v[2:3], v[6:7]
	s_cbranch_scc1 .LBB24_19
; %bb.14:
	v_dual_mov_b32 v15, 0 :: v_dual_mov_b32 v16, 0
	s_and_saveexec_b32 s6, s2
	s_cbranch_execz .LBB24_18
; %bb.15:
	v_lshlrev_b64_e32 v[10:11], 2, v[2:3]
	v_dual_mov_b32 v14, 0 :: v_dual_mov_b32 v9, v5
	v_dual_mov_b32 v8, v4 :: v_dual_mov_b32 v13, v3
	;; [unrolled: 1-line block ×3, first 2 shown]
	s_delay_alu instid0(VALU_DEP_4)
	v_add_co_u32 v10, vcc_lo, s8, v10
	s_wait_alu 0xfffd
	v_add_co_ci_u32_e64 v11, null, s9, v11, vcc_lo
	v_mov_b32_e32 v16, 0
	s_mov_b32 s7, 0
.LBB24_16:                              ; =>This Inner Loop Header: Depth=1
	global_load_b32 v21, v[10:11], off
	global_load_b128 v[17:20], v[8:9], off offset:16
	s_wait_loadcnt 0x1
	v_subrev_nc_u32_e32 v21, s16, v21
	s_delay_alu instid0(VALU_DEP_1) | instskip(NEXT) | instid1(VALU_DEP_1)
	v_lshl_add_u32 v21, v21, 1, v21
	v_ashrrev_i32_e32 v22, 31, v21
	s_delay_alu instid0(VALU_DEP_1) | instskip(SKIP_1) | instid1(VALU_DEP_1)
	v_lshlrev_b64_e32 v[21:22], 2, v[21:22]
	s_wait_kmcnt 0x0
	v_add_co_u32 v25, vcc_lo, s4, v21
	s_wait_alu 0xfffd
	s_delay_alu instid0(VALU_DEP_2)
	v_add_co_ci_u32_e64 v26, null, s5, v22, vcc_lo
	global_load_b128 v[21:24], v[8:9], off
	global_load_b96 v[25:27], v[25:26], off
	global_load_b32 v28, v[8:9], off offset:32
	v_add_co_u32 v8, vcc_lo, 0x900, v8
	s_wait_alu 0xfffd
	v_add_co_ci_u32_e64 v9, null, 0, v9, vcc_lo
	v_add_co_u32 v12, vcc_lo, v12, 64
	s_wait_alu 0xfffd
	v_add_co_ci_u32_e64 v13, null, 0, v13, vcc_lo
	v_add_co_u32 v10, vcc_lo, 0x100, v10
	s_wait_alu 0xfffd
	v_add_co_ci_u32_e64 v11, null, 0, v11, vcc_lo
	s_delay_alu instid0(VALU_DEP_3) | instskip(SKIP_4) | instid1(VALU_DEP_1)
	v_cmp_ge_i64_e64 s3, v[12:13], v[6:7]
	s_wait_alu 0xfffe
	s_or_b32 s7, s3, s7
	s_wait_loadcnt 0x1
	v_fmac_f32_e32 v15, v24, v25
	v_dual_fmac_f32 v14, v19, v25 :: v_dual_fmac_f32 v15, v17, v26
	v_fmac_f32_e32 v16, v21, v25
	s_delay_alu instid0(VALU_DEP_2) | instskip(NEXT) | instid1(VALU_DEP_2)
	v_dual_fmac_f32 v14, v20, v26 :: v_dual_fmac_f32 v15, v18, v27
	v_fmac_f32_e32 v16, v22, v26
	s_wait_loadcnt 0x0
	s_delay_alu instid0(VALU_DEP_2) | instskip(NEXT) | instid1(VALU_DEP_2)
	v_fmac_f32_e32 v14, v28, v27
	v_fmac_f32_e32 v16, v23, v27
	s_wait_alu 0xfffe
	s_and_not1_b32 exec_lo, exec_lo, s7
	s_cbranch_execnz .LBB24_16
; %bb.17:
	s_or_b32 exec_lo, exec_lo, s7
.LBB24_18:
	s_wait_alu 0xfffe
	s_or_b32 exec_lo, exec_lo, s6
	s_cbranch_execz .LBB24_20
	s_branch .LBB24_25
.LBB24_19:
                                        ; implicit-def: $vgpr14
                                        ; implicit-def: $vgpr15
                                        ; implicit-def: $vgpr16
.LBB24_20:
	v_dual_mov_b32 v14, 0 :: v_dual_mov_b32 v15, 0
	v_mov_b32_e32 v16, 0
	s_and_saveexec_b32 s3, s2
	s_cbranch_execz .LBB24_24
; %bb.21:
	v_lshlrev_b64_e32 v[8:9], 2, v[2:3]
	v_dual_mov_b32 v14, 0 :: v_dual_mov_b32 v15, 0
	v_mov_b32_e32 v16, 0
	s_mov_b32 s6, 0
	s_delay_alu instid0(VALU_DEP_3)
	v_add_co_u32 v8, vcc_lo, s8, v8
	s_wait_alu 0xfffd
	v_add_co_ci_u32_e64 v9, null, s9, v9, vcc_lo
.LBB24_22:                              ; =>This Inner Loop Header: Depth=1
	global_load_b32 v17, v[8:9], off
	global_load_b128 v[10:13], v[4:5], off offset:16
	s_wait_loadcnt 0x1
	v_subrev_nc_u32_e32 v17, s16, v17
	s_delay_alu instid0(VALU_DEP_1) | instskip(NEXT) | instid1(VALU_DEP_1)
	v_lshl_add_u32 v17, v17, 1, v17
	v_ashrrev_i32_e32 v18, 31, v17
	s_delay_alu instid0(VALU_DEP_1) | instskip(SKIP_1) | instid1(VALU_DEP_1)
	v_lshlrev_b64_e32 v[17:18], 2, v[17:18]
	s_wait_kmcnt 0x0
	v_add_co_u32 v21, vcc_lo, s4, v17
	s_wait_alu 0xfffd
	s_delay_alu instid0(VALU_DEP_2)
	v_add_co_ci_u32_e64 v22, null, s5, v18, vcc_lo
	global_load_b128 v[17:20], v[4:5], off
	global_load_b96 v[21:23], v[21:22], off
	global_load_b32 v24, v[4:5], off offset:32
	v_add_co_u32 v4, vcc_lo, 0x900, v4
	s_wait_alu 0xfffd
	v_add_co_ci_u32_e64 v5, null, 0, v5, vcc_lo
	v_add_co_u32 v2, vcc_lo, v2, 64
	s_wait_alu 0xfffd
	v_add_co_ci_u32_e64 v3, null, 0, v3, vcc_lo
	;; [unrolled: 3-line block ×3, first 2 shown]
	s_delay_alu instid0(VALU_DEP_3) | instskip(SKIP_4) | instid1(VALU_DEP_1)
	v_cmp_ge_i64_e64 s2, v[2:3], v[6:7]
	s_wait_alu 0xfffe
	s_or_b32 s6, s2, s6
	s_wait_loadcnt 0x1
	v_fmac_f32_e32 v15, v18, v21
	v_dual_fmac_f32 v16, v17, v21 :: v_dual_fmac_f32 v15, v10, v22
	v_fmac_f32_e32 v14, v19, v21
	s_delay_alu instid0(VALU_DEP_2) | instskip(NEXT) | instid1(VALU_DEP_2)
	v_dual_fmac_f32 v16, v20, v22 :: v_dual_fmac_f32 v15, v13, v23
	v_fmac_f32_e32 v14, v11, v22
	s_delay_alu instid0(VALU_DEP_2) | instskip(SKIP_1) | instid1(VALU_DEP_2)
	v_fmac_f32_e32 v16, v12, v23
	s_wait_loadcnt 0x0
	v_fmac_f32_e32 v14, v24, v23
	s_wait_alu 0xfffe
	s_and_not1_b32 exec_lo, exec_lo, s6
	s_cbranch_execnz .LBB24_22
; %bb.23:
	s_or_b32 exec_lo, exec_lo, s6
.LBB24_24:
	s_wait_alu 0xfffe
	s_or_b32 exec_lo, exec_lo, s3
.LBB24_25:
	v_mbcnt_lo_u32_b32 v2, -1, 0
	s_mov_b32 s2, -1
	s_delay_alu instid0(VALU_DEP_1) | instskip(SKIP_2) | instid1(VALU_DEP_3)
	v_or_b32_e32 v3, 32, v2
	v_xor_b32_e32 v6, 16, v2
	v_xor_b32_e32 v9, 8, v2
	v_cmp_gt_i32_e32 vcc_lo, 32, v3
	s_wait_alu 0xfffd
	v_cndmask_b32_e32 v3, v2, v3, vcc_lo
	v_cmp_gt_i32_e32 vcc_lo, 32, v6
	s_wait_alu 0xfffd
	v_cndmask_b32_e32 v6, v2, v6, vcc_lo
	v_cmp_gt_i32_e32 vcc_lo, 32, v9
	s_delay_alu instid0(VALU_DEP_2)
	v_lshlrev_b32_e32 v6, 2, v6
	v_lshlrev_b32_e32 v3, 2, v3
	ds_bpermute_b32 v4, v3, v16
	s_wait_dscnt 0x0
	v_add_f32_e32 v4, v16, v4
	ds_bpermute_b32 v5, v3, v15
	ds_bpermute_b32 v3, v3, v14
	;; [unrolled: 1-line block ×3, first 2 shown]
	s_wait_alu 0xfffd
	v_cndmask_b32_e32 v9, v2, v9, vcc_lo
	s_wait_dscnt 0x0
	v_dual_add_f32 v5, v15, v5 :: v_dual_add_f32 v4, v4, v7
	v_add_f32_e32 v3, v14, v3
	ds_bpermute_b32 v8, v6, v5
	v_lshlrev_b32_e32 v9, 2, v9
	ds_bpermute_b32 v6, v6, v3
	s_wait_dscnt 0x1
	v_add_f32_e32 v5, v5, v8
	s_wait_dscnt 0x0
	v_add_f32_e32 v3, v3, v6
	ds_bpermute_b32 v6, v9, v4
	ds_bpermute_b32 v7, v9, v5
	;; [unrolled: 1-line block ×3, first 2 shown]
	v_xor_b32_e32 v9, 4, v2
	s_delay_alu instid0(VALU_DEP_1)
	v_cmp_gt_i32_e32 vcc_lo, 32, v9
	s_wait_dscnt 0x1
	v_dual_add_f32 v4, v4, v6 :: v_dual_add_f32 v5, v5, v7
	s_wait_dscnt 0x0
	v_add_f32_e32 v3, v3, v8
	s_wait_alu 0xfffd
	v_cndmask_b32_e32 v9, v2, v9, vcc_lo
	s_delay_alu instid0(VALU_DEP_1) | instskip(SKIP_4) | instid1(VALU_DEP_1)
	v_lshlrev_b32_e32 v9, 2, v9
	ds_bpermute_b32 v6, v9, v4
	ds_bpermute_b32 v7, v9, v5
	;; [unrolled: 1-line block ×3, first 2 shown]
	v_xor_b32_e32 v9, 2, v2
	v_cmp_gt_i32_e32 vcc_lo, 32, v9
	s_wait_alu 0xfffd
	v_cndmask_b32_e32 v9, v2, v9, vcc_lo
	s_wait_dscnt 0x2
	s_delay_alu instid0(VALU_DEP_1)
	v_dual_add_f32 v4, v4, v6 :: v_dual_lshlrev_b32 v9, 2, v9
	s_wait_dscnt 0x0
	v_dual_add_f32 v5, v5, v7 :: v_dual_add_f32 v6, v3, v8
	ds_bpermute_b32 v3, v9, v4
	ds_bpermute_b32 v7, v9, v5
	;; [unrolled: 1-line block ×3, first 2 shown]
	v_xor_b32_e32 v9, 1, v2
	s_delay_alu instid0(VALU_DEP_1) | instskip(SKIP_4) | instid1(VALU_DEP_2)
	v_cmp_gt_i32_e32 vcc_lo, 32, v9
	s_wait_alu 0xfffd
	v_cndmask_b32_e32 v2, v2, v9, vcc_lo
	v_cmp_eq_u32_e32 vcc_lo, 63, v0
	s_wait_dscnt 0x2
	v_dual_add_f32 v2, v4, v3 :: v_dual_lshlrev_b32 v9, 2, v2
	s_wait_dscnt 0x0
	v_dual_add_f32 v3, v5, v7 :: v_dual_add_f32 v4, v6, v8
	ds_bpermute_b32 v5, v9, v2
	ds_bpermute_b32 v6, v9, v3
	;; [unrolled: 1-line block ×3, first 2 shown]
	s_and_b32 exec_lo, exec_lo, vcc_lo
	s_cbranch_execz .LBB24_10
; %bb.26:
	s_load_b64 s[0:1], s[0:1], 0x50
	s_wait_dscnt 0x2
	v_add_f32_e32 v0, v2, v5
	s_wait_dscnt 0x1
	v_add_f32_e32 v2, v3, v6
	;; [unrolled: 2-line block ×3, first 2 shown]
	v_lshl_add_u32 v3, v1, 1, v1
	s_cmp_eq_f32 s12, 0
	v_dual_mul_f32 v1, s14, v2 :: v_dual_mul_f32 v0, s14, v0
	s_delay_alu instid0(VALU_DEP_3) | instskip(NEXT) | instid1(VALU_DEP_3)
	v_mul_f32_e32 v2, s14, v4
	v_ashrrev_i32_e32 v4, 31, v3
	s_cbranch_scc0 .LBB24_28
; %bb.27:
	s_delay_alu instid0(VALU_DEP_1) | instskip(SKIP_2) | instid1(VALU_DEP_1)
	v_lshlrev_b64_e32 v[5:6], 2, v[3:4]
	s_mov_b32 s2, 0
	s_wait_kmcnt 0x0
	v_add_co_u32 v5, vcc_lo, s0, v5
	s_wait_alu 0xfffd
	s_delay_alu instid0(VALU_DEP_2)
	v_add_co_ci_u32_e64 v6, null, s1, v6, vcc_lo
	global_store_b96 v[5:6], v[0:2], off
.LBB24_28:
	s_wait_alu 0xfffe
	s_and_not1_b32 vcc_lo, exec_lo, s2
	s_wait_alu 0xfffe
	s_cbranch_vccnz .LBB24_10
; %bb.29:
	v_lshlrev_b64_e32 v[3:4], 2, v[3:4]
	s_wait_kmcnt 0x0
	s_delay_alu instid0(VALU_DEP_1) | instskip(SKIP_1) | instid1(VALU_DEP_2)
	v_add_co_u32 v6, vcc_lo, s0, v3
	s_wait_alu 0xfffd
	v_add_co_ci_u32_e64 v7, null, s1, v4, vcc_lo
	global_load_b96 v[3:5], v[6:7], off
	s_wait_loadcnt 0x0
	v_dual_fmac_f32 v0, s12, v3 :: v_dual_fmac_f32 v1, s12, v4
	v_fmac_f32_e32 v2, s12, v5
	global_store_b96 v[6:7], v[0:2], off
	s_endpgm
	.section	.rodata,"a",@progbits
	.p2align	6, 0x0
	.amdhsa_kernel _ZN9rocsparseL18bsrxmvn_3x3_kernelILj256ELj64EflifffEEvT3_20rocsparse_direction_NS_24const_host_device_scalarIT1_EES1_PKS1_PKT2_SA_S7_PKT4_PKT5_S5_PT6_21rocsparse_index_base_b
		.amdhsa_group_segment_fixed_size 0
		.amdhsa_private_segment_fixed_size 0
		.amdhsa_kernarg_size 96
		.amdhsa_user_sgpr_count 2
		.amdhsa_user_sgpr_dispatch_ptr 0
		.amdhsa_user_sgpr_queue_ptr 0
		.amdhsa_user_sgpr_kernarg_segment_ptr 1
		.amdhsa_user_sgpr_dispatch_id 0
		.amdhsa_user_sgpr_private_segment_size 0
		.amdhsa_wavefront_size32 1
		.amdhsa_uses_dynamic_stack 0
		.amdhsa_enable_private_segment 0
		.amdhsa_system_sgpr_workgroup_id_x 1
		.amdhsa_system_sgpr_workgroup_id_y 0
		.amdhsa_system_sgpr_workgroup_id_z 0
		.amdhsa_system_sgpr_workgroup_info 0
		.amdhsa_system_vgpr_workitem_id 0
		.amdhsa_next_free_vgpr 29
		.amdhsa_next_free_sgpr 18
		.amdhsa_reserve_vcc 1
		.amdhsa_float_round_mode_32 0
		.amdhsa_float_round_mode_16_64 0
		.amdhsa_float_denorm_mode_32 3
		.amdhsa_float_denorm_mode_16_64 3
		.amdhsa_fp16_overflow 0
		.amdhsa_workgroup_processor_mode 1
		.amdhsa_memory_ordered 1
		.amdhsa_forward_progress 1
		.amdhsa_inst_pref_size 16
		.amdhsa_round_robin_scheduling 0
		.amdhsa_exception_fp_ieee_invalid_op 0
		.amdhsa_exception_fp_denorm_src 0
		.amdhsa_exception_fp_ieee_div_zero 0
		.amdhsa_exception_fp_ieee_overflow 0
		.amdhsa_exception_fp_ieee_underflow 0
		.amdhsa_exception_fp_ieee_inexact 0
		.amdhsa_exception_int_div_zero 0
	.end_amdhsa_kernel
	.section	.text._ZN9rocsparseL18bsrxmvn_3x3_kernelILj256ELj64EflifffEEvT3_20rocsparse_direction_NS_24const_host_device_scalarIT1_EES1_PKS1_PKT2_SA_S7_PKT4_PKT5_S5_PT6_21rocsparse_index_base_b,"axG",@progbits,_ZN9rocsparseL18bsrxmvn_3x3_kernelILj256ELj64EflifffEEvT3_20rocsparse_direction_NS_24const_host_device_scalarIT1_EES1_PKS1_PKT2_SA_S7_PKT4_PKT5_S5_PT6_21rocsparse_index_base_b,comdat
.Lfunc_end24:
	.size	_ZN9rocsparseL18bsrxmvn_3x3_kernelILj256ELj64EflifffEEvT3_20rocsparse_direction_NS_24const_host_device_scalarIT1_EES1_PKS1_PKT2_SA_S7_PKT4_PKT5_S5_PT6_21rocsparse_index_base_b, .Lfunc_end24-_ZN9rocsparseL18bsrxmvn_3x3_kernelILj256ELj64EflifffEEvT3_20rocsparse_direction_NS_24const_host_device_scalarIT1_EES1_PKS1_PKT2_SA_S7_PKT4_PKT5_S5_PT6_21rocsparse_index_base_b
                                        ; -- End function
	.set _ZN9rocsparseL18bsrxmvn_3x3_kernelILj256ELj64EflifffEEvT3_20rocsparse_direction_NS_24const_host_device_scalarIT1_EES1_PKS1_PKT2_SA_S7_PKT4_PKT5_S5_PT6_21rocsparse_index_base_b.num_vgpr, 29
	.set _ZN9rocsparseL18bsrxmvn_3x3_kernelILj256ELj64EflifffEEvT3_20rocsparse_direction_NS_24const_host_device_scalarIT1_EES1_PKS1_PKT2_SA_S7_PKT4_PKT5_S5_PT6_21rocsparse_index_base_b.num_agpr, 0
	.set _ZN9rocsparseL18bsrxmvn_3x3_kernelILj256ELj64EflifffEEvT3_20rocsparse_direction_NS_24const_host_device_scalarIT1_EES1_PKS1_PKT2_SA_S7_PKT4_PKT5_S5_PT6_21rocsparse_index_base_b.numbered_sgpr, 18
	.set _ZN9rocsparseL18bsrxmvn_3x3_kernelILj256ELj64EflifffEEvT3_20rocsparse_direction_NS_24const_host_device_scalarIT1_EES1_PKS1_PKT2_SA_S7_PKT4_PKT5_S5_PT6_21rocsparse_index_base_b.num_named_barrier, 0
	.set _ZN9rocsparseL18bsrxmvn_3x3_kernelILj256ELj64EflifffEEvT3_20rocsparse_direction_NS_24const_host_device_scalarIT1_EES1_PKS1_PKT2_SA_S7_PKT4_PKT5_S5_PT6_21rocsparse_index_base_b.private_seg_size, 0
	.set _ZN9rocsparseL18bsrxmvn_3x3_kernelILj256ELj64EflifffEEvT3_20rocsparse_direction_NS_24const_host_device_scalarIT1_EES1_PKS1_PKT2_SA_S7_PKT4_PKT5_S5_PT6_21rocsparse_index_base_b.uses_vcc, 1
	.set _ZN9rocsparseL18bsrxmvn_3x3_kernelILj256ELj64EflifffEEvT3_20rocsparse_direction_NS_24const_host_device_scalarIT1_EES1_PKS1_PKT2_SA_S7_PKT4_PKT5_S5_PT6_21rocsparse_index_base_b.uses_flat_scratch, 0
	.set _ZN9rocsparseL18bsrxmvn_3x3_kernelILj256ELj64EflifffEEvT3_20rocsparse_direction_NS_24const_host_device_scalarIT1_EES1_PKS1_PKT2_SA_S7_PKT4_PKT5_S5_PT6_21rocsparse_index_base_b.has_dyn_sized_stack, 0
	.set _ZN9rocsparseL18bsrxmvn_3x3_kernelILj256ELj64EflifffEEvT3_20rocsparse_direction_NS_24const_host_device_scalarIT1_EES1_PKS1_PKT2_SA_S7_PKT4_PKT5_S5_PT6_21rocsparse_index_base_b.has_recursion, 0
	.set _ZN9rocsparseL18bsrxmvn_3x3_kernelILj256ELj64EflifffEEvT3_20rocsparse_direction_NS_24const_host_device_scalarIT1_EES1_PKS1_PKT2_SA_S7_PKT4_PKT5_S5_PT6_21rocsparse_index_base_b.has_indirect_call, 0
	.section	.AMDGPU.csdata,"",@progbits
; Kernel info:
; codeLenInByte = 1936
; TotalNumSgprs: 20
; NumVgprs: 29
; ScratchSize: 0
; MemoryBound: 0
; FloatMode: 240
; IeeeMode: 1
; LDSByteSize: 0 bytes/workgroup (compile time only)
; SGPRBlocks: 0
; VGPRBlocks: 3
; NumSGPRsForWavesPerEU: 20
; NumVGPRsForWavesPerEU: 29
; Occupancy: 16
; WaveLimiterHint : 1
; COMPUTE_PGM_RSRC2:SCRATCH_EN: 0
; COMPUTE_PGM_RSRC2:USER_SGPR: 2
; COMPUTE_PGM_RSRC2:TRAP_HANDLER: 0
; COMPUTE_PGM_RSRC2:TGID_X_EN: 1
; COMPUTE_PGM_RSRC2:TGID_Y_EN: 0
; COMPUTE_PGM_RSRC2:TGID_Z_EN: 0
; COMPUTE_PGM_RSRC2:TIDIG_COMP_CNT: 0
	.section	.text._ZN9rocsparseL18bsrxmvn_3x3_kernelILj256ELj4EdlidddEEvT3_20rocsparse_direction_NS_24const_host_device_scalarIT1_EES1_PKS1_PKT2_SA_S7_PKT4_PKT5_S5_PT6_21rocsparse_index_base_b,"axG",@progbits,_ZN9rocsparseL18bsrxmvn_3x3_kernelILj256ELj4EdlidddEEvT3_20rocsparse_direction_NS_24const_host_device_scalarIT1_EES1_PKS1_PKT2_SA_S7_PKT4_PKT5_S5_PT6_21rocsparse_index_base_b,comdat
	.globl	_ZN9rocsparseL18bsrxmvn_3x3_kernelILj256ELj4EdlidddEEvT3_20rocsparse_direction_NS_24const_host_device_scalarIT1_EES1_PKS1_PKT2_SA_S7_PKT4_PKT5_S5_PT6_21rocsparse_index_base_b ; -- Begin function _ZN9rocsparseL18bsrxmvn_3x3_kernelILj256ELj4EdlidddEEvT3_20rocsparse_direction_NS_24const_host_device_scalarIT1_EES1_PKS1_PKT2_SA_S7_PKT4_PKT5_S5_PT6_21rocsparse_index_base_b
	.p2align	8
	.type	_ZN9rocsparseL18bsrxmvn_3x3_kernelILj256ELj4EdlidddEEvT3_20rocsparse_direction_NS_24const_host_device_scalarIT1_EES1_PKS1_PKT2_SA_S7_PKT4_PKT5_S5_PT6_21rocsparse_index_base_b,@function
_ZN9rocsparseL18bsrxmvn_3x3_kernelILj256ELj4EdlidddEEvT3_20rocsparse_direction_NS_24const_host_device_scalarIT1_EES1_PKS1_PKT2_SA_S7_PKT4_PKT5_S5_PT6_21rocsparse_index_base_b: ; @_ZN9rocsparseL18bsrxmvn_3x3_kernelILj256ELj4EdlidddEEvT3_20rocsparse_direction_NS_24const_host_device_scalarIT1_EES1_PKS1_PKT2_SA_S7_PKT4_PKT5_S5_PT6_21rocsparse_index_base_b
; %bb.0:
	s_clause 0x2
	s_load_b64 s[12:13], s[0:1], 0x58
	s_load_b64 s[4:5], s[0:1], 0x8
	s_load_b64 s[2:3], s[0:1], 0x48
	s_wait_kmcnt 0x0
	s_bitcmp1_b32 s13, 0
	v_dual_mov_b32 v7, s5 :: v_dual_mov_b32 v6, s4
	s_cselect_b32 s6, -1, 0
	s_delay_alu instid0(SALU_CYCLE_1)
	s_and_b32 vcc_lo, exec_lo, s6
	s_xor_b32 s6, s6, -1
	s_cbranch_vccnz .LBB25_2
; %bb.1:
	v_dual_mov_b32 v1, s4 :: v_dual_mov_b32 v2, s5
	flat_load_b64 v[6:7], v[1:2]
.LBB25_2:
	v_dual_mov_b32 v5, s3 :: v_dual_mov_b32 v4, s2
	s_and_not1_b32 vcc_lo, exec_lo, s6
	s_cbranch_vccnz .LBB25_4
; %bb.3:
	v_dual_mov_b32 v1, s2 :: v_dual_mov_b32 v2, s3
	flat_load_b64 v[4:5], v[1:2]
.LBB25_4:
	s_wait_loadcnt_dscnt 0x0
	v_cmp_neq_f64_e32 vcc_lo, 0, v[6:7]
	v_cmp_neq_f64_e64 s2, 1.0, v[4:5]
	s_or_b32 s2, vcc_lo, s2
	s_wait_alu 0xfffe
	s_and_saveexec_b32 s3, s2
	s_cbranch_execz .LBB25_10
; %bb.5:
	s_clause 0x1
	s_load_b64 s[4:5], s[0:1], 0x18
	s_load_b64 s[2:3], s[0:1], 0x0
	v_lshrrev_b32_e32 v1, 2, v0
	s_delay_alu instid0(VALU_DEP_1)
	v_lshl_or_b32 v8, ttmp9, 6, v1
	s_wait_kmcnt 0x0
	s_cmp_lg_u64 s[4:5], 0
	s_cbranch_scc0 .LBB25_11
; %bb.6:
	s_load_b32 s6, s[0:1], 0x10
	s_mov_b32 s7, 0
                                        ; implicit-def: $vgpr1
	s_wait_kmcnt 0x0
	v_cmp_gt_i32_e32 vcc_lo, s6, v8
	s_mov_b32 s6, 0
	s_and_saveexec_b32 s8, vcc_lo
	s_delay_alu instid0(SALU_CYCLE_1)
	s_xor_b32 s8, exec_lo, s8
	s_cbranch_execz .LBB25_8
; %bb.7:
	v_ashrrev_i32_e32 v9, 31, v8
	s_mov_b32 s6, exec_lo
	s_delay_alu instid0(VALU_DEP_1) | instskip(NEXT) | instid1(VALU_DEP_1)
	v_lshlrev_b64_e32 v[1:2], 2, v[8:9]
	v_add_co_u32 v1, vcc_lo, s4, v1
	s_delay_alu instid0(VALU_DEP_1)
	v_add_co_ci_u32_e64 v2, null, s5, v2, vcc_lo
	global_load_b32 v1, v[1:2], off
	s_wait_loadcnt 0x0
	v_subrev_nc_u32_e32 v1, s12, v1
.LBB25_8:
	s_or_b32 exec_lo, exec_lo, s8
	s_delay_alu instid0(SALU_CYCLE_1)
	s_and_b32 vcc_lo, exec_lo, s7
	s_wait_alu 0xfffe
	s_cbranch_vccz .LBB25_12
.LBB25_9:
	v_cmp_gt_i32_e32 vcc_lo, s2, v8
	s_and_not1_b32 s2, s6, exec_lo
	s_and_b32 s4, vcc_lo, exec_lo
	s_wait_alu 0xfffe
	s_or_b32 s6, s2, s4
	s_wait_alu 0xfffe
	s_and_b32 exec_lo, exec_lo, s6
	s_cbranch_execnz .LBB25_13
.LBB25_10:
	s_endpgm
.LBB25_11:
	s_mov_b32 s6, 0
                                        ; implicit-def: $vgpr1
	s_cbranch_execnz .LBB25_9
.LBB25_12:
	v_mov_b32_e32 v8, v1
	s_and_b32 exec_lo, exec_lo, s6
	s_cbranch_execz .LBB25_10
.LBB25_13:
	s_load_b256 s[4:11], s[0:1], 0x20
	s_delay_alu instid0(VALU_DEP_1) | instskip(SKIP_1) | instid1(VALU_DEP_2)
	v_ashrrev_i32_e32 v9, 31, v8
	v_and_b32_e32 v23, 3, v0
	v_lshlrev_b64_e32 v[1:2], 3, v[8:9]
	s_wait_kmcnt 0x0
	s_delay_alu instid0(VALU_DEP_1) | instskip(SKIP_1) | instid1(VALU_DEP_2)
	v_add_co_u32 v9, vcc_lo, s4, v1
	s_wait_alu 0xfffd
	v_add_co_ci_u32_e64 v10, null, s5, v2, vcc_lo
	v_add_co_u32 v1, vcc_lo, s6, v1
	s_wait_alu 0xfffd
	v_add_co_ci_u32_e64 v2, null, s7, v2, vcc_lo
	global_load_b64 v[11:12], v[9:10], off
	v_add_co_u32 v3, vcc_lo, v9, 8
	s_wait_alu 0xfffd
	v_add_co_ci_u32_e64 v9, null, 0, v10, vcc_lo
	s_cmp_eq_u64 s[6:7], 0
	s_load_b64 s[4:5], s[0:1], 0x40
	s_cselect_b32 vcc_lo, -1, 0
	s_cmp_eq_u32 s3, 1
	s_wait_alu 0xfffe
	v_dual_cndmask_b32 v2, v2, v9 :: v_dual_cndmask_b32 v1, v1, v3
	global_load_b64 v[13:14], v[1:2], off
	s_wait_loadcnt 0x1
	v_sub_co_u32 v0, vcc_lo, v11, s12
	s_wait_alu 0xfffd
	v_subrev_co_ci_u32_e64 v1, null, 0, v12, vcc_lo
	s_delay_alu instid0(VALU_DEP_2) | instskip(SKIP_1) | instid1(VALU_DEP_2)
	v_add_co_u32 v2, vcc_lo, v0, v23
	s_wait_alu 0xfffd
	v_add_co_ci_u32_e64 v3, null, 0, v1, vcc_lo
	s_delay_alu instid0(VALU_DEP_2) | instskip(SKIP_4) | instid1(VALU_DEP_3)
	v_mad_co_u64_u32 v[9:10], null, 0x48, v2, s[10:11]
	s_wait_loadcnt 0x0
	v_sub_co_u32 v11, vcc_lo, v13, s12
	s_wait_alu 0xfffd
	v_subrev_co_ci_u32_e64 v12, null, 0, v14, vcc_lo
	v_mov_b32_e32 v0, v10
	s_delay_alu instid0(VALU_DEP_2) | instskip(NEXT) | instid1(VALU_DEP_2)
	v_cmp_lt_i64_e64 s2, v[2:3], v[11:12]
	v_mad_co_u64_u32 v[0:1], null, 0x48, v3, v[0:1]
	s_delay_alu instid0(VALU_DEP_1)
	v_mov_b32_e32 v10, v0
	s_cbranch_scc1 .LBB25_19
; %bb.14:
	v_dual_mov_b32 v0, 0 :: v_dual_mov_b32 v13, 0
	v_mov_b32_e32 v15, 0
	v_dual_mov_b32 v1, 0 :: v_dual_mov_b32 v14, 0
	v_mov_b32_e32 v16, 0
	s_and_saveexec_b32 s6, s2
	s_cbranch_execz .LBB25_18
; %bb.15:
	v_lshlrev_b64_e32 v[13:14], 2, v[2:3]
	v_mov_b32_e32 v0, 0
	v_dual_mov_b32 v1, 0 :: v_dual_mov_b32 v18, v10
	v_dual_mov_b32 v17, v9 :: v_dual_mov_b32 v22, v3
	v_mov_b32_e32 v21, v2
	v_add_co_u32 v19, vcc_lo, s8, v13
	s_wait_alu 0xfffd
	v_add_co_ci_u32_e64 v20, null, s9, v14, vcc_lo
	v_mov_b32_e32 v13, 0
	v_dual_mov_b32 v14, 0 :: v_dual_mov_b32 v15, 0
	v_mov_b32_e32 v16, 0
	s_mov_b32 s7, 0
.LBB25_16:                              ; =>This Inner Loop Header: Depth=1
	global_load_b32 v28, v[19:20], off
	global_load_b128 v[24:27], v[17:18], off offset:48
	v_add_co_u32 v19, s3, v19, 16
	s_wait_alu 0xf1ff
	v_add_co_ci_u32_e64 v20, null, 0, v20, s3
	s_wait_loadcnt 0x1
	v_subrev_nc_u32_e32 v28, s12, v28
	s_delay_alu instid0(VALU_DEP_1) | instskip(NEXT) | instid1(VALU_DEP_1)
	v_lshl_add_u32 v28, v28, 1, v28
	v_ashrrev_i32_e32 v29, 31, v28
	s_delay_alu instid0(VALU_DEP_1) | instskip(SKIP_1) | instid1(VALU_DEP_1)
	v_lshlrev_b64_e32 v[28:29], 3, v[28:29]
	s_wait_kmcnt 0x0
	v_add_co_u32 v40, vcc_lo, s4, v28
	s_wait_alu 0xfffd
	s_delay_alu instid0(VALU_DEP_2)
	v_add_co_ci_u32_e64 v41, null, s5, v29, vcc_lo
	v_add_co_u32 v21, vcc_lo, v21, 4
	s_clause 0x1
	global_load_b128 v[28:31], v[17:18], off offset:16
	global_load_b128 v[32:35], v[17:18], off
	s_clause 0x1
	global_load_b128 v[36:39], v[40:41], off
	global_load_b64 v[44:45], v[40:41], off offset:16
	s_clause 0x1
	global_load_b128 v[40:43], v[17:18], off offset:32
	global_load_b64 v[46:47], v[17:18], off offset:64
	s_wait_alu 0xfffd
	v_add_co_ci_u32_e64 v22, null, 0, v22, vcc_lo
	v_add_co_u32 v17, vcc_lo, 0x120, v17
	s_wait_alu 0xfffd
	v_add_co_ci_u32_e64 v18, null, 0, v18, vcc_lo
	s_delay_alu instid0(VALU_DEP_3)
	v_cmp_ge_i64_e32 vcc_lo, v[21:22], v[11:12]
	s_wait_alu 0xfffe
	s_or_b32 s7, vcc_lo, s7
	s_wait_loadcnt 0x3
	v_fma_f64 v[15:16], v[32:33], v[36:37], v[15:16]
	v_fma_f64 v[13:14], v[30:31], v[36:37], v[13:14]
	;; [unrolled: 1-line block ×3, first 2 shown]
	s_delay_alu instid0(VALU_DEP_3) | instskip(SKIP_1) | instid1(VALU_DEP_3)
	v_fma_f64 v[15:16], v[34:35], v[38:39], v[15:16]
	s_wait_loadcnt 0x1
	v_fma_f64 v[13:14], v[40:41], v[38:39], v[13:14]
	s_delay_alu instid0(VALU_DEP_3) | instskip(NEXT) | instid1(VALU_DEP_3)
	v_fma_f64 v[0:1], v[26:27], v[38:39], v[0:1]
	v_fma_f64 v[15:16], v[28:29], v[44:45], v[15:16]
	s_delay_alu instid0(VALU_DEP_3) | instskip(SKIP_1) | instid1(VALU_DEP_3)
	v_fma_f64 v[13:14], v[42:43], v[44:45], v[13:14]
	s_wait_loadcnt 0x0
	v_fma_f64 v[0:1], v[46:47], v[44:45], v[0:1]
	s_wait_alu 0xfffe
	s_and_not1_b32 exec_lo, exec_lo, s7
	s_cbranch_execnz .LBB25_16
; %bb.17:
	s_or_b32 exec_lo, exec_lo, s7
.LBB25_18:
	s_wait_alu 0xfffe
	s_or_b32 exec_lo, exec_lo, s6
	s_cbranch_execz .LBB25_20
	s_branch .LBB25_25
.LBB25_19:
                                        ; implicit-def: $vgpr0_vgpr1
                                        ; implicit-def: $vgpr13_vgpr14
                                        ; implicit-def: $vgpr15_vgpr16
.LBB25_20:
	v_dual_mov_b32 v0, 0 :: v_dual_mov_b32 v13, 0
	v_mov_b32_e32 v15, 0
	v_dual_mov_b32 v1, 0 :: v_dual_mov_b32 v14, 0
	v_mov_b32_e32 v16, 0
	s_and_saveexec_b32 s3, s2
	s_cbranch_execz .LBB25_24
; %bb.21:
	v_lshlrev_b64_e32 v[17:18], 2, v[2:3]
	v_dual_mov_b32 v0, 0 :: v_dual_mov_b32 v13, 0
	v_mov_b32_e32 v15, 0
	v_dual_mov_b32 v1, 0 :: v_dual_mov_b32 v14, 0
	s_delay_alu instid0(VALU_DEP_4)
	v_add_co_u32 v17, vcc_lo, s8, v17
	v_mov_b32_e32 v16, 0
	s_wait_alu 0xfffd
	v_add_co_ci_u32_e64 v18, null, s9, v18, vcc_lo
	s_mov_b32 s6, 0
.LBB25_22:                              ; =>This Inner Loop Header: Depth=1
	global_load_b32 v19, v[17:18], off
	v_add_co_u32 v17, s2, v17, 16
	s_wait_alu 0xf1ff
	v_add_co_ci_u32_e64 v18, null, 0, v18, s2
	s_wait_loadcnt 0x0
	v_subrev_nc_u32_e32 v19, s12, v19
	s_delay_alu instid0(VALU_DEP_1) | instskip(NEXT) | instid1(VALU_DEP_1)
	v_lshl_add_u32 v19, v19, 1, v19
	v_ashrrev_i32_e32 v20, 31, v19
	s_delay_alu instid0(VALU_DEP_1) | instskip(SKIP_1) | instid1(VALU_DEP_1)
	v_lshlrev_b64_e32 v[19:20], 3, v[19:20]
	s_wait_kmcnt 0x0
	v_add_co_u32 v32, vcc_lo, s4, v19
	s_wait_alu 0xfffd
	s_delay_alu instid0(VALU_DEP_2)
	v_add_co_ci_u32_e64 v33, null, s5, v20, vcc_lo
	v_add_co_u32 v2, vcc_lo, v2, 4
	s_clause 0x1
	global_load_b128 v[19:22], v[9:10], off offset:16
	global_load_b128 v[24:27], v[9:10], off
	s_clause 0x1
	global_load_b128 v[28:31], v[32:33], off
	global_load_b64 v[40:41], v[32:33], off offset:16
	s_clause 0x2
	global_load_b128 v[32:35], v[9:10], off offset:32
	global_load_b128 v[36:39], v[9:10], off offset:48
	global_load_b64 v[42:43], v[9:10], off offset:64
	s_wait_alu 0xfffd
	v_add_co_ci_u32_e64 v3, null, 0, v3, vcc_lo
	v_add_co_u32 v9, vcc_lo, 0x120, v9
	s_wait_alu 0xfffd
	v_add_co_ci_u32_e64 v10, null, 0, v10, vcc_lo
	s_delay_alu instid0(VALU_DEP_3)
	v_cmp_ge_i64_e32 vcc_lo, v[2:3], v[11:12]
	s_wait_alu 0xfffe
	s_or_b32 s6, vcc_lo, s6
	s_wait_loadcnt 0x4
	v_fma_f64 v[15:16], v[24:25], v[28:29], v[15:16]
	v_fma_f64 v[13:14], v[26:27], v[28:29], v[13:14]
	;; [unrolled: 1-line block ×3, first 2 shown]
	s_delay_alu instid0(VALU_DEP_3) | instskip(SKIP_1) | instid1(VALU_DEP_3)
	v_fma_f64 v[15:16], v[21:22], v[30:31], v[15:16]
	s_wait_loadcnt 0x2
	v_fma_f64 v[13:14], v[32:33], v[30:31], v[13:14]
	s_delay_alu instid0(VALU_DEP_3) | instskip(SKIP_1) | instid1(VALU_DEP_3)
	v_fma_f64 v[0:1], v[34:35], v[30:31], v[0:1]
	s_wait_loadcnt 0x1
	v_fma_f64 v[15:16], v[36:37], v[40:41], v[15:16]
	;; [unrolled: 4-line block ×3, first 2 shown]
	s_wait_alu 0xfffe
	s_and_not1_b32 exec_lo, exec_lo, s6
	s_cbranch_execnz .LBB25_22
; %bb.23:
	s_or_b32 exec_lo, exec_lo, s6
.LBB25_24:
	s_wait_alu 0xfffe
	s_or_b32 exec_lo, exec_lo, s3
.LBB25_25:
	v_mbcnt_lo_u32_b32 v19, -1, 0
	s_delay_alu instid0(VALU_DEP_1) | instskip(NEXT) | instid1(VALU_DEP_1)
	v_xor_b32_e32 v2, 2, v19
	v_cmp_gt_i32_e32 vcc_lo, 32, v2
	s_wait_alu 0xfffd
	v_cndmask_b32_e32 v2, v19, v2, vcc_lo
	s_delay_alu instid0(VALU_DEP_1)
	v_lshlrev_b32_e32 v9, 2, v2
	ds_bpermute_b32 v2, v9, v15
	ds_bpermute_b32 v3, v9, v16
	;; [unrolled: 1-line block ×6, first 2 shown]
	s_wait_dscnt 0x4
	v_add_f64_e32 v[9:10], v[15:16], v[2:3]
	s_wait_dscnt 0x2
	v_add_f64_e32 v[2:3], v[13:14], v[11:12]
	v_xor_b32_e32 v11, 1, v19
	s_wait_dscnt 0x0
	v_add_f64_e32 v[0:1], v[0:1], v[17:18]
	s_delay_alu instid0(VALU_DEP_2) | instskip(SKIP_3) | instid1(VALU_DEP_2)
	v_cmp_gt_i32_e32 vcc_lo, 32, v11
	s_wait_alu 0xfffd
	v_cndmask_b32_e32 v11, v19, v11, vcc_lo
	v_cmp_eq_u32_e32 vcc_lo, 3, v23
	v_lshlrev_b32_e32 v12, 2, v11
	ds_bpermute_b32 v15, v12, v9
	ds_bpermute_b32 v16, v12, v10
	;; [unrolled: 1-line block ×6, first 2 shown]
	s_and_b32 exec_lo, exec_lo, vcc_lo
	s_cbranch_execz .LBB25_10
; %bb.26:
	s_wait_dscnt 0x4
	v_add_f64_e32 v[9:10], v[9:10], v[15:16]
	s_wait_dscnt 0x2
	v_add_f64_e32 v[2:3], v[2:3], v[13:14]
	;; [unrolled: 2-line block ×3, first 2 shown]
	s_load_b64 s[0:1], s[0:1], 0x50
	v_lshl_add_u32 v8, v8, 1, v8
	s_mov_b32 s2, exec_lo
	s_delay_alu instid0(VALU_DEP_4) | instskip(NEXT) | instid1(VALU_DEP_4)
	v_mul_f64_e32 v[0:1], v[6:7], v[9:10]
	v_mul_f64_e32 v[2:3], v[6:7], v[2:3]
	s_delay_alu instid0(VALU_DEP_4)
	v_mul_f64_e32 v[6:7], v[6:7], v[11:12]
	v_ashrrev_i32_e32 v9, 31, v8
	v_cmpx_eq_f64_e32 0, v[4:5]
	s_wait_alu 0xfffe
	s_xor_b32 s2, exec_lo, s2
	s_cbranch_execz .LBB25_28
; %bb.27:
	v_lshlrev_b64_e32 v[4:5], 3, v[8:9]
                                        ; implicit-def: $vgpr8
	s_wait_kmcnt 0x0
	s_delay_alu instid0(VALU_DEP_1) | instskip(SKIP_1) | instid1(VALU_DEP_2)
	v_add_co_u32 v4, vcc_lo, s0, v4
	s_wait_alu 0xfffd
	v_add_co_ci_u32_e64 v5, null, s1, v5, vcc_lo
	s_clause 0x1
	global_store_b128 v[4:5], v[0:3], off
	global_store_b64 v[4:5], v[6:7], off offset:16
                                        ; implicit-def: $vgpr4_vgpr5
                                        ; implicit-def: $vgpr0_vgpr1
                                        ; implicit-def: $vgpr6_vgpr7
.LBB25_28:
	s_wait_alu 0xfffe
	s_and_not1_saveexec_b32 s2, s2
	s_cbranch_execz .LBB25_10
; %bb.29:
	v_lshlrev_b64_e32 v[8:9], 3, v[8:9]
	s_wait_kmcnt 0x0
	s_delay_alu instid0(VALU_DEP_1) | instskip(SKIP_1) | instid1(VALU_DEP_2)
	v_add_co_u32 v12, vcc_lo, s0, v8
	s_wait_alu 0xfffd
	v_add_co_ci_u32_e64 v13, null, s1, v9, vcc_lo
	s_clause 0x1
	global_load_b128 v[8:11], v[12:13], off
	global_load_b64 v[14:15], v[12:13], off offset:16
	s_wait_loadcnt 0x1
	v_fma_f64 v[0:1], v[4:5], v[8:9], v[0:1]
	v_fma_f64 v[2:3], v[4:5], v[10:11], v[2:3]
	s_wait_loadcnt 0x0
	v_fma_f64 v[4:5], v[4:5], v[14:15], v[6:7]
	s_clause 0x1
	global_store_b128 v[12:13], v[0:3], off
	global_store_b64 v[12:13], v[4:5], off offset:16
	s_endpgm
	.section	.rodata,"a",@progbits
	.p2align	6, 0x0
	.amdhsa_kernel _ZN9rocsparseL18bsrxmvn_3x3_kernelILj256ELj4EdlidddEEvT3_20rocsparse_direction_NS_24const_host_device_scalarIT1_EES1_PKS1_PKT2_SA_S7_PKT4_PKT5_S5_PT6_21rocsparse_index_base_b
		.amdhsa_group_segment_fixed_size 0
		.amdhsa_private_segment_fixed_size 0
		.amdhsa_kernarg_size 96
		.amdhsa_user_sgpr_count 2
		.amdhsa_user_sgpr_dispatch_ptr 0
		.amdhsa_user_sgpr_queue_ptr 0
		.amdhsa_user_sgpr_kernarg_segment_ptr 1
		.amdhsa_user_sgpr_dispatch_id 0
		.amdhsa_user_sgpr_private_segment_size 0
		.amdhsa_wavefront_size32 1
		.amdhsa_uses_dynamic_stack 0
		.amdhsa_enable_private_segment 0
		.amdhsa_system_sgpr_workgroup_id_x 1
		.amdhsa_system_sgpr_workgroup_id_y 0
		.amdhsa_system_sgpr_workgroup_id_z 0
		.amdhsa_system_sgpr_workgroup_info 0
		.amdhsa_system_vgpr_workitem_id 0
		.amdhsa_next_free_vgpr 48
		.amdhsa_next_free_sgpr 14
		.amdhsa_reserve_vcc 1
		.amdhsa_float_round_mode_32 0
		.amdhsa_float_round_mode_16_64 0
		.amdhsa_float_denorm_mode_32 3
		.amdhsa_float_denorm_mode_16_64 3
		.amdhsa_fp16_overflow 0
		.amdhsa_workgroup_processor_mode 1
		.amdhsa_memory_ordered 1
		.amdhsa_forward_progress 1
		.amdhsa_inst_pref_size 17
		.amdhsa_round_robin_scheduling 0
		.amdhsa_exception_fp_ieee_invalid_op 0
		.amdhsa_exception_fp_denorm_src 0
		.amdhsa_exception_fp_ieee_div_zero 0
		.amdhsa_exception_fp_ieee_overflow 0
		.amdhsa_exception_fp_ieee_underflow 0
		.amdhsa_exception_fp_ieee_inexact 0
		.amdhsa_exception_int_div_zero 0
	.end_amdhsa_kernel
	.section	.text._ZN9rocsparseL18bsrxmvn_3x3_kernelILj256ELj4EdlidddEEvT3_20rocsparse_direction_NS_24const_host_device_scalarIT1_EES1_PKS1_PKT2_SA_S7_PKT4_PKT5_S5_PT6_21rocsparse_index_base_b,"axG",@progbits,_ZN9rocsparseL18bsrxmvn_3x3_kernelILj256ELj4EdlidddEEvT3_20rocsparse_direction_NS_24const_host_device_scalarIT1_EES1_PKS1_PKT2_SA_S7_PKT4_PKT5_S5_PT6_21rocsparse_index_base_b,comdat
.Lfunc_end25:
	.size	_ZN9rocsparseL18bsrxmvn_3x3_kernelILj256ELj4EdlidddEEvT3_20rocsparse_direction_NS_24const_host_device_scalarIT1_EES1_PKS1_PKT2_SA_S7_PKT4_PKT5_S5_PT6_21rocsparse_index_base_b, .Lfunc_end25-_ZN9rocsparseL18bsrxmvn_3x3_kernelILj256ELj4EdlidddEEvT3_20rocsparse_direction_NS_24const_host_device_scalarIT1_EES1_PKS1_PKT2_SA_S7_PKT4_PKT5_S5_PT6_21rocsparse_index_base_b
                                        ; -- End function
	.set _ZN9rocsparseL18bsrxmvn_3x3_kernelILj256ELj4EdlidddEEvT3_20rocsparse_direction_NS_24const_host_device_scalarIT1_EES1_PKS1_PKT2_SA_S7_PKT4_PKT5_S5_PT6_21rocsparse_index_base_b.num_vgpr, 48
	.set _ZN9rocsparseL18bsrxmvn_3x3_kernelILj256ELj4EdlidddEEvT3_20rocsparse_direction_NS_24const_host_device_scalarIT1_EES1_PKS1_PKT2_SA_S7_PKT4_PKT5_S5_PT6_21rocsparse_index_base_b.num_agpr, 0
	.set _ZN9rocsparseL18bsrxmvn_3x3_kernelILj256ELj4EdlidddEEvT3_20rocsparse_direction_NS_24const_host_device_scalarIT1_EES1_PKS1_PKT2_SA_S7_PKT4_PKT5_S5_PT6_21rocsparse_index_base_b.numbered_sgpr, 14
	.set _ZN9rocsparseL18bsrxmvn_3x3_kernelILj256ELj4EdlidddEEvT3_20rocsparse_direction_NS_24const_host_device_scalarIT1_EES1_PKS1_PKT2_SA_S7_PKT4_PKT5_S5_PT6_21rocsparse_index_base_b.num_named_barrier, 0
	.set _ZN9rocsparseL18bsrxmvn_3x3_kernelILj256ELj4EdlidddEEvT3_20rocsparse_direction_NS_24const_host_device_scalarIT1_EES1_PKS1_PKT2_SA_S7_PKT4_PKT5_S5_PT6_21rocsparse_index_base_b.private_seg_size, 0
	.set _ZN9rocsparseL18bsrxmvn_3x3_kernelILj256ELj4EdlidddEEvT3_20rocsparse_direction_NS_24const_host_device_scalarIT1_EES1_PKS1_PKT2_SA_S7_PKT4_PKT5_S5_PT6_21rocsparse_index_base_b.uses_vcc, 1
	.set _ZN9rocsparseL18bsrxmvn_3x3_kernelILj256ELj4EdlidddEEvT3_20rocsparse_direction_NS_24const_host_device_scalarIT1_EES1_PKS1_PKT2_SA_S7_PKT4_PKT5_S5_PT6_21rocsparse_index_base_b.uses_flat_scratch, 0
	.set _ZN9rocsparseL18bsrxmvn_3x3_kernelILj256ELj4EdlidddEEvT3_20rocsparse_direction_NS_24const_host_device_scalarIT1_EES1_PKS1_PKT2_SA_S7_PKT4_PKT5_S5_PT6_21rocsparse_index_base_b.has_dyn_sized_stack, 0
	.set _ZN9rocsparseL18bsrxmvn_3x3_kernelILj256ELj4EdlidddEEvT3_20rocsparse_direction_NS_24const_host_device_scalarIT1_EES1_PKS1_PKT2_SA_S7_PKT4_PKT5_S5_PT6_21rocsparse_index_base_b.has_recursion, 0
	.set _ZN9rocsparseL18bsrxmvn_3x3_kernelILj256ELj4EdlidddEEvT3_20rocsparse_direction_NS_24const_host_device_scalarIT1_EES1_PKS1_PKT2_SA_S7_PKT4_PKT5_S5_PT6_21rocsparse_index_base_b.has_indirect_call, 0
	.section	.AMDGPU.csdata,"",@progbits
; Kernel info:
; codeLenInByte = 2056
; TotalNumSgprs: 16
; NumVgprs: 48
; ScratchSize: 0
; MemoryBound: 1
; FloatMode: 240
; IeeeMode: 1
; LDSByteSize: 0 bytes/workgroup (compile time only)
; SGPRBlocks: 0
; VGPRBlocks: 5
; NumSGPRsForWavesPerEU: 16
; NumVGPRsForWavesPerEU: 48
; Occupancy: 16
; WaveLimiterHint : 1
; COMPUTE_PGM_RSRC2:SCRATCH_EN: 0
; COMPUTE_PGM_RSRC2:USER_SGPR: 2
; COMPUTE_PGM_RSRC2:TRAP_HANDLER: 0
; COMPUTE_PGM_RSRC2:TGID_X_EN: 1
; COMPUTE_PGM_RSRC2:TGID_Y_EN: 0
; COMPUTE_PGM_RSRC2:TGID_Z_EN: 0
; COMPUTE_PGM_RSRC2:TIDIG_COMP_CNT: 0
	.section	.text._ZN9rocsparseL18bsrxmvn_3x3_kernelILj256ELj8EdlidddEEvT3_20rocsparse_direction_NS_24const_host_device_scalarIT1_EES1_PKS1_PKT2_SA_S7_PKT4_PKT5_S5_PT6_21rocsparse_index_base_b,"axG",@progbits,_ZN9rocsparseL18bsrxmvn_3x3_kernelILj256ELj8EdlidddEEvT3_20rocsparse_direction_NS_24const_host_device_scalarIT1_EES1_PKS1_PKT2_SA_S7_PKT4_PKT5_S5_PT6_21rocsparse_index_base_b,comdat
	.globl	_ZN9rocsparseL18bsrxmvn_3x3_kernelILj256ELj8EdlidddEEvT3_20rocsparse_direction_NS_24const_host_device_scalarIT1_EES1_PKS1_PKT2_SA_S7_PKT4_PKT5_S5_PT6_21rocsparse_index_base_b ; -- Begin function _ZN9rocsparseL18bsrxmvn_3x3_kernelILj256ELj8EdlidddEEvT3_20rocsparse_direction_NS_24const_host_device_scalarIT1_EES1_PKS1_PKT2_SA_S7_PKT4_PKT5_S5_PT6_21rocsparse_index_base_b
	.p2align	8
	.type	_ZN9rocsparseL18bsrxmvn_3x3_kernelILj256ELj8EdlidddEEvT3_20rocsparse_direction_NS_24const_host_device_scalarIT1_EES1_PKS1_PKT2_SA_S7_PKT4_PKT5_S5_PT6_21rocsparse_index_base_b,@function
_ZN9rocsparseL18bsrxmvn_3x3_kernelILj256ELj8EdlidddEEvT3_20rocsparse_direction_NS_24const_host_device_scalarIT1_EES1_PKS1_PKT2_SA_S7_PKT4_PKT5_S5_PT6_21rocsparse_index_base_b: ; @_ZN9rocsparseL18bsrxmvn_3x3_kernelILj256ELj8EdlidddEEvT3_20rocsparse_direction_NS_24const_host_device_scalarIT1_EES1_PKS1_PKT2_SA_S7_PKT4_PKT5_S5_PT6_21rocsparse_index_base_b
; %bb.0:
	s_clause 0x2
	s_load_b64 s[12:13], s[0:1], 0x58
	s_load_b64 s[4:5], s[0:1], 0x8
	;; [unrolled: 1-line block ×3, first 2 shown]
	s_wait_kmcnt 0x0
	s_bitcmp1_b32 s13, 0
	v_dual_mov_b32 v7, s5 :: v_dual_mov_b32 v6, s4
	s_cselect_b32 s6, -1, 0
	s_delay_alu instid0(SALU_CYCLE_1)
	s_and_b32 vcc_lo, exec_lo, s6
	s_xor_b32 s6, s6, -1
	s_cbranch_vccnz .LBB26_2
; %bb.1:
	v_dual_mov_b32 v1, s4 :: v_dual_mov_b32 v2, s5
	flat_load_b64 v[6:7], v[1:2]
.LBB26_2:
	v_dual_mov_b32 v5, s3 :: v_dual_mov_b32 v4, s2
	s_and_not1_b32 vcc_lo, exec_lo, s6
	s_cbranch_vccnz .LBB26_4
; %bb.3:
	v_dual_mov_b32 v1, s2 :: v_dual_mov_b32 v2, s3
	flat_load_b64 v[4:5], v[1:2]
.LBB26_4:
	s_wait_loadcnt_dscnt 0x0
	v_cmp_neq_f64_e32 vcc_lo, 0, v[6:7]
	v_cmp_neq_f64_e64 s2, 1.0, v[4:5]
	s_or_b32 s2, vcc_lo, s2
	s_wait_alu 0xfffe
	s_and_saveexec_b32 s3, s2
	s_cbranch_execz .LBB26_10
; %bb.5:
	s_clause 0x1
	s_load_b64 s[4:5], s[0:1], 0x18
	s_load_b64 s[2:3], s[0:1], 0x0
	v_lshrrev_b32_e32 v1, 3, v0
	s_delay_alu instid0(VALU_DEP_1)
	v_lshl_or_b32 v8, ttmp9, 5, v1
	s_wait_kmcnt 0x0
	s_cmp_lg_u64 s[4:5], 0
	s_cbranch_scc0 .LBB26_11
; %bb.6:
	s_load_b32 s6, s[0:1], 0x10
	s_mov_b32 s7, 0
                                        ; implicit-def: $vgpr1
	s_wait_kmcnt 0x0
	v_cmp_gt_i32_e32 vcc_lo, s6, v8
	s_mov_b32 s6, 0
	s_and_saveexec_b32 s8, vcc_lo
	s_delay_alu instid0(SALU_CYCLE_1)
	s_xor_b32 s8, exec_lo, s8
	s_cbranch_execz .LBB26_8
; %bb.7:
	v_ashrrev_i32_e32 v9, 31, v8
	s_mov_b32 s6, exec_lo
	s_delay_alu instid0(VALU_DEP_1) | instskip(NEXT) | instid1(VALU_DEP_1)
	v_lshlrev_b64_e32 v[1:2], 2, v[8:9]
	v_add_co_u32 v1, vcc_lo, s4, v1
	s_delay_alu instid0(VALU_DEP_1)
	v_add_co_ci_u32_e64 v2, null, s5, v2, vcc_lo
	global_load_b32 v1, v[1:2], off
	s_wait_loadcnt 0x0
	v_subrev_nc_u32_e32 v1, s12, v1
.LBB26_8:
	s_or_b32 exec_lo, exec_lo, s8
	s_delay_alu instid0(SALU_CYCLE_1)
	s_and_b32 vcc_lo, exec_lo, s7
	s_wait_alu 0xfffe
	s_cbranch_vccz .LBB26_12
.LBB26_9:
	v_cmp_gt_i32_e32 vcc_lo, s2, v8
	s_and_not1_b32 s2, s6, exec_lo
	s_and_b32 s4, vcc_lo, exec_lo
	s_wait_alu 0xfffe
	s_or_b32 s6, s2, s4
	s_wait_alu 0xfffe
	s_and_b32 exec_lo, exec_lo, s6
	s_cbranch_execnz .LBB26_13
.LBB26_10:
	s_endpgm
.LBB26_11:
	s_mov_b32 s6, 0
                                        ; implicit-def: $vgpr1
	s_cbranch_execnz .LBB26_9
.LBB26_12:
	v_mov_b32_e32 v8, v1
	s_and_b32 exec_lo, exec_lo, s6
	s_cbranch_execz .LBB26_10
.LBB26_13:
	s_load_b256 s[4:11], s[0:1], 0x20
	s_delay_alu instid0(VALU_DEP_1) | instskip(SKIP_1) | instid1(VALU_DEP_2)
	v_ashrrev_i32_e32 v9, 31, v8
	v_and_b32_e32 v23, 7, v0
	v_lshlrev_b64_e32 v[1:2], 3, v[8:9]
	s_wait_kmcnt 0x0
	s_delay_alu instid0(VALU_DEP_1) | instskip(SKIP_1) | instid1(VALU_DEP_2)
	v_add_co_u32 v9, vcc_lo, s4, v1
	s_wait_alu 0xfffd
	v_add_co_ci_u32_e64 v10, null, s5, v2, vcc_lo
	v_add_co_u32 v1, vcc_lo, s6, v1
	s_wait_alu 0xfffd
	v_add_co_ci_u32_e64 v2, null, s7, v2, vcc_lo
	global_load_b64 v[11:12], v[9:10], off
	v_add_co_u32 v3, vcc_lo, v9, 8
	s_wait_alu 0xfffd
	v_add_co_ci_u32_e64 v9, null, 0, v10, vcc_lo
	s_cmp_eq_u64 s[6:7], 0
	s_load_b64 s[4:5], s[0:1], 0x40
	s_cselect_b32 vcc_lo, -1, 0
	s_cmp_eq_u32 s3, 1
	s_wait_alu 0xfffe
	v_dual_cndmask_b32 v2, v2, v9 :: v_dual_cndmask_b32 v1, v1, v3
	global_load_b64 v[13:14], v[1:2], off
	s_wait_loadcnt 0x1
	v_sub_co_u32 v0, vcc_lo, v11, s12
	s_wait_alu 0xfffd
	v_subrev_co_ci_u32_e64 v1, null, 0, v12, vcc_lo
	s_delay_alu instid0(VALU_DEP_2) | instskip(SKIP_1) | instid1(VALU_DEP_2)
	v_add_co_u32 v2, vcc_lo, v0, v23
	s_wait_alu 0xfffd
	v_add_co_ci_u32_e64 v3, null, 0, v1, vcc_lo
	s_delay_alu instid0(VALU_DEP_2) | instskip(SKIP_4) | instid1(VALU_DEP_3)
	v_mad_co_u64_u32 v[9:10], null, 0x48, v2, s[10:11]
	s_wait_loadcnt 0x0
	v_sub_co_u32 v13, vcc_lo, v13, s12
	s_wait_alu 0xfffd
	v_subrev_co_ci_u32_e64 v14, null, 0, v14, vcc_lo
	v_mov_b32_e32 v0, v10
	s_delay_alu instid0(VALU_DEP_2) | instskip(NEXT) | instid1(VALU_DEP_2)
	v_cmp_lt_i64_e64 s2, v[2:3], v[13:14]
	v_mad_co_u64_u32 v[0:1], null, 0x48, v3, v[0:1]
	s_delay_alu instid0(VALU_DEP_1)
	v_mov_b32_e32 v10, v0
	s_cbranch_scc1 .LBB26_19
; %bb.14:
	v_dual_mov_b32 v0, 0 :: v_dual_mov_b32 v11, 0
	v_mov_b32_e32 v15, 0
	v_dual_mov_b32 v1, 0 :: v_dual_mov_b32 v12, 0
	v_mov_b32_e32 v16, 0
	s_and_saveexec_b32 s6, s2
	s_cbranch_execz .LBB26_18
; %bb.15:
	v_lshlrev_b64_e32 v[11:12], 2, v[2:3]
	v_mov_b32_e32 v0, 0
	v_dual_mov_b32 v1, 0 :: v_dual_mov_b32 v18, v10
	v_dual_mov_b32 v17, v9 :: v_dual_mov_b32 v22, v3
	v_mov_b32_e32 v21, v2
	v_add_co_u32 v19, vcc_lo, s8, v11
	s_wait_alu 0xfffd
	v_add_co_ci_u32_e64 v20, null, s9, v12, vcc_lo
	v_mov_b32_e32 v11, 0
	v_dual_mov_b32 v12, 0 :: v_dual_mov_b32 v15, 0
	v_mov_b32_e32 v16, 0
	s_mov_b32 s7, 0
.LBB26_16:                              ; =>This Inner Loop Header: Depth=1
	global_load_b32 v28, v[19:20], off
	global_load_b128 v[24:27], v[17:18], off offset:48
	v_add_co_u32 v19, s3, v19, 32
	s_wait_alu 0xf1ff
	v_add_co_ci_u32_e64 v20, null, 0, v20, s3
	s_wait_loadcnt 0x1
	v_subrev_nc_u32_e32 v28, s12, v28
	s_delay_alu instid0(VALU_DEP_1) | instskip(NEXT) | instid1(VALU_DEP_1)
	v_lshl_add_u32 v28, v28, 1, v28
	v_ashrrev_i32_e32 v29, 31, v28
	s_delay_alu instid0(VALU_DEP_1) | instskip(SKIP_1) | instid1(VALU_DEP_1)
	v_lshlrev_b64_e32 v[28:29], 3, v[28:29]
	s_wait_kmcnt 0x0
	v_add_co_u32 v40, vcc_lo, s4, v28
	s_wait_alu 0xfffd
	s_delay_alu instid0(VALU_DEP_2)
	v_add_co_ci_u32_e64 v41, null, s5, v29, vcc_lo
	v_add_co_u32 v21, vcc_lo, v21, 8
	s_clause 0x1
	global_load_b128 v[28:31], v[17:18], off offset:16
	global_load_b128 v[32:35], v[17:18], off
	s_clause 0x1
	global_load_b128 v[36:39], v[40:41], off
	global_load_b64 v[44:45], v[40:41], off offset:16
	s_clause 0x1
	global_load_b128 v[40:43], v[17:18], off offset:32
	global_load_b64 v[46:47], v[17:18], off offset:64
	s_wait_alu 0xfffd
	v_add_co_ci_u32_e64 v22, null, 0, v22, vcc_lo
	v_add_co_u32 v17, vcc_lo, 0x240, v17
	s_wait_alu 0xfffd
	v_add_co_ci_u32_e64 v18, null, 0, v18, vcc_lo
	s_delay_alu instid0(VALU_DEP_3)
	v_cmp_ge_i64_e32 vcc_lo, v[21:22], v[13:14]
	s_wait_alu 0xfffe
	s_or_b32 s7, vcc_lo, s7
	s_wait_loadcnt 0x3
	v_fma_f64 v[15:16], v[32:33], v[36:37], v[15:16]
	v_fma_f64 v[11:12], v[30:31], v[36:37], v[11:12]
	;; [unrolled: 1-line block ×3, first 2 shown]
	s_delay_alu instid0(VALU_DEP_3) | instskip(SKIP_1) | instid1(VALU_DEP_3)
	v_fma_f64 v[15:16], v[34:35], v[38:39], v[15:16]
	s_wait_loadcnt 0x1
	v_fma_f64 v[11:12], v[40:41], v[38:39], v[11:12]
	s_delay_alu instid0(VALU_DEP_3) | instskip(NEXT) | instid1(VALU_DEP_3)
	v_fma_f64 v[0:1], v[26:27], v[38:39], v[0:1]
	v_fma_f64 v[15:16], v[28:29], v[44:45], v[15:16]
	s_delay_alu instid0(VALU_DEP_3) | instskip(SKIP_1) | instid1(VALU_DEP_3)
	v_fma_f64 v[11:12], v[42:43], v[44:45], v[11:12]
	s_wait_loadcnt 0x0
	v_fma_f64 v[0:1], v[46:47], v[44:45], v[0:1]
	s_wait_alu 0xfffe
	s_and_not1_b32 exec_lo, exec_lo, s7
	s_cbranch_execnz .LBB26_16
; %bb.17:
	s_or_b32 exec_lo, exec_lo, s7
.LBB26_18:
	s_wait_alu 0xfffe
	s_or_b32 exec_lo, exec_lo, s6
	s_cbranch_execz .LBB26_20
	s_branch .LBB26_25
.LBB26_19:
                                        ; implicit-def: $vgpr0_vgpr1
                                        ; implicit-def: $vgpr11_vgpr12
                                        ; implicit-def: $vgpr15_vgpr16
.LBB26_20:
	v_dual_mov_b32 v0, 0 :: v_dual_mov_b32 v11, 0
	v_mov_b32_e32 v15, 0
	v_dual_mov_b32 v1, 0 :: v_dual_mov_b32 v12, 0
	v_mov_b32_e32 v16, 0
	s_and_saveexec_b32 s3, s2
	s_cbranch_execz .LBB26_24
; %bb.21:
	v_lshlrev_b64_e32 v[17:18], 2, v[2:3]
	v_dual_mov_b32 v0, 0 :: v_dual_mov_b32 v11, 0
	v_mov_b32_e32 v15, 0
	v_dual_mov_b32 v1, 0 :: v_dual_mov_b32 v12, 0
	s_delay_alu instid0(VALU_DEP_4)
	v_add_co_u32 v17, vcc_lo, s8, v17
	v_mov_b32_e32 v16, 0
	s_wait_alu 0xfffd
	v_add_co_ci_u32_e64 v18, null, s9, v18, vcc_lo
	s_mov_b32 s6, 0
.LBB26_22:                              ; =>This Inner Loop Header: Depth=1
	global_load_b32 v19, v[17:18], off
	v_add_co_u32 v17, s2, v17, 32
	s_wait_alu 0xf1ff
	v_add_co_ci_u32_e64 v18, null, 0, v18, s2
	s_wait_loadcnt 0x0
	v_subrev_nc_u32_e32 v19, s12, v19
	s_delay_alu instid0(VALU_DEP_1) | instskip(NEXT) | instid1(VALU_DEP_1)
	v_lshl_add_u32 v19, v19, 1, v19
	v_ashrrev_i32_e32 v20, 31, v19
	s_delay_alu instid0(VALU_DEP_1) | instskip(SKIP_1) | instid1(VALU_DEP_1)
	v_lshlrev_b64_e32 v[19:20], 3, v[19:20]
	s_wait_kmcnt 0x0
	v_add_co_u32 v32, vcc_lo, s4, v19
	s_wait_alu 0xfffd
	s_delay_alu instid0(VALU_DEP_2)
	v_add_co_ci_u32_e64 v33, null, s5, v20, vcc_lo
	v_add_co_u32 v2, vcc_lo, v2, 8
	s_clause 0x1
	global_load_b128 v[19:22], v[9:10], off offset:16
	global_load_b128 v[24:27], v[9:10], off
	s_clause 0x1
	global_load_b128 v[28:31], v[32:33], off
	global_load_b64 v[40:41], v[32:33], off offset:16
	s_clause 0x2
	global_load_b128 v[32:35], v[9:10], off offset:32
	global_load_b128 v[36:39], v[9:10], off offset:48
	global_load_b64 v[42:43], v[9:10], off offset:64
	s_wait_alu 0xfffd
	v_add_co_ci_u32_e64 v3, null, 0, v3, vcc_lo
	v_add_co_u32 v9, vcc_lo, 0x240, v9
	s_wait_alu 0xfffd
	v_add_co_ci_u32_e64 v10, null, 0, v10, vcc_lo
	s_delay_alu instid0(VALU_DEP_3)
	v_cmp_ge_i64_e32 vcc_lo, v[2:3], v[13:14]
	s_wait_alu 0xfffe
	s_or_b32 s6, vcc_lo, s6
	s_wait_loadcnt 0x4
	v_fma_f64 v[15:16], v[24:25], v[28:29], v[15:16]
	v_fma_f64 v[11:12], v[26:27], v[28:29], v[11:12]
	;; [unrolled: 1-line block ×3, first 2 shown]
	s_delay_alu instid0(VALU_DEP_3) | instskip(SKIP_1) | instid1(VALU_DEP_3)
	v_fma_f64 v[15:16], v[21:22], v[30:31], v[15:16]
	s_wait_loadcnt 0x2
	v_fma_f64 v[11:12], v[32:33], v[30:31], v[11:12]
	s_delay_alu instid0(VALU_DEP_3) | instskip(SKIP_1) | instid1(VALU_DEP_3)
	v_fma_f64 v[0:1], v[34:35], v[30:31], v[0:1]
	s_wait_loadcnt 0x1
	v_fma_f64 v[15:16], v[36:37], v[40:41], v[15:16]
	;; [unrolled: 4-line block ×3, first 2 shown]
	s_wait_alu 0xfffe
	s_and_not1_b32 exec_lo, exec_lo, s6
	s_cbranch_execnz .LBB26_22
; %bb.23:
	s_or_b32 exec_lo, exec_lo, s6
.LBB26_24:
	s_wait_alu 0xfffe
	s_or_b32 exec_lo, exec_lo, s3
.LBB26_25:
	v_mbcnt_lo_u32_b32 v19, -1, 0
	s_delay_alu instid0(VALU_DEP_1) | instskip(NEXT) | instid1(VALU_DEP_1)
	v_xor_b32_e32 v2, 4, v19
	v_cmp_gt_i32_e32 vcc_lo, 32, v2
	s_wait_alu 0xfffd
	v_cndmask_b32_e32 v2, v19, v2, vcc_lo
	s_delay_alu instid0(VALU_DEP_1)
	v_lshlrev_b32_e32 v14, 2, v2
	ds_bpermute_b32 v2, v14, v15
	ds_bpermute_b32 v3, v14, v16
	;; [unrolled: 1-line block ×6, first 2 shown]
	s_wait_dscnt 0x4
	v_add_f64_e32 v[2:3], v[15:16], v[2:3]
	s_wait_dscnt 0x2
	v_add_f64_e32 v[11:12], v[11:12], v[9:10]
	;; [unrolled: 2-line block ×3, first 2 shown]
	v_xor_b32_e32 v0, 2, v19
	s_delay_alu instid0(VALU_DEP_1) | instskip(SKIP_2) | instid1(VALU_DEP_1)
	v_cmp_gt_i32_e32 vcc_lo, 32, v0
	s_wait_alu 0xfffd
	v_cndmask_b32_e32 v0, v19, v0, vcc_lo
	v_lshlrev_b32_e32 v9, 2, v0
	ds_bpermute_b32 v0, v9, v2
	ds_bpermute_b32 v1, v9, v3
	;; [unrolled: 1-line block ×6, first 2 shown]
	s_wait_dscnt 0x4
	v_add_f64_e32 v[9:10], v[2:3], v[0:1]
	s_wait_dscnt 0x2
	v_add_f64_e32 v[0:1], v[11:12], v[15:16]
	v_xor_b32_e32 v11, 1, v19
	s_wait_dscnt 0x0
	v_add_f64_e32 v[2:3], v[13:14], v[17:18]
	s_delay_alu instid0(VALU_DEP_2) | instskip(SKIP_3) | instid1(VALU_DEP_2)
	v_cmp_gt_i32_e32 vcc_lo, 32, v11
	s_wait_alu 0xfffd
	v_cndmask_b32_e32 v11, v19, v11, vcc_lo
	v_cmp_eq_u32_e32 vcc_lo, 7, v23
	v_lshlrev_b32_e32 v12, 2, v11
	ds_bpermute_b32 v15, v12, v9
	ds_bpermute_b32 v16, v12, v10
	;; [unrolled: 1-line block ×6, first 2 shown]
	s_and_b32 exec_lo, exec_lo, vcc_lo
	s_cbranch_execz .LBB26_10
; %bb.26:
	s_wait_dscnt 0x4
	v_add_f64_e32 v[9:10], v[9:10], v[15:16]
	s_wait_dscnt 0x2
	v_add_f64_e32 v[13:14], v[0:1], v[13:14]
	;; [unrolled: 2-line block ×3, first 2 shown]
	s_load_b64 s[0:1], s[0:1], 0x50
	v_lshl_add_u32 v8, v8, 1, v8
	s_mov_b32 s2, exec_lo
	s_delay_alu instid0(VALU_DEP_4) | instskip(NEXT) | instid1(VALU_DEP_4)
	v_mul_f64_e32 v[0:1], v[6:7], v[9:10]
	v_mul_f64_e32 v[2:3], v[6:7], v[13:14]
	s_delay_alu instid0(VALU_DEP_4)
	v_mul_f64_e32 v[6:7], v[6:7], v[11:12]
	v_ashrrev_i32_e32 v9, 31, v8
	v_cmpx_eq_f64_e32 0, v[4:5]
	s_wait_alu 0xfffe
	s_xor_b32 s2, exec_lo, s2
	s_cbranch_execz .LBB26_28
; %bb.27:
	v_lshlrev_b64_e32 v[4:5], 3, v[8:9]
                                        ; implicit-def: $vgpr8
	s_wait_kmcnt 0x0
	s_delay_alu instid0(VALU_DEP_1) | instskip(SKIP_1) | instid1(VALU_DEP_2)
	v_add_co_u32 v4, vcc_lo, s0, v4
	s_wait_alu 0xfffd
	v_add_co_ci_u32_e64 v5, null, s1, v5, vcc_lo
	s_clause 0x1
	global_store_b128 v[4:5], v[0:3], off
	global_store_b64 v[4:5], v[6:7], off offset:16
                                        ; implicit-def: $vgpr4_vgpr5
                                        ; implicit-def: $vgpr0_vgpr1
                                        ; implicit-def: $vgpr6_vgpr7
.LBB26_28:
	s_wait_alu 0xfffe
	s_and_not1_saveexec_b32 s2, s2
	s_cbranch_execz .LBB26_10
; %bb.29:
	v_lshlrev_b64_e32 v[8:9], 3, v[8:9]
	s_wait_kmcnt 0x0
	s_delay_alu instid0(VALU_DEP_1) | instskip(SKIP_1) | instid1(VALU_DEP_2)
	v_add_co_u32 v12, vcc_lo, s0, v8
	s_wait_alu 0xfffd
	v_add_co_ci_u32_e64 v13, null, s1, v9, vcc_lo
	s_clause 0x1
	global_load_b128 v[8:11], v[12:13], off
	global_load_b64 v[14:15], v[12:13], off offset:16
	s_wait_loadcnt 0x1
	v_fma_f64 v[0:1], v[4:5], v[8:9], v[0:1]
	v_fma_f64 v[2:3], v[4:5], v[10:11], v[2:3]
	s_wait_loadcnt 0x0
	v_fma_f64 v[4:5], v[4:5], v[14:15], v[6:7]
	s_clause 0x1
	global_store_b128 v[12:13], v[0:3], off
	global_store_b64 v[12:13], v[4:5], off offset:16
	s_endpgm
	.section	.rodata,"a",@progbits
	.p2align	6, 0x0
	.amdhsa_kernel _ZN9rocsparseL18bsrxmvn_3x3_kernelILj256ELj8EdlidddEEvT3_20rocsparse_direction_NS_24const_host_device_scalarIT1_EES1_PKS1_PKT2_SA_S7_PKT4_PKT5_S5_PT6_21rocsparse_index_base_b
		.amdhsa_group_segment_fixed_size 0
		.amdhsa_private_segment_fixed_size 0
		.amdhsa_kernarg_size 96
		.amdhsa_user_sgpr_count 2
		.amdhsa_user_sgpr_dispatch_ptr 0
		.amdhsa_user_sgpr_queue_ptr 0
		.amdhsa_user_sgpr_kernarg_segment_ptr 1
		.amdhsa_user_sgpr_dispatch_id 0
		.amdhsa_user_sgpr_private_segment_size 0
		.amdhsa_wavefront_size32 1
		.amdhsa_uses_dynamic_stack 0
		.amdhsa_enable_private_segment 0
		.amdhsa_system_sgpr_workgroup_id_x 1
		.amdhsa_system_sgpr_workgroup_id_y 0
		.amdhsa_system_sgpr_workgroup_id_z 0
		.amdhsa_system_sgpr_workgroup_info 0
		.amdhsa_system_vgpr_workitem_id 0
		.amdhsa_next_free_vgpr 48
		.amdhsa_next_free_sgpr 14
		.amdhsa_reserve_vcc 1
		.amdhsa_float_round_mode_32 0
		.amdhsa_float_round_mode_16_64 0
		.amdhsa_float_denorm_mode_32 3
		.amdhsa_float_denorm_mode_16_64 3
		.amdhsa_fp16_overflow 0
		.amdhsa_workgroup_processor_mode 1
		.amdhsa_memory_ordered 1
		.amdhsa_forward_progress 1
		.amdhsa_inst_pref_size 17
		.amdhsa_round_robin_scheduling 0
		.amdhsa_exception_fp_ieee_invalid_op 0
		.amdhsa_exception_fp_denorm_src 0
		.amdhsa_exception_fp_ieee_div_zero 0
		.amdhsa_exception_fp_ieee_overflow 0
		.amdhsa_exception_fp_ieee_underflow 0
		.amdhsa_exception_fp_ieee_inexact 0
		.amdhsa_exception_int_div_zero 0
	.end_amdhsa_kernel
	.section	.text._ZN9rocsparseL18bsrxmvn_3x3_kernelILj256ELj8EdlidddEEvT3_20rocsparse_direction_NS_24const_host_device_scalarIT1_EES1_PKS1_PKT2_SA_S7_PKT4_PKT5_S5_PT6_21rocsparse_index_base_b,"axG",@progbits,_ZN9rocsparseL18bsrxmvn_3x3_kernelILj256ELj8EdlidddEEvT3_20rocsparse_direction_NS_24const_host_device_scalarIT1_EES1_PKS1_PKT2_SA_S7_PKT4_PKT5_S5_PT6_21rocsparse_index_base_b,comdat
.Lfunc_end26:
	.size	_ZN9rocsparseL18bsrxmvn_3x3_kernelILj256ELj8EdlidddEEvT3_20rocsparse_direction_NS_24const_host_device_scalarIT1_EES1_PKS1_PKT2_SA_S7_PKT4_PKT5_S5_PT6_21rocsparse_index_base_b, .Lfunc_end26-_ZN9rocsparseL18bsrxmvn_3x3_kernelILj256ELj8EdlidddEEvT3_20rocsparse_direction_NS_24const_host_device_scalarIT1_EES1_PKS1_PKT2_SA_S7_PKT4_PKT5_S5_PT6_21rocsparse_index_base_b
                                        ; -- End function
	.set _ZN9rocsparseL18bsrxmvn_3x3_kernelILj256ELj8EdlidddEEvT3_20rocsparse_direction_NS_24const_host_device_scalarIT1_EES1_PKS1_PKT2_SA_S7_PKT4_PKT5_S5_PT6_21rocsparse_index_base_b.num_vgpr, 48
	.set _ZN9rocsparseL18bsrxmvn_3x3_kernelILj256ELj8EdlidddEEvT3_20rocsparse_direction_NS_24const_host_device_scalarIT1_EES1_PKS1_PKT2_SA_S7_PKT4_PKT5_S5_PT6_21rocsparse_index_base_b.num_agpr, 0
	.set _ZN9rocsparseL18bsrxmvn_3x3_kernelILj256ELj8EdlidddEEvT3_20rocsparse_direction_NS_24const_host_device_scalarIT1_EES1_PKS1_PKT2_SA_S7_PKT4_PKT5_S5_PT6_21rocsparse_index_base_b.numbered_sgpr, 14
	.set _ZN9rocsparseL18bsrxmvn_3x3_kernelILj256ELj8EdlidddEEvT3_20rocsparse_direction_NS_24const_host_device_scalarIT1_EES1_PKS1_PKT2_SA_S7_PKT4_PKT5_S5_PT6_21rocsparse_index_base_b.num_named_barrier, 0
	.set _ZN9rocsparseL18bsrxmvn_3x3_kernelILj256ELj8EdlidddEEvT3_20rocsparse_direction_NS_24const_host_device_scalarIT1_EES1_PKS1_PKT2_SA_S7_PKT4_PKT5_S5_PT6_21rocsparse_index_base_b.private_seg_size, 0
	.set _ZN9rocsparseL18bsrxmvn_3x3_kernelILj256ELj8EdlidddEEvT3_20rocsparse_direction_NS_24const_host_device_scalarIT1_EES1_PKS1_PKT2_SA_S7_PKT4_PKT5_S5_PT6_21rocsparse_index_base_b.uses_vcc, 1
	.set _ZN9rocsparseL18bsrxmvn_3x3_kernelILj256ELj8EdlidddEEvT3_20rocsparse_direction_NS_24const_host_device_scalarIT1_EES1_PKS1_PKT2_SA_S7_PKT4_PKT5_S5_PT6_21rocsparse_index_base_b.uses_flat_scratch, 0
	.set _ZN9rocsparseL18bsrxmvn_3x3_kernelILj256ELj8EdlidddEEvT3_20rocsparse_direction_NS_24const_host_device_scalarIT1_EES1_PKS1_PKT2_SA_S7_PKT4_PKT5_S5_PT6_21rocsparse_index_base_b.has_dyn_sized_stack, 0
	.set _ZN9rocsparseL18bsrxmvn_3x3_kernelILj256ELj8EdlidddEEvT3_20rocsparse_direction_NS_24const_host_device_scalarIT1_EES1_PKS1_PKT2_SA_S7_PKT4_PKT5_S5_PT6_21rocsparse_index_base_b.has_recursion, 0
	.set _ZN9rocsparseL18bsrxmvn_3x3_kernelILj256ELj8EdlidddEEvT3_20rocsparse_direction_NS_24const_host_device_scalarIT1_EES1_PKS1_PKT2_SA_S7_PKT4_PKT5_S5_PT6_21rocsparse_index_base_b.has_indirect_call, 0
	.section	.AMDGPU.csdata,"",@progbits
; Kernel info:
; codeLenInByte = 2152
; TotalNumSgprs: 16
; NumVgprs: 48
; ScratchSize: 0
; MemoryBound: 1
; FloatMode: 240
; IeeeMode: 1
; LDSByteSize: 0 bytes/workgroup (compile time only)
; SGPRBlocks: 0
; VGPRBlocks: 5
; NumSGPRsForWavesPerEU: 16
; NumVGPRsForWavesPerEU: 48
; Occupancy: 16
; WaveLimiterHint : 1
; COMPUTE_PGM_RSRC2:SCRATCH_EN: 0
; COMPUTE_PGM_RSRC2:USER_SGPR: 2
; COMPUTE_PGM_RSRC2:TRAP_HANDLER: 0
; COMPUTE_PGM_RSRC2:TGID_X_EN: 1
; COMPUTE_PGM_RSRC2:TGID_Y_EN: 0
; COMPUTE_PGM_RSRC2:TGID_Z_EN: 0
; COMPUTE_PGM_RSRC2:TIDIG_COMP_CNT: 0
	.section	.text._ZN9rocsparseL18bsrxmvn_3x3_kernelILj256ELj16EdlidddEEvT3_20rocsparse_direction_NS_24const_host_device_scalarIT1_EES1_PKS1_PKT2_SA_S7_PKT4_PKT5_S5_PT6_21rocsparse_index_base_b,"axG",@progbits,_ZN9rocsparseL18bsrxmvn_3x3_kernelILj256ELj16EdlidddEEvT3_20rocsparse_direction_NS_24const_host_device_scalarIT1_EES1_PKS1_PKT2_SA_S7_PKT4_PKT5_S5_PT6_21rocsparse_index_base_b,comdat
	.globl	_ZN9rocsparseL18bsrxmvn_3x3_kernelILj256ELj16EdlidddEEvT3_20rocsparse_direction_NS_24const_host_device_scalarIT1_EES1_PKS1_PKT2_SA_S7_PKT4_PKT5_S5_PT6_21rocsparse_index_base_b ; -- Begin function _ZN9rocsparseL18bsrxmvn_3x3_kernelILj256ELj16EdlidddEEvT3_20rocsparse_direction_NS_24const_host_device_scalarIT1_EES1_PKS1_PKT2_SA_S7_PKT4_PKT5_S5_PT6_21rocsparse_index_base_b
	.p2align	8
	.type	_ZN9rocsparseL18bsrxmvn_3x3_kernelILj256ELj16EdlidddEEvT3_20rocsparse_direction_NS_24const_host_device_scalarIT1_EES1_PKS1_PKT2_SA_S7_PKT4_PKT5_S5_PT6_21rocsparse_index_base_b,@function
_ZN9rocsparseL18bsrxmvn_3x3_kernelILj256ELj16EdlidddEEvT3_20rocsparse_direction_NS_24const_host_device_scalarIT1_EES1_PKS1_PKT2_SA_S7_PKT4_PKT5_S5_PT6_21rocsparse_index_base_b: ; @_ZN9rocsparseL18bsrxmvn_3x3_kernelILj256ELj16EdlidddEEvT3_20rocsparse_direction_NS_24const_host_device_scalarIT1_EES1_PKS1_PKT2_SA_S7_PKT4_PKT5_S5_PT6_21rocsparse_index_base_b
; %bb.0:
	s_clause 0x2
	s_load_b64 s[12:13], s[0:1], 0x58
	s_load_b64 s[4:5], s[0:1], 0x8
	;; [unrolled: 1-line block ×3, first 2 shown]
	s_wait_kmcnt 0x0
	s_bitcmp1_b32 s13, 0
	v_dual_mov_b32 v7, s5 :: v_dual_mov_b32 v6, s4
	s_cselect_b32 s6, -1, 0
	s_delay_alu instid0(SALU_CYCLE_1)
	s_and_b32 vcc_lo, exec_lo, s6
	s_xor_b32 s6, s6, -1
	s_cbranch_vccnz .LBB27_2
; %bb.1:
	v_dual_mov_b32 v1, s4 :: v_dual_mov_b32 v2, s5
	flat_load_b64 v[6:7], v[1:2]
.LBB27_2:
	v_dual_mov_b32 v5, s3 :: v_dual_mov_b32 v4, s2
	s_and_not1_b32 vcc_lo, exec_lo, s6
	s_cbranch_vccnz .LBB27_4
; %bb.3:
	v_dual_mov_b32 v1, s2 :: v_dual_mov_b32 v2, s3
	flat_load_b64 v[4:5], v[1:2]
.LBB27_4:
	s_wait_loadcnt_dscnt 0x0
	v_cmp_neq_f64_e32 vcc_lo, 0, v[6:7]
	v_cmp_neq_f64_e64 s2, 1.0, v[4:5]
	s_or_b32 s2, vcc_lo, s2
	s_wait_alu 0xfffe
	s_and_saveexec_b32 s3, s2
	s_cbranch_execz .LBB27_10
; %bb.5:
	s_clause 0x1
	s_load_b64 s[4:5], s[0:1], 0x18
	s_load_b64 s[2:3], s[0:1], 0x0
	v_lshrrev_b32_e32 v1, 4, v0
	s_delay_alu instid0(VALU_DEP_1)
	v_lshl_or_b32 v8, ttmp9, 4, v1
	s_wait_kmcnt 0x0
	s_cmp_lg_u64 s[4:5], 0
	s_cbranch_scc0 .LBB27_11
; %bb.6:
	s_load_b32 s6, s[0:1], 0x10
	s_mov_b32 s7, 0
                                        ; implicit-def: $vgpr1
	s_wait_kmcnt 0x0
	v_cmp_gt_i32_e32 vcc_lo, s6, v8
	s_mov_b32 s6, 0
	s_and_saveexec_b32 s8, vcc_lo
	s_delay_alu instid0(SALU_CYCLE_1)
	s_xor_b32 s8, exec_lo, s8
	s_cbranch_execz .LBB27_8
; %bb.7:
	v_ashrrev_i32_e32 v9, 31, v8
	s_mov_b32 s6, exec_lo
	s_delay_alu instid0(VALU_DEP_1) | instskip(NEXT) | instid1(VALU_DEP_1)
	v_lshlrev_b64_e32 v[1:2], 2, v[8:9]
	v_add_co_u32 v1, vcc_lo, s4, v1
	s_delay_alu instid0(VALU_DEP_1)
	v_add_co_ci_u32_e64 v2, null, s5, v2, vcc_lo
	global_load_b32 v1, v[1:2], off
	s_wait_loadcnt 0x0
	v_subrev_nc_u32_e32 v1, s12, v1
.LBB27_8:
	s_or_b32 exec_lo, exec_lo, s8
	s_delay_alu instid0(SALU_CYCLE_1)
	s_and_b32 vcc_lo, exec_lo, s7
	s_wait_alu 0xfffe
	s_cbranch_vccz .LBB27_12
.LBB27_9:
	v_cmp_gt_i32_e32 vcc_lo, s2, v8
	s_and_not1_b32 s2, s6, exec_lo
	s_and_b32 s4, vcc_lo, exec_lo
	s_wait_alu 0xfffe
	s_or_b32 s6, s2, s4
	s_wait_alu 0xfffe
	s_and_b32 exec_lo, exec_lo, s6
	s_cbranch_execnz .LBB27_13
.LBB27_10:
	s_endpgm
.LBB27_11:
	s_mov_b32 s6, 0
                                        ; implicit-def: $vgpr1
	s_cbranch_execnz .LBB27_9
.LBB27_12:
	v_mov_b32_e32 v8, v1
	s_and_b32 exec_lo, exec_lo, s6
	s_cbranch_execz .LBB27_10
.LBB27_13:
	s_load_b256 s[4:11], s[0:1], 0x20
	s_delay_alu instid0(VALU_DEP_1) | instskip(SKIP_1) | instid1(VALU_DEP_2)
	v_ashrrev_i32_e32 v9, 31, v8
	v_and_b32_e32 v23, 15, v0
	v_lshlrev_b64_e32 v[1:2], 3, v[8:9]
	s_wait_kmcnt 0x0
	s_delay_alu instid0(VALU_DEP_1) | instskip(SKIP_1) | instid1(VALU_DEP_2)
	v_add_co_u32 v9, vcc_lo, s4, v1
	s_wait_alu 0xfffd
	v_add_co_ci_u32_e64 v10, null, s5, v2, vcc_lo
	v_add_co_u32 v1, vcc_lo, s6, v1
	s_wait_alu 0xfffd
	v_add_co_ci_u32_e64 v2, null, s7, v2, vcc_lo
	global_load_b64 v[11:12], v[9:10], off
	v_add_co_u32 v3, vcc_lo, v9, 8
	s_wait_alu 0xfffd
	v_add_co_ci_u32_e64 v9, null, 0, v10, vcc_lo
	s_cmp_eq_u64 s[6:7], 0
	s_load_b64 s[4:5], s[0:1], 0x40
	s_cselect_b32 vcc_lo, -1, 0
	s_cmp_eq_u32 s3, 1
	s_wait_alu 0xfffe
	v_dual_cndmask_b32 v2, v2, v9 :: v_dual_cndmask_b32 v1, v1, v3
	global_load_b64 v[1:2], v[1:2], off
	s_wait_loadcnt 0x1
	v_sub_co_u32 v0, vcc_lo, v11, s12
	s_wait_alu 0xfffd
	v_subrev_co_ci_u32_e64 v3, null, 0, v12, vcc_lo
	s_delay_alu instid0(VALU_DEP_2) | instskip(SKIP_1) | instid1(VALU_DEP_2)
	v_add_co_u32 v11, vcc_lo, v0, v23
	s_wait_alu 0xfffd
	v_add_co_ci_u32_e64 v12, null, 0, v3, vcc_lo
	s_delay_alu instid0(VALU_DEP_2) | instskip(SKIP_4) | instid1(VALU_DEP_3)
	v_mad_co_u64_u32 v[13:14], null, 0x48, v11, s[10:11]
	s_wait_loadcnt 0x0
	v_sub_co_u32 v15, vcc_lo, v1, s12
	s_wait_alu 0xfffd
	v_subrev_co_ci_u32_e64 v16, null, 0, v2, vcc_lo
	v_mov_b32_e32 v0, v14
	s_delay_alu instid0(VALU_DEP_2) | instskip(NEXT) | instid1(VALU_DEP_2)
	v_cmp_lt_i64_e64 s2, v[11:12], v[15:16]
	v_mad_co_u64_u32 v[9:10], null, 0x48, v12, v[0:1]
	s_delay_alu instid0(VALU_DEP_1)
	v_mov_b32_e32 v14, v9
	s_cbranch_scc1 .LBB27_19
; %bb.14:
	v_mov_b32_e32 v0, 0
	v_dual_mov_b32 v1, 0 :: v_dual_mov_b32 v2, 0
	v_mov_b32_e32 v9, 0
	v_dual_mov_b32 v3, 0 :: v_dual_mov_b32 v10, 0
	s_and_saveexec_b32 s6, s2
	s_cbranch_execz .LBB27_18
; %bb.15:
	v_lshlrev_b64_e32 v[2:3], 2, v[11:12]
	v_mov_b32_e32 v0, 0
	v_dual_mov_b32 v1, 0 :: v_dual_mov_b32 v18, v14
	v_dual_mov_b32 v17, v13 :: v_dual_mov_b32 v22, v12
	v_mov_b32_e32 v21, v11
	v_add_co_u32 v19, vcc_lo, s8, v2
	s_wait_alu 0xfffd
	v_add_co_ci_u32_e64 v20, null, s9, v3, vcc_lo
	v_dual_mov_b32 v2, 0 :: v_dual_mov_b32 v9, 0
	v_dual_mov_b32 v3, 0 :: v_dual_mov_b32 v10, 0
	s_mov_b32 s7, 0
.LBB27_16:                              ; =>This Inner Loop Header: Depth=1
	global_load_b32 v28, v[19:20], off
	global_load_b128 v[24:27], v[17:18], off offset:48
	v_add_co_u32 v19, s3, v19, 64
	s_wait_alu 0xf1ff
	v_add_co_ci_u32_e64 v20, null, 0, v20, s3
	s_wait_loadcnt 0x1
	v_subrev_nc_u32_e32 v28, s12, v28
	s_delay_alu instid0(VALU_DEP_1) | instskip(NEXT) | instid1(VALU_DEP_1)
	v_lshl_add_u32 v28, v28, 1, v28
	v_ashrrev_i32_e32 v29, 31, v28
	s_delay_alu instid0(VALU_DEP_1) | instskip(SKIP_1) | instid1(VALU_DEP_1)
	v_lshlrev_b64_e32 v[28:29], 3, v[28:29]
	s_wait_kmcnt 0x0
	v_add_co_u32 v40, vcc_lo, s4, v28
	s_wait_alu 0xfffd
	s_delay_alu instid0(VALU_DEP_2)
	v_add_co_ci_u32_e64 v41, null, s5, v29, vcc_lo
	v_add_co_u32 v21, vcc_lo, v21, 16
	s_clause 0x1
	global_load_b128 v[28:31], v[17:18], off offset:16
	global_load_b128 v[32:35], v[17:18], off
	s_clause 0x1
	global_load_b128 v[36:39], v[40:41], off
	global_load_b64 v[44:45], v[40:41], off offset:16
	s_clause 0x1
	global_load_b128 v[40:43], v[17:18], off offset:32
	global_load_b64 v[46:47], v[17:18], off offset:64
	s_wait_alu 0xfffd
	v_add_co_ci_u32_e64 v22, null, 0, v22, vcc_lo
	v_add_co_u32 v17, vcc_lo, 0x480, v17
	s_wait_alu 0xfffd
	v_add_co_ci_u32_e64 v18, null, 0, v18, vcc_lo
	s_delay_alu instid0(VALU_DEP_3)
	v_cmp_ge_i64_e32 vcc_lo, v[21:22], v[15:16]
	s_wait_alu 0xfffe
	s_or_b32 s7, vcc_lo, s7
	s_wait_loadcnt 0x3
	v_fma_f64 v[9:10], v[32:33], v[36:37], v[9:10]
	v_fma_f64 v[2:3], v[30:31], v[36:37], v[2:3]
	;; [unrolled: 1-line block ×3, first 2 shown]
	s_delay_alu instid0(VALU_DEP_3) | instskip(SKIP_1) | instid1(VALU_DEP_3)
	v_fma_f64 v[9:10], v[34:35], v[38:39], v[9:10]
	s_wait_loadcnt 0x1
	v_fma_f64 v[2:3], v[40:41], v[38:39], v[2:3]
	s_delay_alu instid0(VALU_DEP_3) | instskip(NEXT) | instid1(VALU_DEP_3)
	v_fma_f64 v[0:1], v[26:27], v[38:39], v[0:1]
	v_fma_f64 v[9:10], v[28:29], v[44:45], v[9:10]
	s_delay_alu instid0(VALU_DEP_3) | instskip(SKIP_1) | instid1(VALU_DEP_3)
	v_fma_f64 v[2:3], v[42:43], v[44:45], v[2:3]
	s_wait_loadcnt 0x0
	v_fma_f64 v[0:1], v[46:47], v[44:45], v[0:1]
	s_wait_alu 0xfffe
	s_and_not1_b32 exec_lo, exec_lo, s7
	s_cbranch_execnz .LBB27_16
; %bb.17:
	s_or_b32 exec_lo, exec_lo, s7
.LBB27_18:
	s_wait_alu 0xfffe
	s_or_b32 exec_lo, exec_lo, s6
	s_cbranch_execz .LBB27_20
	s_branch .LBB27_25
.LBB27_19:
                                        ; implicit-def: $vgpr0_vgpr1
                                        ; implicit-def: $vgpr2_vgpr3
                                        ; implicit-def: $vgpr9_vgpr10
.LBB27_20:
	v_mov_b32_e32 v0, 0
	v_dual_mov_b32 v1, 0 :: v_dual_mov_b32 v2, 0
	v_mov_b32_e32 v9, 0
	v_dual_mov_b32 v3, 0 :: v_dual_mov_b32 v10, 0
	s_and_saveexec_b32 s3, s2
	s_cbranch_execz .LBB27_24
; %bb.21:
	v_lshlrev_b64_e32 v[17:18], 2, v[11:12]
	v_mov_b32_e32 v0, 0
	v_dual_mov_b32 v1, 0 :: v_dual_mov_b32 v2, 0
	v_mov_b32_e32 v9, 0
	v_mov_b32_e32 v3, 0
	v_add_co_u32 v17, vcc_lo, s8, v17
	v_mov_b32_e32 v10, 0
	s_wait_alu 0xfffd
	v_add_co_ci_u32_e64 v18, null, s9, v18, vcc_lo
	s_mov_b32 s6, 0
.LBB27_22:                              ; =>This Inner Loop Header: Depth=1
	global_load_b32 v19, v[17:18], off
	v_add_co_u32 v17, s2, v17, 64
	s_wait_alu 0xf1ff
	v_add_co_ci_u32_e64 v18, null, 0, v18, s2
	s_wait_loadcnt 0x0
	v_subrev_nc_u32_e32 v19, s12, v19
	s_delay_alu instid0(VALU_DEP_1) | instskip(NEXT) | instid1(VALU_DEP_1)
	v_lshl_add_u32 v19, v19, 1, v19
	v_ashrrev_i32_e32 v20, 31, v19
	s_delay_alu instid0(VALU_DEP_1) | instskip(SKIP_1) | instid1(VALU_DEP_1)
	v_lshlrev_b64_e32 v[19:20], 3, v[19:20]
	s_wait_kmcnt 0x0
	v_add_co_u32 v32, vcc_lo, s4, v19
	s_wait_alu 0xfffd
	s_delay_alu instid0(VALU_DEP_2)
	v_add_co_ci_u32_e64 v33, null, s5, v20, vcc_lo
	v_add_co_u32 v11, vcc_lo, v11, 16
	s_clause 0x1
	global_load_b128 v[19:22], v[13:14], off offset:16
	global_load_b128 v[24:27], v[13:14], off
	s_clause 0x1
	global_load_b128 v[28:31], v[32:33], off
	global_load_b64 v[40:41], v[32:33], off offset:16
	s_clause 0x2
	global_load_b128 v[32:35], v[13:14], off offset:32
	global_load_b128 v[36:39], v[13:14], off offset:48
	global_load_b64 v[42:43], v[13:14], off offset:64
	s_wait_alu 0xfffd
	v_add_co_ci_u32_e64 v12, null, 0, v12, vcc_lo
	v_add_co_u32 v13, vcc_lo, 0x480, v13
	s_wait_alu 0xfffd
	v_add_co_ci_u32_e64 v14, null, 0, v14, vcc_lo
	s_delay_alu instid0(VALU_DEP_3)
	v_cmp_ge_i64_e32 vcc_lo, v[11:12], v[15:16]
	s_wait_alu 0xfffe
	s_or_b32 s6, vcc_lo, s6
	s_wait_loadcnt 0x4
	v_fma_f64 v[9:10], v[24:25], v[28:29], v[9:10]
	v_fma_f64 v[2:3], v[26:27], v[28:29], v[2:3]
	;; [unrolled: 1-line block ×3, first 2 shown]
	s_delay_alu instid0(VALU_DEP_3) | instskip(SKIP_1) | instid1(VALU_DEP_3)
	v_fma_f64 v[9:10], v[21:22], v[30:31], v[9:10]
	s_wait_loadcnt 0x2
	v_fma_f64 v[2:3], v[32:33], v[30:31], v[2:3]
	s_delay_alu instid0(VALU_DEP_3) | instskip(SKIP_1) | instid1(VALU_DEP_3)
	v_fma_f64 v[0:1], v[34:35], v[30:31], v[0:1]
	s_wait_loadcnt 0x1
	v_fma_f64 v[9:10], v[36:37], v[40:41], v[9:10]
	s_delay_alu instid0(VALU_DEP_3) | instskip(SKIP_1) | instid1(VALU_DEP_3)
	v_fma_f64 v[2:3], v[38:39], v[40:41], v[2:3]
	s_wait_loadcnt 0x0
	v_fma_f64 v[0:1], v[42:43], v[40:41], v[0:1]
	s_wait_alu 0xfffe
	s_and_not1_b32 exec_lo, exec_lo, s6
	s_cbranch_execnz .LBB27_22
; %bb.23:
	s_or_b32 exec_lo, exec_lo, s6
.LBB27_24:
	s_wait_alu 0xfffe
	s_or_b32 exec_lo, exec_lo, s3
.LBB27_25:
	v_mbcnt_lo_u32_b32 v17, -1, 0
	s_delay_alu instid0(VALU_DEP_1) | instskip(NEXT) | instid1(VALU_DEP_1)
	v_xor_b32_e32 v11, 8, v17
	v_cmp_gt_i32_e32 vcc_lo, 32, v11
	s_wait_alu 0xfffd
	v_cndmask_b32_e32 v11, v17, v11, vcc_lo
	s_delay_alu instid0(VALU_DEP_1)
	v_lshlrev_b32_e32 v16, 2, v11
	ds_bpermute_b32 v11, v16, v9
	ds_bpermute_b32 v12, v16, v10
	;; [unrolled: 1-line block ×6, first 2 shown]
	s_wait_dscnt 0x4
	v_add_f64_e32 v[9:10], v[9:10], v[11:12]
	v_xor_b32_e32 v11, 4, v17
	s_wait_dscnt 0x2
	v_add_f64_e32 v[2:3], v[2:3], v[13:14]
	s_wait_dscnt 0x0
	v_add_f64_e32 v[0:1], v[0:1], v[15:16]
	v_cmp_gt_i32_e32 vcc_lo, 32, v11
	s_wait_alu 0xfffd
	v_cndmask_b32_e32 v11, v17, v11, vcc_lo
	s_delay_alu instid0(VALU_DEP_1)
	v_lshlrev_b32_e32 v16, 2, v11
	ds_bpermute_b32 v11, v16, v9
	ds_bpermute_b32 v12, v16, v10
	;; [unrolled: 1-line block ×6, first 2 shown]
	s_wait_dscnt 0x4
	v_add_f64_e32 v[9:10], v[9:10], v[11:12]
	s_wait_dscnt 0x2
	v_add_f64_e32 v[2:3], v[2:3], v[13:14]
	s_wait_dscnt 0x0
	v_add_f64_e32 v[11:12], v[0:1], v[15:16]
	v_xor_b32_e32 v0, 2, v17
	s_delay_alu instid0(VALU_DEP_1) | instskip(SKIP_2) | instid1(VALU_DEP_1)
	v_cmp_gt_i32_e32 vcc_lo, 32, v0
	s_wait_alu 0xfffd
	v_cndmask_b32_e32 v0, v17, v0, vcc_lo
	v_lshlrev_b32_e32 v16, 2, v0
	ds_bpermute_b32 v0, v16, v9
	ds_bpermute_b32 v1, v16, v10
	;; [unrolled: 1-line block ×6, first 2 shown]
	s_wait_dscnt 0x4
	v_add_f64_e32 v[9:10], v[9:10], v[0:1]
	s_wait_dscnt 0x2
	v_add_f64_e32 v[0:1], v[2:3], v[13:14]
	;; [unrolled: 2-line block ×3, first 2 shown]
	v_xor_b32_e32 v11, 1, v17
	s_delay_alu instid0(VALU_DEP_1) | instskip(SKIP_3) | instid1(VALU_DEP_2)
	v_cmp_gt_i32_e32 vcc_lo, 32, v11
	s_wait_alu 0xfffd
	v_cndmask_b32_e32 v11, v17, v11, vcc_lo
	v_cmp_eq_u32_e32 vcc_lo, 15, v23
	v_lshlrev_b32_e32 v12, 2, v11
	ds_bpermute_b32 v15, v12, v9
	ds_bpermute_b32 v16, v12, v10
	ds_bpermute_b32 v13, v12, v0
	ds_bpermute_b32 v14, v12, v1
	ds_bpermute_b32 v11, v12, v2
	ds_bpermute_b32 v12, v12, v3
	s_and_b32 exec_lo, exec_lo, vcc_lo
	s_cbranch_execz .LBB27_10
; %bb.26:
	s_wait_dscnt 0x4
	v_add_f64_e32 v[9:10], v[9:10], v[15:16]
	s_wait_dscnt 0x2
	v_add_f64_e32 v[13:14], v[0:1], v[13:14]
	;; [unrolled: 2-line block ×3, first 2 shown]
	s_load_b64 s[0:1], s[0:1], 0x50
	v_lshl_add_u32 v8, v8, 1, v8
	s_mov_b32 s2, exec_lo
	s_delay_alu instid0(VALU_DEP_4) | instskip(NEXT) | instid1(VALU_DEP_4)
	v_mul_f64_e32 v[0:1], v[6:7], v[9:10]
	v_mul_f64_e32 v[2:3], v[6:7], v[13:14]
	s_delay_alu instid0(VALU_DEP_4)
	v_mul_f64_e32 v[6:7], v[6:7], v[11:12]
	v_ashrrev_i32_e32 v9, 31, v8
	v_cmpx_eq_f64_e32 0, v[4:5]
	s_wait_alu 0xfffe
	s_xor_b32 s2, exec_lo, s2
	s_cbranch_execz .LBB27_28
; %bb.27:
	v_lshlrev_b64_e32 v[4:5], 3, v[8:9]
                                        ; implicit-def: $vgpr8
	s_wait_kmcnt 0x0
	s_delay_alu instid0(VALU_DEP_1) | instskip(SKIP_1) | instid1(VALU_DEP_2)
	v_add_co_u32 v4, vcc_lo, s0, v4
	s_wait_alu 0xfffd
	v_add_co_ci_u32_e64 v5, null, s1, v5, vcc_lo
	s_clause 0x1
	global_store_b128 v[4:5], v[0:3], off
	global_store_b64 v[4:5], v[6:7], off offset:16
                                        ; implicit-def: $vgpr4_vgpr5
                                        ; implicit-def: $vgpr0_vgpr1
                                        ; implicit-def: $vgpr6_vgpr7
.LBB27_28:
	s_wait_alu 0xfffe
	s_and_not1_saveexec_b32 s2, s2
	s_cbranch_execz .LBB27_10
; %bb.29:
	v_lshlrev_b64_e32 v[8:9], 3, v[8:9]
	s_wait_kmcnt 0x0
	s_delay_alu instid0(VALU_DEP_1) | instskip(SKIP_1) | instid1(VALU_DEP_2)
	v_add_co_u32 v12, vcc_lo, s0, v8
	s_wait_alu 0xfffd
	v_add_co_ci_u32_e64 v13, null, s1, v9, vcc_lo
	s_clause 0x1
	global_load_b128 v[8:11], v[12:13], off
	global_load_b64 v[14:15], v[12:13], off offset:16
	s_wait_loadcnt 0x1
	v_fma_f64 v[0:1], v[4:5], v[8:9], v[0:1]
	v_fma_f64 v[2:3], v[4:5], v[10:11], v[2:3]
	s_wait_loadcnt 0x0
	v_fma_f64 v[4:5], v[4:5], v[14:15], v[6:7]
	s_clause 0x1
	global_store_b128 v[12:13], v[0:3], off
	global_store_b64 v[12:13], v[4:5], off offset:16
	s_endpgm
	.section	.rodata,"a",@progbits
	.p2align	6, 0x0
	.amdhsa_kernel _ZN9rocsparseL18bsrxmvn_3x3_kernelILj256ELj16EdlidddEEvT3_20rocsparse_direction_NS_24const_host_device_scalarIT1_EES1_PKS1_PKT2_SA_S7_PKT4_PKT5_S5_PT6_21rocsparse_index_base_b
		.amdhsa_group_segment_fixed_size 0
		.amdhsa_private_segment_fixed_size 0
		.amdhsa_kernarg_size 96
		.amdhsa_user_sgpr_count 2
		.amdhsa_user_sgpr_dispatch_ptr 0
		.amdhsa_user_sgpr_queue_ptr 0
		.amdhsa_user_sgpr_kernarg_segment_ptr 1
		.amdhsa_user_sgpr_dispatch_id 0
		.amdhsa_user_sgpr_private_segment_size 0
		.amdhsa_wavefront_size32 1
		.amdhsa_uses_dynamic_stack 0
		.amdhsa_enable_private_segment 0
		.amdhsa_system_sgpr_workgroup_id_x 1
		.amdhsa_system_sgpr_workgroup_id_y 0
		.amdhsa_system_sgpr_workgroup_id_z 0
		.amdhsa_system_sgpr_workgroup_info 0
		.amdhsa_system_vgpr_workitem_id 0
		.amdhsa_next_free_vgpr 48
		.amdhsa_next_free_sgpr 14
		.amdhsa_reserve_vcc 1
		.amdhsa_float_round_mode_32 0
		.amdhsa_float_round_mode_16_64 0
		.amdhsa_float_denorm_mode_32 3
		.amdhsa_float_denorm_mode_16_64 3
		.amdhsa_fp16_overflow 0
		.amdhsa_workgroup_processor_mode 1
		.amdhsa_memory_ordered 1
		.amdhsa_forward_progress 1
		.amdhsa_inst_pref_size 18
		.amdhsa_round_robin_scheduling 0
		.amdhsa_exception_fp_ieee_invalid_op 0
		.amdhsa_exception_fp_denorm_src 0
		.amdhsa_exception_fp_ieee_div_zero 0
		.amdhsa_exception_fp_ieee_overflow 0
		.amdhsa_exception_fp_ieee_underflow 0
		.amdhsa_exception_fp_ieee_inexact 0
		.amdhsa_exception_int_div_zero 0
	.end_amdhsa_kernel
	.section	.text._ZN9rocsparseL18bsrxmvn_3x3_kernelILj256ELj16EdlidddEEvT3_20rocsparse_direction_NS_24const_host_device_scalarIT1_EES1_PKS1_PKT2_SA_S7_PKT4_PKT5_S5_PT6_21rocsparse_index_base_b,"axG",@progbits,_ZN9rocsparseL18bsrxmvn_3x3_kernelILj256ELj16EdlidddEEvT3_20rocsparse_direction_NS_24const_host_device_scalarIT1_EES1_PKS1_PKT2_SA_S7_PKT4_PKT5_S5_PT6_21rocsparse_index_base_b,comdat
.Lfunc_end27:
	.size	_ZN9rocsparseL18bsrxmvn_3x3_kernelILj256ELj16EdlidddEEvT3_20rocsparse_direction_NS_24const_host_device_scalarIT1_EES1_PKS1_PKT2_SA_S7_PKT4_PKT5_S5_PT6_21rocsparse_index_base_b, .Lfunc_end27-_ZN9rocsparseL18bsrxmvn_3x3_kernelILj256ELj16EdlidddEEvT3_20rocsparse_direction_NS_24const_host_device_scalarIT1_EES1_PKS1_PKT2_SA_S7_PKT4_PKT5_S5_PT6_21rocsparse_index_base_b
                                        ; -- End function
	.set _ZN9rocsparseL18bsrxmvn_3x3_kernelILj256ELj16EdlidddEEvT3_20rocsparse_direction_NS_24const_host_device_scalarIT1_EES1_PKS1_PKT2_SA_S7_PKT4_PKT5_S5_PT6_21rocsparse_index_base_b.num_vgpr, 48
	.set _ZN9rocsparseL18bsrxmvn_3x3_kernelILj256ELj16EdlidddEEvT3_20rocsparse_direction_NS_24const_host_device_scalarIT1_EES1_PKS1_PKT2_SA_S7_PKT4_PKT5_S5_PT6_21rocsparse_index_base_b.num_agpr, 0
	.set _ZN9rocsparseL18bsrxmvn_3x3_kernelILj256ELj16EdlidddEEvT3_20rocsparse_direction_NS_24const_host_device_scalarIT1_EES1_PKS1_PKT2_SA_S7_PKT4_PKT5_S5_PT6_21rocsparse_index_base_b.numbered_sgpr, 14
	.set _ZN9rocsparseL18bsrxmvn_3x3_kernelILj256ELj16EdlidddEEvT3_20rocsparse_direction_NS_24const_host_device_scalarIT1_EES1_PKS1_PKT2_SA_S7_PKT4_PKT5_S5_PT6_21rocsparse_index_base_b.num_named_barrier, 0
	.set _ZN9rocsparseL18bsrxmvn_3x3_kernelILj256ELj16EdlidddEEvT3_20rocsparse_direction_NS_24const_host_device_scalarIT1_EES1_PKS1_PKT2_SA_S7_PKT4_PKT5_S5_PT6_21rocsparse_index_base_b.private_seg_size, 0
	.set _ZN9rocsparseL18bsrxmvn_3x3_kernelILj256ELj16EdlidddEEvT3_20rocsparse_direction_NS_24const_host_device_scalarIT1_EES1_PKS1_PKT2_SA_S7_PKT4_PKT5_S5_PT6_21rocsparse_index_base_b.uses_vcc, 1
	.set _ZN9rocsparseL18bsrxmvn_3x3_kernelILj256ELj16EdlidddEEvT3_20rocsparse_direction_NS_24const_host_device_scalarIT1_EES1_PKS1_PKT2_SA_S7_PKT4_PKT5_S5_PT6_21rocsparse_index_base_b.uses_flat_scratch, 0
	.set _ZN9rocsparseL18bsrxmvn_3x3_kernelILj256ELj16EdlidddEEvT3_20rocsparse_direction_NS_24const_host_device_scalarIT1_EES1_PKS1_PKT2_SA_S7_PKT4_PKT5_S5_PT6_21rocsparse_index_base_b.has_dyn_sized_stack, 0
	.set _ZN9rocsparseL18bsrxmvn_3x3_kernelILj256ELj16EdlidddEEvT3_20rocsparse_direction_NS_24const_host_device_scalarIT1_EES1_PKS1_PKT2_SA_S7_PKT4_PKT5_S5_PT6_21rocsparse_index_base_b.has_recursion, 0
	.set _ZN9rocsparseL18bsrxmvn_3x3_kernelILj256ELj16EdlidddEEvT3_20rocsparse_direction_NS_24const_host_device_scalarIT1_EES1_PKS1_PKT2_SA_S7_PKT4_PKT5_S5_PT6_21rocsparse_index_base_b.has_indirect_call, 0
	.section	.AMDGPU.csdata,"",@progbits
; Kernel info:
; codeLenInByte = 2244
; TotalNumSgprs: 16
; NumVgprs: 48
; ScratchSize: 0
; MemoryBound: 1
; FloatMode: 240
; IeeeMode: 1
; LDSByteSize: 0 bytes/workgroup (compile time only)
; SGPRBlocks: 0
; VGPRBlocks: 5
; NumSGPRsForWavesPerEU: 16
; NumVGPRsForWavesPerEU: 48
; Occupancy: 16
; WaveLimiterHint : 1
; COMPUTE_PGM_RSRC2:SCRATCH_EN: 0
; COMPUTE_PGM_RSRC2:USER_SGPR: 2
; COMPUTE_PGM_RSRC2:TRAP_HANDLER: 0
; COMPUTE_PGM_RSRC2:TGID_X_EN: 1
; COMPUTE_PGM_RSRC2:TGID_Y_EN: 0
; COMPUTE_PGM_RSRC2:TGID_Z_EN: 0
; COMPUTE_PGM_RSRC2:TIDIG_COMP_CNT: 0
	.section	.text._ZN9rocsparseL18bsrxmvn_3x3_kernelILj256ELj32EdlidddEEvT3_20rocsparse_direction_NS_24const_host_device_scalarIT1_EES1_PKS1_PKT2_SA_S7_PKT4_PKT5_S5_PT6_21rocsparse_index_base_b,"axG",@progbits,_ZN9rocsparseL18bsrxmvn_3x3_kernelILj256ELj32EdlidddEEvT3_20rocsparse_direction_NS_24const_host_device_scalarIT1_EES1_PKS1_PKT2_SA_S7_PKT4_PKT5_S5_PT6_21rocsparse_index_base_b,comdat
	.globl	_ZN9rocsparseL18bsrxmvn_3x3_kernelILj256ELj32EdlidddEEvT3_20rocsparse_direction_NS_24const_host_device_scalarIT1_EES1_PKS1_PKT2_SA_S7_PKT4_PKT5_S5_PT6_21rocsparse_index_base_b ; -- Begin function _ZN9rocsparseL18bsrxmvn_3x3_kernelILj256ELj32EdlidddEEvT3_20rocsparse_direction_NS_24const_host_device_scalarIT1_EES1_PKS1_PKT2_SA_S7_PKT4_PKT5_S5_PT6_21rocsparse_index_base_b
	.p2align	8
	.type	_ZN9rocsparseL18bsrxmvn_3x3_kernelILj256ELj32EdlidddEEvT3_20rocsparse_direction_NS_24const_host_device_scalarIT1_EES1_PKS1_PKT2_SA_S7_PKT4_PKT5_S5_PT6_21rocsparse_index_base_b,@function
_ZN9rocsparseL18bsrxmvn_3x3_kernelILj256ELj32EdlidddEEvT3_20rocsparse_direction_NS_24const_host_device_scalarIT1_EES1_PKS1_PKT2_SA_S7_PKT4_PKT5_S5_PT6_21rocsparse_index_base_b: ; @_ZN9rocsparseL18bsrxmvn_3x3_kernelILj256ELj32EdlidddEEvT3_20rocsparse_direction_NS_24const_host_device_scalarIT1_EES1_PKS1_PKT2_SA_S7_PKT4_PKT5_S5_PT6_21rocsparse_index_base_b
; %bb.0:
	s_clause 0x2
	s_load_b64 s[12:13], s[0:1], 0x58
	s_load_b64 s[4:5], s[0:1], 0x8
	;; [unrolled: 1-line block ×3, first 2 shown]
	s_wait_kmcnt 0x0
	s_bitcmp1_b32 s13, 0
	v_dual_mov_b32 v7, s5 :: v_dual_mov_b32 v6, s4
	s_cselect_b32 s6, -1, 0
	s_delay_alu instid0(SALU_CYCLE_1)
	s_and_b32 vcc_lo, exec_lo, s6
	s_xor_b32 s6, s6, -1
	s_cbranch_vccnz .LBB28_2
; %bb.1:
	v_dual_mov_b32 v1, s4 :: v_dual_mov_b32 v2, s5
	flat_load_b64 v[6:7], v[1:2]
.LBB28_2:
	v_dual_mov_b32 v5, s3 :: v_dual_mov_b32 v4, s2
	s_and_not1_b32 vcc_lo, exec_lo, s6
	s_cbranch_vccnz .LBB28_4
; %bb.3:
	v_dual_mov_b32 v1, s2 :: v_dual_mov_b32 v2, s3
	flat_load_b64 v[4:5], v[1:2]
.LBB28_4:
	s_wait_loadcnt_dscnt 0x0
	v_cmp_neq_f64_e32 vcc_lo, 0, v[6:7]
	v_cmp_neq_f64_e64 s2, 1.0, v[4:5]
	s_or_b32 s2, vcc_lo, s2
	s_wait_alu 0xfffe
	s_and_saveexec_b32 s3, s2
	s_cbranch_execz .LBB28_10
; %bb.5:
	s_clause 0x1
	s_load_b64 s[4:5], s[0:1], 0x18
	s_load_b64 s[2:3], s[0:1], 0x0
	v_lshrrev_b32_e32 v1, 5, v0
	s_delay_alu instid0(VALU_DEP_1)
	v_lshl_or_b32 v8, ttmp9, 3, v1
	s_wait_kmcnt 0x0
	s_cmp_lg_u64 s[4:5], 0
	s_cbranch_scc0 .LBB28_11
; %bb.6:
	s_load_b32 s6, s[0:1], 0x10
	s_mov_b32 s7, 0
                                        ; implicit-def: $vgpr1
	s_wait_kmcnt 0x0
	v_cmp_gt_i32_e32 vcc_lo, s6, v8
	s_mov_b32 s6, 0
	s_and_saveexec_b32 s8, vcc_lo
	s_delay_alu instid0(SALU_CYCLE_1)
	s_xor_b32 s8, exec_lo, s8
	s_cbranch_execz .LBB28_8
; %bb.7:
	v_ashrrev_i32_e32 v9, 31, v8
	s_mov_b32 s6, exec_lo
	s_delay_alu instid0(VALU_DEP_1) | instskip(NEXT) | instid1(VALU_DEP_1)
	v_lshlrev_b64_e32 v[1:2], 2, v[8:9]
	v_add_co_u32 v1, vcc_lo, s4, v1
	s_delay_alu instid0(VALU_DEP_1)
	v_add_co_ci_u32_e64 v2, null, s5, v2, vcc_lo
	global_load_b32 v1, v[1:2], off
	s_wait_loadcnt 0x0
	v_subrev_nc_u32_e32 v1, s12, v1
.LBB28_8:
	s_or_b32 exec_lo, exec_lo, s8
	s_delay_alu instid0(SALU_CYCLE_1)
	s_and_b32 vcc_lo, exec_lo, s7
	s_wait_alu 0xfffe
	s_cbranch_vccz .LBB28_12
.LBB28_9:
	v_cmp_gt_i32_e32 vcc_lo, s2, v8
	s_and_not1_b32 s2, s6, exec_lo
	s_and_b32 s4, vcc_lo, exec_lo
	s_wait_alu 0xfffe
	s_or_b32 s6, s2, s4
	s_wait_alu 0xfffe
	s_and_b32 exec_lo, exec_lo, s6
	s_cbranch_execnz .LBB28_13
.LBB28_10:
	s_endpgm
.LBB28_11:
	s_mov_b32 s6, 0
                                        ; implicit-def: $vgpr1
	s_cbranch_execnz .LBB28_9
.LBB28_12:
	v_mov_b32_e32 v8, v1
	s_and_b32 exec_lo, exec_lo, s6
	s_cbranch_execz .LBB28_10
.LBB28_13:
	s_load_b256 s[4:11], s[0:1], 0x20
	s_delay_alu instid0(VALU_DEP_1) | instskip(SKIP_1) | instid1(VALU_DEP_2)
	v_ashrrev_i32_e32 v9, 31, v8
	v_and_b32_e32 v23, 31, v0
	v_lshlrev_b64_e32 v[1:2], 3, v[8:9]
	s_wait_kmcnt 0x0
	s_delay_alu instid0(VALU_DEP_1) | instskip(SKIP_1) | instid1(VALU_DEP_2)
	v_add_co_u32 v9, vcc_lo, s4, v1
	s_wait_alu 0xfffd
	v_add_co_ci_u32_e64 v10, null, s5, v2, vcc_lo
	v_add_co_u32 v1, vcc_lo, s6, v1
	s_wait_alu 0xfffd
	v_add_co_ci_u32_e64 v2, null, s7, v2, vcc_lo
	global_load_b64 v[11:12], v[9:10], off
	v_add_co_u32 v3, vcc_lo, v9, 8
	s_wait_alu 0xfffd
	v_add_co_ci_u32_e64 v9, null, 0, v10, vcc_lo
	s_cmp_eq_u64 s[6:7], 0
	s_load_b64 s[4:5], s[0:1], 0x40
	s_cselect_b32 vcc_lo, -1, 0
	s_cmp_eq_u32 s3, 1
	s_wait_alu 0xfffe
	v_dual_cndmask_b32 v2, v2, v9 :: v_dual_cndmask_b32 v1, v1, v3
	global_load_b64 v[1:2], v[1:2], off
	s_wait_loadcnt 0x1
	v_sub_co_u32 v0, vcc_lo, v11, s12
	s_wait_alu 0xfffd
	v_subrev_co_ci_u32_e64 v3, null, 0, v12, vcc_lo
	s_delay_alu instid0(VALU_DEP_2) | instskip(SKIP_1) | instid1(VALU_DEP_2)
	v_add_co_u32 v11, vcc_lo, v0, v23
	s_wait_alu 0xfffd
	v_add_co_ci_u32_e64 v12, null, 0, v3, vcc_lo
	s_delay_alu instid0(VALU_DEP_2) | instskip(SKIP_4) | instid1(VALU_DEP_3)
	v_mad_co_u64_u32 v[13:14], null, 0x48, v11, s[10:11]
	s_wait_loadcnt 0x0
	v_sub_co_u32 v15, vcc_lo, v1, s12
	s_wait_alu 0xfffd
	v_subrev_co_ci_u32_e64 v16, null, 0, v2, vcc_lo
	v_mov_b32_e32 v0, v14
	s_delay_alu instid0(VALU_DEP_2) | instskip(NEXT) | instid1(VALU_DEP_2)
	v_cmp_lt_i64_e64 s2, v[11:12], v[15:16]
	v_mad_co_u64_u32 v[9:10], null, 0x48, v12, v[0:1]
	s_delay_alu instid0(VALU_DEP_1)
	v_mov_b32_e32 v14, v9
	s_cbranch_scc1 .LBB28_19
; %bb.14:
	v_mov_b32_e32 v0, 0
	v_dual_mov_b32 v1, 0 :: v_dual_mov_b32 v2, 0
	v_mov_b32_e32 v9, 0
	v_dual_mov_b32 v3, 0 :: v_dual_mov_b32 v10, 0
	s_and_saveexec_b32 s6, s2
	s_cbranch_execz .LBB28_18
; %bb.15:
	v_lshlrev_b64_e32 v[2:3], 2, v[11:12]
	v_mov_b32_e32 v0, 0
	v_dual_mov_b32 v1, 0 :: v_dual_mov_b32 v18, v14
	v_dual_mov_b32 v17, v13 :: v_dual_mov_b32 v22, v12
	v_mov_b32_e32 v21, v11
	v_add_co_u32 v19, vcc_lo, s8, v2
	s_wait_alu 0xfffd
	v_add_co_ci_u32_e64 v20, null, s9, v3, vcc_lo
	v_dual_mov_b32 v2, 0 :: v_dual_mov_b32 v9, 0
	v_dual_mov_b32 v3, 0 :: v_dual_mov_b32 v10, 0
	s_mov_b32 s7, 0
.LBB28_16:                              ; =>This Inner Loop Header: Depth=1
	global_load_b32 v28, v[19:20], off
	global_load_b128 v[24:27], v[17:18], off offset:48
	v_add_co_u32 v19, s3, 0x80, v19
	s_wait_alu 0xf1ff
	v_add_co_ci_u32_e64 v20, null, 0, v20, s3
	s_wait_loadcnt 0x1
	v_subrev_nc_u32_e32 v28, s12, v28
	s_delay_alu instid0(VALU_DEP_1) | instskip(NEXT) | instid1(VALU_DEP_1)
	v_lshl_add_u32 v28, v28, 1, v28
	v_ashrrev_i32_e32 v29, 31, v28
	s_delay_alu instid0(VALU_DEP_1) | instskip(SKIP_1) | instid1(VALU_DEP_1)
	v_lshlrev_b64_e32 v[28:29], 3, v[28:29]
	s_wait_kmcnt 0x0
	v_add_co_u32 v40, vcc_lo, s4, v28
	s_wait_alu 0xfffd
	s_delay_alu instid0(VALU_DEP_2)
	v_add_co_ci_u32_e64 v41, null, s5, v29, vcc_lo
	v_add_co_u32 v21, vcc_lo, v21, 32
	s_clause 0x1
	global_load_b128 v[28:31], v[17:18], off offset:16
	global_load_b128 v[32:35], v[17:18], off
	s_clause 0x1
	global_load_b128 v[36:39], v[40:41], off
	global_load_b64 v[44:45], v[40:41], off offset:16
	s_clause 0x1
	global_load_b128 v[40:43], v[17:18], off offset:32
	global_load_b64 v[46:47], v[17:18], off offset:64
	s_wait_alu 0xfffd
	v_add_co_ci_u32_e64 v22, null, 0, v22, vcc_lo
	v_add_co_u32 v17, vcc_lo, 0x900, v17
	s_wait_alu 0xfffd
	v_add_co_ci_u32_e64 v18, null, 0, v18, vcc_lo
	s_delay_alu instid0(VALU_DEP_3)
	v_cmp_ge_i64_e32 vcc_lo, v[21:22], v[15:16]
	s_wait_alu 0xfffe
	s_or_b32 s7, vcc_lo, s7
	s_wait_loadcnt 0x3
	v_fma_f64 v[9:10], v[32:33], v[36:37], v[9:10]
	v_fma_f64 v[2:3], v[30:31], v[36:37], v[2:3]
	;; [unrolled: 1-line block ×3, first 2 shown]
	s_delay_alu instid0(VALU_DEP_3) | instskip(SKIP_1) | instid1(VALU_DEP_3)
	v_fma_f64 v[9:10], v[34:35], v[38:39], v[9:10]
	s_wait_loadcnt 0x1
	v_fma_f64 v[2:3], v[40:41], v[38:39], v[2:3]
	s_delay_alu instid0(VALU_DEP_3) | instskip(NEXT) | instid1(VALU_DEP_3)
	v_fma_f64 v[0:1], v[26:27], v[38:39], v[0:1]
	v_fma_f64 v[9:10], v[28:29], v[44:45], v[9:10]
	s_delay_alu instid0(VALU_DEP_3) | instskip(SKIP_1) | instid1(VALU_DEP_3)
	v_fma_f64 v[2:3], v[42:43], v[44:45], v[2:3]
	s_wait_loadcnt 0x0
	v_fma_f64 v[0:1], v[46:47], v[44:45], v[0:1]
	s_wait_alu 0xfffe
	s_and_not1_b32 exec_lo, exec_lo, s7
	s_cbranch_execnz .LBB28_16
; %bb.17:
	s_or_b32 exec_lo, exec_lo, s7
.LBB28_18:
	s_wait_alu 0xfffe
	s_or_b32 exec_lo, exec_lo, s6
	s_cbranch_execz .LBB28_20
	s_branch .LBB28_25
.LBB28_19:
                                        ; implicit-def: $vgpr0_vgpr1
                                        ; implicit-def: $vgpr2_vgpr3
                                        ; implicit-def: $vgpr9_vgpr10
.LBB28_20:
	v_mov_b32_e32 v0, 0
	v_dual_mov_b32 v1, 0 :: v_dual_mov_b32 v2, 0
	v_mov_b32_e32 v9, 0
	v_dual_mov_b32 v3, 0 :: v_dual_mov_b32 v10, 0
	s_and_saveexec_b32 s3, s2
	s_cbranch_execz .LBB28_24
; %bb.21:
	v_lshlrev_b64_e32 v[17:18], 2, v[11:12]
	v_mov_b32_e32 v0, 0
	v_dual_mov_b32 v1, 0 :: v_dual_mov_b32 v2, 0
	v_mov_b32_e32 v9, 0
	v_mov_b32_e32 v3, 0
	v_add_co_u32 v17, vcc_lo, s8, v17
	v_mov_b32_e32 v10, 0
	s_wait_alu 0xfffd
	v_add_co_ci_u32_e64 v18, null, s9, v18, vcc_lo
	s_mov_b32 s6, 0
.LBB28_22:                              ; =>This Inner Loop Header: Depth=1
	global_load_b32 v19, v[17:18], off
	v_add_co_u32 v17, s2, 0x80, v17
	s_wait_alu 0xf1ff
	v_add_co_ci_u32_e64 v18, null, 0, v18, s2
	s_wait_loadcnt 0x0
	v_subrev_nc_u32_e32 v19, s12, v19
	s_delay_alu instid0(VALU_DEP_1) | instskip(NEXT) | instid1(VALU_DEP_1)
	v_lshl_add_u32 v19, v19, 1, v19
	v_ashrrev_i32_e32 v20, 31, v19
	s_delay_alu instid0(VALU_DEP_1) | instskip(SKIP_1) | instid1(VALU_DEP_1)
	v_lshlrev_b64_e32 v[19:20], 3, v[19:20]
	s_wait_kmcnt 0x0
	v_add_co_u32 v32, vcc_lo, s4, v19
	s_wait_alu 0xfffd
	s_delay_alu instid0(VALU_DEP_2)
	v_add_co_ci_u32_e64 v33, null, s5, v20, vcc_lo
	v_add_co_u32 v11, vcc_lo, v11, 32
	s_clause 0x1
	global_load_b128 v[19:22], v[13:14], off offset:16
	global_load_b128 v[24:27], v[13:14], off
	s_clause 0x1
	global_load_b128 v[28:31], v[32:33], off
	global_load_b64 v[40:41], v[32:33], off offset:16
	s_clause 0x2
	global_load_b128 v[32:35], v[13:14], off offset:32
	global_load_b128 v[36:39], v[13:14], off offset:48
	global_load_b64 v[42:43], v[13:14], off offset:64
	s_wait_alu 0xfffd
	v_add_co_ci_u32_e64 v12, null, 0, v12, vcc_lo
	v_add_co_u32 v13, vcc_lo, 0x900, v13
	s_wait_alu 0xfffd
	v_add_co_ci_u32_e64 v14, null, 0, v14, vcc_lo
	s_delay_alu instid0(VALU_DEP_3)
	v_cmp_ge_i64_e32 vcc_lo, v[11:12], v[15:16]
	s_wait_alu 0xfffe
	s_or_b32 s6, vcc_lo, s6
	s_wait_loadcnt 0x4
	v_fma_f64 v[9:10], v[24:25], v[28:29], v[9:10]
	v_fma_f64 v[2:3], v[26:27], v[28:29], v[2:3]
	;; [unrolled: 1-line block ×3, first 2 shown]
	s_delay_alu instid0(VALU_DEP_3) | instskip(SKIP_1) | instid1(VALU_DEP_3)
	v_fma_f64 v[9:10], v[21:22], v[30:31], v[9:10]
	s_wait_loadcnt 0x2
	v_fma_f64 v[2:3], v[32:33], v[30:31], v[2:3]
	s_delay_alu instid0(VALU_DEP_3) | instskip(SKIP_1) | instid1(VALU_DEP_3)
	v_fma_f64 v[0:1], v[34:35], v[30:31], v[0:1]
	s_wait_loadcnt 0x1
	v_fma_f64 v[9:10], v[36:37], v[40:41], v[9:10]
	;; [unrolled: 4-line block ×3, first 2 shown]
	s_wait_alu 0xfffe
	s_and_not1_b32 exec_lo, exec_lo, s6
	s_cbranch_execnz .LBB28_22
; %bb.23:
	s_or_b32 exec_lo, exec_lo, s6
.LBB28_24:
	s_wait_alu 0xfffe
	s_or_b32 exec_lo, exec_lo, s3
.LBB28_25:
	v_mbcnt_lo_u32_b32 v17, -1, 0
	s_delay_alu instid0(VALU_DEP_1) | instskip(NEXT) | instid1(VALU_DEP_1)
	v_xor_b32_e32 v11, 16, v17
	v_cmp_gt_i32_e32 vcc_lo, 32, v11
	s_wait_alu 0xfffd
	v_cndmask_b32_e32 v11, v17, v11, vcc_lo
	s_delay_alu instid0(VALU_DEP_1)
	v_lshlrev_b32_e32 v16, 2, v11
	ds_bpermute_b32 v11, v16, v9
	ds_bpermute_b32 v12, v16, v10
	;; [unrolled: 1-line block ×6, first 2 shown]
	s_wait_dscnt 0x4
	v_add_f64_e32 v[9:10], v[9:10], v[11:12]
	v_xor_b32_e32 v11, 8, v17
	s_wait_dscnt 0x2
	v_add_f64_e32 v[2:3], v[2:3], v[13:14]
	s_wait_dscnt 0x0
	v_add_f64_e32 v[0:1], v[0:1], v[15:16]
	v_cmp_gt_i32_e32 vcc_lo, 32, v11
	s_wait_alu 0xfffd
	v_cndmask_b32_e32 v11, v17, v11, vcc_lo
	s_delay_alu instid0(VALU_DEP_1)
	v_lshlrev_b32_e32 v16, 2, v11
	ds_bpermute_b32 v11, v16, v9
	ds_bpermute_b32 v12, v16, v10
	;; [unrolled: 1-line block ×6, first 2 shown]
	s_wait_dscnt 0x4
	v_add_f64_e32 v[9:10], v[9:10], v[11:12]
	v_xor_b32_e32 v11, 4, v17
	s_wait_dscnt 0x2
	v_add_f64_e32 v[2:3], v[2:3], v[13:14]
	s_wait_dscnt 0x0
	v_add_f64_e32 v[0:1], v[0:1], v[15:16]
	v_cmp_gt_i32_e32 vcc_lo, 32, v11
	s_wait_alu 0xfffd
	v_cndmask_b32_e32 v11, v17, v11, vcc_lo
	s_delay_alu instid0(VALU_DEP_1)
	v_lshlrev_b32_e32 v16, 2, v11
	ds_bpermute_b32 v11, v16, v9
	ds_bpermute_b32 v12, v16, v10
	;; [unrolled: 1-line block ×6, first 2 shown]
	s_wait_dscnt 0x4
	v_add_f64_e32 v[9:10], v[9:10], v[11:12]
	s_wait_dscnt 0x2
	v_add_f64_e32 v[2:3], v[2:3], v[13:14]
	;; [unrolled: 2-line block ×3, first 2 shown]
	v_xor_b32_e32 v0, 2, v17
	s_delay_alu instid0(VALU_DEP_1) | instskip(SKIP_2) | instid1(VALU_DEP_1)
	v_cmp_gt_i32_e32 vcc_lo, 32, v0
	s_wait_alu 0xfffd
	v_cndmask_b32_e32 v0, v17, v0, vcc_lo
	v_lshlrev_b32_e32 v16, 2, v0
	ds_bpermute_b32 v0, v16, v9
	ds_bpermute_b32 v1, v16, v10
	;; [unrolled: 1-line block ×6, first 2 shown]
	s_wait_dscnt 0x4
	v_add_f64_e32 v[9:10], v[9:10], v[0:1]
	s_wait_dscnt 0x2
	v_add_f64_e32 v[0:1], v[2:3], v[13:14]
	;; [unrolled: 2-line block ×3, first 2 shown]
	v_xor_b32_e32 v11, 1, v17
	s_delay_alu instid0(VALU_DEP_1) | instskip(SKIP_3) | instid1(VALU_DEP_2)
	v_cmp_gt_i32_e32 vcc_lo, 32, v11
	s_wait_alu 0xfffd
	v_cndmask_b32_e32 v11, v17, v11, vcc_lo
	v_cmp_eq_u32_e32 vcc_lo, 31, v23
	v_lshlrev_b32_e32 v12, 2, v11
	ds_bpermute_b32 v15, v12, v9
	ds_bpermute_b32 v16, v12, v10
	;; [unrolled: 1-line block ×6, first 2 shown]
	s_and_b32 exec_lo, exec_lo, vcc_lo
	s_cbranch_execz .LBB28_10
; %bb.26:
	s_wait_dscnt 0x4
	v_add_f64_e32 v[9:10], v[9:10], v[15:16]
	s_wait_dscnt 0x2
	v_add_f64_e32 v[13:14], v[0:1], v[13:14]
	;; [unrolled: 2-line block ×3, first 2 shown]
	s_load_b64 s[0:1], s[0:1], 0x50
	v_lshl_add_u32 v8, v8, 1, v8
	s_mov_b32 s2, exec_lo
	s_delay_alu instid0(VALU_DEP_4) | instskip(NEXT) | instid1(VALU_DEP_4)
	v_mul_f64_e32 v[0:1], v[6:7], v[9:10]
	v_mul_f64_e32 v[2:3], v[6:7], v[13:14]
	s_delay_alu instid0(VALU_DEP_4)
	v_mul_f64_e32 v[6:7], v[6:7], v[11:12]
	v_ashrrev_i32_e32 v9, 31, v8
	v_cmpx_eq_f64_e32 0, v[4:5]
	s_wait_alu 0xfffe
	s_xor_b32 s2, exec_lo, s2
	s_cbranch_execz .LBB28_28
; %bb.27:
	v_lshlrev_b64_e32 v[4:5], 3, v[8:9]
                                        ; implicit-def: $vgpr8
	s_wait_kmcnt 0x0
	s_delay_alu instid0(VALU_DEP_1) | instskip(SKIP_1) | instid1(VALU_DEP_2)
	v_add_co_u32 v4, vcc_lo, s0, v4
	s_wait_alu 0xfffd
	v_add_co_ci_u32_e64 v5, null, s1, v5, vcc_lo
	s_clause 0x1
	global_store_b128 v[4:5], v[0:3], off
	global_store_b64 v[4:5], v[6:7], off offset:16
                                        ; implicit-def: $vgpr4_vgpr5
                                        ; implicit-def: $vgpr0_vgpr1
                                        ; implicit-def: $vgpr6_vgpr7
.LBB28_28:
	s_wait_alu 0xfffe
	s_and_not1_saveexec_b32 s2, s2
	s_cbranch_execz .LBB28_10
; %bb.29:
	v_lshlrev_b64_e32 v[8:9], 3, v[8:9]
	s_wait_kmcnt 0x0
	s_delay_alu instid0(VALU_DEP_1) | instskip(SKIP_1) | instid1(VALU_DEP_2)
	v_add_co_u32 v12, vcc_lo, s0, v8
	s_wait_alu 0xfffd
	v_add_co_ci_u32_e64 v13, null, s1, v9, vcc_lo
	s_clause 0x1
	global_load_b128 v[8:11], v[12:13], off
	global_load_b64 v[14:15], v[12:13], off offset:16
	s_wait_loadcnt 0x1
	v_fma_f64 v[0:1], v[4:5], v[8:9], v[0:1]
	v_fma_f64 v[2:3], v[4:5], v[10:11], v[2:3]
	s_wait_loadcnt 0x0
	v_fma_f64 v[4:5], v[4:5], v[14:15], v[6:7]
	s_clause 0x1
	global_store_b128 v[12:13], v[0:3], off
	global_store_b64 v[12:13], v[4:5], off offset:16
	s_endpgm
	.section	.rodata,"a",@progbits
	.p2align	6, 0x0
	.amdhsa_kernel _ZN9rocsparseL18bsrxmvn_3x3_kernelILj256ELj32EdlidddEEvT3_20rocsparse_direction_NS_24const_host_device_scalarIT1_EES1_PKS1_PKT2_SA_S7_PKT4_PKT5_S5_PT6_21rocsparse_index_base_b
		.amdhsa_group_segment_fixed_size 0
		.amdhsa_private_segment_fixed_size 0
		.amdhsa_kernarg_size 96
		.amdhsa_user_sgpr_count 2
		.amdhsa_user_sgpr_dispatch_ptr 0
		.amdhsa_user_sgpr_queue_ptr 0
		.amdhsa_user_sgpr_kernarg_segment_ptr 1
		.amdhsa_user_sgpr_dispatch_id 0
		.amdhsa_user_sgpr_private_segment_size 0
		.amdhsa_wavefront_size32 1
		.amdhsa_uses_dynamic_stack 0
		.amdhsa_enable_private_segment 0
		.amdhsa_system_sgpr_workgroup_id_x 1
		.amdhsa_system_sgpr_workgroup_id_y 0
		.amdhsa_system_sgpr_workgroup_id_z 0
		.amdhsa_system_sgpr_workgroup_info 0
		.amdhsa_system_vgpr_workitem_id 0
		.amdhsa_next_free_vgpr 48
		.amdhsa_next_free_sgpr 14
		.amdhsa_reserve_vcc 1
		.amdhsa_float_round_mode_32 0
		.amdhsa_float_round_mode_16_64 0
		.amdhsa_float_denorm_mode_32 3
		.amdhsa_float_denorm_mode_16_64 3
		.amdhsa_fp16_overflow 0
		.amdhsa_workgroup_processor_mode 1
		.amdhsa_memory_ordered 1
		.amdhsa_forward_progress 1
		.amdhsa_inst_pref_size 19
		.amdhsa_round_robin_scheduling 0
		.amdhsa_exception_fp_ieee_invalid_op 0
		.amdhsa_exception_fp_denorm_src 0
		.amdhsa_exception_fp_ieee_div_zero 0
		.amdhsa_exception_fp_ieee_overflow 0
		.amdhsa_exception_fp_ieee_underflow 0
		.amdhsa_exception_fp_ieee_inexact 0
		.amdhsa_exception_int_div_zero 0
	.end_amdhsa_kernel
	.section	.text._ZN9rocsparseL18bsrxmvn_3x3_kernelILj256ELj32EdlidddEEvT3_20rocsparse_direction_NS_24const_host_device_scalarIT1_EES1_PKS1_PKT2_SA_S7_PKT4_PKT5_S5_PT6_21rocsparse_index_base_b,"axG",@progbits,_ZN9rocsparseL18bsrxmvn_3x3_kernelILj256ELj32EdlidddEEvT3_20rocsparse_direction_NS_24const_host_device_scalarIT1_EES1_PKS1_PKT2_SA_S7_PKT4_PKT5_S5_PT6_21rocsparse_index_base_b,comdat
.Lfunc_end28:
	.size	_ZN9rocsparseL18bsrxmvn_3x3_kernelILj256ELj32EdlidddEEvT3_20rocsparse_direction_NS_24const_host_device_scalarIT1_EES1_PKS1_PKT2_SA_S7_PKT4_PKT5_S5_PT6_21rocsparse_index_base_b, .Lfunc_end28-_ZN9rocsparseL18bsrxmvn_3x3_kernelILj256ELj32EdlidddEEvT3_20rocsparse_direction_NS_24const_host_device_scalarIT1_EES1_PKS1_PKT2_SA_S7_PKT4_PKT5_S5_PT6_21rocsparse_index_base_b
                                        ; -- End function
	.set _ZN9rocsparseL18bsrxmvn_3x3_kernelILj256ELj32EdlidddEEvT3_20rocsparse_direction_NS_24const_host_device_scalarIT1_EES1_PKS1_PKT2_SA_S7_PKT4_PKT5_S5_PT6_21rocsparse_index_base_b.num_vgpr, 48
	.set _ZN9rocsparseL18bsrxmvn_3x3_kernelILj256ELj32EdlidddEEvT3_20rocsparse_direction_NS_24const_host_device_scalarIT1_EES1_PKS1_PKT2_SA_S7_PKT4_PKT5_S5_PT6_21rocsparse_index_base_b.num_agpr, 0
	.set _ZN9rocsparseL18bsrxmvn_3x3_kernelILj256ELj32EdlidddEEvT3_20rocsparse_direction_NS_24const_host_device_scalarIT1_EES1_PKS1_PKT2_SA_S7_PKT4_PKT5_S5_PT6_21rocsparse_index_base_b.numbered_sgpr, 14
	.set _ZN9rocsparseL18bsrxmvn_3x3_kernelILj256ELj32EdlidddEEvT3_20rocsparse_direction_NS_24const_host_device_scalarIT1_EES1_PKS1_PKT2_SA_S7_PKT4_PKT5_S5_PT6_21rocsparse_index_base_b.num_named_barrier, 0
	.set _ZN9rocsparseL18bsrxmvn_3x3_kernelILj256ELj32EdlidddEEvT3_20rocsparse_direction_NS_24const_host_device_scalarIT1_EES1_PKS1_PKT2_SA_S7_PKT4_PKT5_S5_PT6_21rocsparse_index_base_b.private_seg_size, 0
	.set _ZN9rocsparseL18bsrxmvn_3x3_kernelILj256ELj32EdlidddEEvT3_20rocsparse_direction_NS_24const_host_device_scalarIT1_EES1_PKS1_PKT2_SA_S7_PKT4_PKT5_S5_PT6_21rocsparse_index_base_b.uses_vcc, 1
	.set _ZN9rocsparseL18bsrxmvn_3x3_kernelILj256ELj32EdlidddEEvT3_20rocsparse_direction_NS_24const_host_device_scalarIT1_EES1_PKS1_PKT2_SA_S7_PKT4_PKT5_S5_PT6_21rocsparse_index_base_b.uses_flat_scratch, 0
	.set _ZN9rocsparseL18bsrxmvn_3x3_kernelILj256ELj32EdlidddEEvT3_20rocsparse_direction_NS_24const_host_device_scalarIT1_EES1_PKS1_PKT2_SA_S7_PKT4_PKT5_S5_PT6_21rocsparse_index_base_b.has_dyn_sized_stack, 0
	.set _ZN9rocsparseL18bsrxmvn_3x3_kernelILj256ELj32EdlidddEEvT3_20rocsparse_direction_NS_24const_host_device_scalarIT1_EES1_PKS1_PKT2_SA_S7_PKT4_PKT5_S5_PT6_21rocsparse_index_base_b.has_recursion, 0
	.set _ZN9rocsparseL18bsrxmvn_3x3_kernelILj256ELj32EdlidddEEvT3_20rocsparse_direction_NS_24const_host_device_scalarIT1_EES1_PKS1_PKT2_SA_S7_PKT4_PKT5_S5_PT6_21rocsparse_index_base_b.has_indirect_call, 0
	.section	.AMDGPU.csdata,"",@progbits
; Kernel info:
; codeLenInByte = 2348
; TotalNumSgprs: 16
; NumVgprs: 48
; ScratchSize: 0
; MemoryBound: 1
; FloatMode: 240
; IeeeMode: 1
; LDSByteSize: 0 bytes/workgroup (compile time only)
; SGPRBlocks: 0
; VGPRBlocks: 5
; NumSGPRsForWavesPerEU: 16
; NumVGPRsForWavesPerEU: 48
; Occupancy: 16
; WaveLimiterHint : 1
; COMPUTE_PGM_RSRC2:SCRATCH_EN: 0
; COMPUTE_PGM_RSRC2:USER_SGPR: 2
; COMPUTE_PGM_RSRC2:TRAP_HANDLER: 0
; COMPUTE_PGM_RSRC2:TGID_X_EN: 1
; COMPUTE_PGM_RSRC2:TGID_Y_EN: 0
; COMPUTE_PGM_RSRC2:TGID_Z_EN: 0
; COMPUTE_PGM_RSRC2:TIDIG_COMP_CNT: 0
	.section	.text._ZN9rocsparseL18bsrxmvn_3x3_kernelILj256ELj64EdlidddEEvT3_20rocsparse_direction_NS_24const_host_device_scalarIT1_EES1_PKS1_PKT2_SA_S7_PKT4_PKT5_S5_PT6_21rocsparse_index_base_b,"axG",@progbits,_ZN9rocsparseL18bsrxmvn_3x3_kernelILj256ELj64EdlidddEEvT3_20rocsparse_direction_NS_24const_host_device_scalarIT1_EES1_PKS1_PKT2_SA_S7_PKT4_PKT5_S5_PT6_21rocsparse_index_base_b,comdat
	.globl	_ZN9rocsparseL18bsrxmvn_3x3_kernelILj256ELj64EdlidddEEvT3_20rocsparse_direction_NS_24const_host_device_scalarIT1_EES1_PKS1_PKT2_SA_S7_PKT4_PKT5_S5_PT6_21rocsparse_index_base_b ; -- Begin function _ZN9rocsparseL18bsrxmvn_3x3_kernelILj256ELj64EdlidddEEvT3_20rocsparse_direction_NS_24const_host_device_scalarIT1_EES1_PKS1_PKT2_SA_S7_PKT4_PKT5_S5_PT6_21rocsparse_index_base_b
	.p2align	8
	.type	_ZN9rocsparseL18bsrxmvn_3x3_kernelILj256ELj64EdlidddEEvT3_20rocsparse_direction_NS_24const_host_device_scalarIT1_EES1_PKS1_PKT2_SA_S7_PKT4_PKT5_S5_PT6_21rocsparse_index_base_b,@function
_ZN9rocsparseL18bsrxmvn_3x3_kernelILj256ELj64EdlidddEEvT3_20rocsparse_direction_NS_24const_host_device_scalarIT1_EES1_PKS1_PKT2_SA_S7_PKT4_PKT5_S5_PT6_21rocsparse_index_base_b: ; @_ZN9rocsparseL18bsrxmvn_3x3_kernelILj256ELj64EdlidddEEvT3_20rocsparse_direction_NS_24const_host_device_scalarIT1_EES1_PKS1_PKT2_SA_S7_PKT4_PKT5_S5_PT6_21rocsparse_index_base_b
; %bb.0:
	s_clause 0x2
	s_load_b64 s[12:13], s[0:1], 0x58
	s_load_b64 s[4:5], s[0:1], 0x8
	s_load_b64 s[2:3], s[0:1], 0x48
	s_wait_kmcnt 0x0
	s_bitcmp1_b32 s13, 0
	v_dual_mov_b32 v7, s5 :: v_dual_mov_b32 v6, s4
	s_cselect_b32 s6, -1, 0
	s_delay_alu instid0(SALU_CYCLE_1)
	s_and_b32 vcc_lo, exec_lo, s6
	s_xor_b32 s6, s6, -1
	s_cbranch_vccnz .LBB29_2
; %bb.1:
	v_dual_mov_b32 v1, s4 :: v_dual_mov_b32 v2, s5
	flat_load_b64 v[6:7], v[1:2]
.LBB29_2:
	v_dual_mov_b32 v5, s3 :: v_dual_mov_b32 v4, s2
	s_and_not1_b32 vcc_lo, exec_lo, s6
	s_cbranch_vccnz .LBB29_4
; %bb.3:
	v_dual_mov_b32 v1, s2 :: v_dual_mov_b32 v2, s3
	flat_load_b64 v[4:5], v[1:2]
.LBB29_4:
	s_wait_loadcnt_dscnt 0x0
	v_cmp_neq_f64_e32 vcc_lo, 0, v[6:7]
	v_cmp_neq_f64_e64 s2, 1.0, v[4:5]
	s_or_b32 s2, vcc_lo, s2
	s_wait_alu 0xfffe
	s_and_saveexec_b32 s3, s2
	s_cbranch_execz .LBB29_10
; %bb.5:
	s_clause 0x1
	s_load_b64 s[4:5], s[0:1], 0x18
	s_load_b64 s[2:3], s[0:1], 0x0
	v_lshrrev_b32_e32 v1, 6, v0
	s_delay_alu instid0(VALU_DEP_1)
	v_lshl_or_b32 v8, ttmp9, 2, v1
	s_wait_kmcnt 0x0
	s_cmp_lg_u64 s[4:5], 0
	s_cbranch_scc0 .LBB29_11
; %bb.6:
	s_load_b32 s6, s[0:1], 0x10
	s_mov_b32 s7, 0
                                        ; implicit-def: $vgpr1
	s_wait_kmcnt 0x0
	v_cmp_gt_i32_e32 vcc_lo, s6, v8
	s_mov_b32 s6, 0
	s_and_saveexec_b32 s8, vcc_lo
	s_delay_alu instid0(SALU_CYCLE_1)
	s_xor_b32 s8, exec_lo, s8
	s_cbranch_execz .LBB29_8
; %bb.7:
	v_ashrrev_i32_e32 v9, 31, v8
	s_mov_b32 s6, exec_lo
	s_delay_alu instid0(VALU_DEP_1) | instskip(NEXT) | instid1(VALU_DEP_1)
	v_lshlrev_b64_e32 v[1:2], 2, v[8:9]
	v_add_co_u32 v1, vcc_lo, s4, v1
	s_delay_alu instid0(VALU_DEP_1)
	v_add_co_ci_u32_e64 v2, null, s5, v2, vcc_lo
	global_load_b32 v1, v[1:2], off
	s_wait_loadcnt 0x0
	v_subrev_nc_u32_e32 v1, s12, v1
.LBB29_8:
	s_or_b32 exec_lo, exec_lo, s8
	s_delay_alu instid0(SALU_CYCLE_1)
	s_and_b32 vcc_lo, exec_lo, s7
	s_wait_alu 0xfffe
	s_cbranch_vccz .LBB29_12
.LBB29_9:
	v_cmp_gt_i32_e32 vcc_lo, s2, v8
	s_and_not1_b32 s2, s6, exec_lo
	s_and_b32 s4, vcc_lo, exec_lo
	s_wait_alu 0xfffe
	s_or_b32 s6, s2, s4
	s_wait_alu 0xfffe
	s_and_b32 exec_lo, exec_lo, s6
	s_cbranch_execnz .LBB29_13
.LBB29_10:
	s_endpgm
.LBB29_11:
	s_mov_b32 s6, 0
                                        ; implicit-def: $vgpr1
	s_cbranch_execnz .LBB29_9
.LBB29_12:
	v_mov_b32_e32 v8, v1
	s_and_b32 exec_lo, exec_lo, s6
	s_cbranch_execz .LBB29_10
.LBB29_13:
	s_load_b256 s[4:11], s[0:1], 0x20
	s_delay_alu instid0(VALU_DEP_1) | instskip(SKIP_1) | instid1(VALU_DEP_2)
	v_ashrrev_i32_e32 v9, 31, v8
	v_and_b32_e32 v23, 63, v0
	v_lshlrev_b64_e32 v[1:2], 3, v[8:9]
	s_wait_kmcnt 0x0
	s_delay_alu instid0(VALU_DEP_1) | instskip(SKIP_1) | instid1(VALU_DEP_2)
	v_add_co_u32 v9, vcc_lo, s4, v1
	s_wait_alu 0xfffd
	v_add_co_ci_u32_e64 v10, null, s5, v2, vcc_lo
	v_add_co_u32 v1, vcc_lo, s6, v1
	s_wait_alu 0xfffd
	v_add_co_ci_u32_e64 v2, null, s7, v2, vcc_lo
	global_load_b64 v[11:12], v[9:10], off
	v_add_co_u32 v3, vcc_lo, v9, 8
	s_wait_alu 0xfffd
	v_add_co_ci_u32_e64 v9, null, 0, v10, vcc_lo
	s_cmp_eq_u64 s[6:7], 0
	s_load_b64 s[4:5], s[0:1], 0x40
	s_cselect_b32 vcc_lo, -1, 0
	s_cmp_eq_u32 s3, 1
	s_wait_alu 0xfffe
	v_dual_cndmask_b32 v2, v2, v9 :: v_dual_cndmask_b32 v1, v1, v3
	global_load_b64 v[1:2], v[1:2], off
	s_wait_loadcnt 0x1
	v_sub_co_u32 v0, vcc_lo, v11, s12
	s_wait_alu 0xfffd
	v_subrev_co_ci_u32_e64 v3, null, 0, v12, vcc_lo
	s_delay_alu instid0(VALU_DEP_2) | instskip(SKIP_1) | instid1(VALU_DEP_2)
	v_add_co_u32 v11, vcc_lo, v0, v23
	s_wait_alu 0xfffd
	v_add_co_ci_u32_e64 v12, null, 0, v3, vcc_lo
	s_delay_alu instid0(VALU_DEP_2) | instskip(SKIP_4) | instid1(VALU_DEP_3)
	v_mad_co_u64_u32 v[13:14], null, 0x48, v11, s[10:11]
	s_wait_loadcnt 0x0
	v_sub_co_u32 v15, vcc_lo, v1, s12
	s_wait_alu 0xfffd
	v_subrev_co_ci_u32_e64 v16, null, 0, v2, vcc_lo
	v_mov_b32_e32 v0, v14
	s_delay_alu instid0(VALU_DEP_2) | instskip(NEXT) | instid1(VALU_DEP_2)
	v_cmp_lt_i64_e64 s2, v[11:12], v[15:16]
	v_mad_co_u64_u32 v[9:10], null, 0x48, v12, v[0:1]
	s_delay_alu instid0(VALU_DEP_1)
	v_mov_b32_e32 v14, v9
	s_cbranch_scc1 .LBB29_19
; %bb.14:
	v_mov_b32_e32 v0, 0
	v_dual_mov_b32 v1, 0 :: v_dual_mov_b32 v2, 0
	v_mov_b32_e32 v9, 0
	v_dual_mov_b32 v3, 0 :: v_dual_mov_b32 v10, 0
	s_and_saveexec_b32 s6, s2
	s_cbranch_execz .LBB29_18
; %bb.15:
	v_lshlrev_b64_e32 v[2:3], 2, v[11:12]
	v_mov_b32_e32 v0, 0
	v_dual_mov_b32 v1, 0 :: v_dual_mov_b32 v18, v14
	v_dual_mov_b32 v17, v13 :: v_dual_mov_b32 v22, v12
	v_mov_b32_e32 v21, v11
	v_add_co_u32 v19, vcc_lo, s8, v2
	s_wait_alu 0xfffd
	v_add_co_ci_u32_e64 v20, null, s9, v3, vcc_lo
	v_dual_mov_b32 v2, 0 :: v_dual_mov_b32 v9, 0
	v_dual_mov_b32 v3, 0 :: v_dual_mov_b32 v10, 0
	s_mov_b32 s7, 0
.LBB29_16:                              ; =>This Inner Loop Header: Depth=1
	global_load_b32 v28, v[19:20], off
	global_load_b128 v[24:27], v[17:18], off offset:48
	v_add_co_u32 v19, s3, 0x100, v19
	s_wait_alu 0xf1ff
	v_add_co_ci_u32_e64 v20, null, 0, v20, s3
	s_wait_loadcnt 0x1
	v_subrev_nc_u32_e32 v28, s12, v28
	s_delay_alu instid0(VALU_DEP_1) | instskip(NEXT) | instid1(VALU_DEP_1)
	v_lshl_add_u32 v28, v28, 1, v28
	v_ashrrev_i32_e32 v29, 31, v28
	s_delay_alu instid0(VALU_DEP_1) | instskip(SKIP_1) | instid1(VALU_DEP_1)
	v_lshlrev_b64_e32 v[28:29], 3, v[28:29]
	s_wait_kmcnt 0x0
	v_add_co_u32 v40, vcc_lo, s4, v28
	s_wait_alu 0xfffd
	s_delay_alu instid0(VALU_DEP_2)
	v_add_co_ci_u32_e64 v41, null, s5, v29, vcc_lo
	v_add_co_u32 v21, vcc_lo, v21, 64
	s_clause 0x1
	global_load_b128 v[28:31], v[17:18], off offset:16
	global_load_b128 v[32:35], v[17:18], off
	s_clause 0x1
	global_load_b128 v[36:39], v[40:41], off
	global_load_b64 v[44:45], v[40:41], off offset:16
	s_clause 0x1
	global_load_b128 v[40:43], v[17:18], off offset:32
	global_load_b64 v[46:47], v[17:18], off offset:64
	s_wait_alu 0xfffd
	v_add_co_ci_u32_e64 v22, null, 0, v22, vcc_lo
	v_add_co_u32 v17, vcc_lo, 0x1200, v17
	s_wait_alu 0xfffd
	v_add_co_ci_u32_e64 v18, null, 0, v18, vcc_lo
	s_delay_alu instid0(VALU_DEP_3)
	v_cmp_ge_i64_e32 vcc_lo, v[21:22], v[15:16]
	s_wait_alu 0xfffe
	s_or_b32 s7, vcc_lo, s7
	s_wait_loadcnt 0x3
	v_fma_f64 v[9:10], v[32:33], v[36:37], v[9:10]
	v_fma_f64 v[2:3], v[30:31], v[36:37], v[2:3]
	;; [unrolled: 1-line block ×3, first 2 shown]
	s_delay_alu instid0(VALU_DEP_3) | instskip(SKIP_1) | instid1(VALU_DEP_3)
	v_fma_f64 v[9:10], v[34:35], v[38:39], v[9:10]
	s_wait_loadcnt 0x1
	v_fma_f64 v[2:3], v[40:41], v[38:39], v[2:3]
	s_delay_alu instid0(VALU_DEP_3) | instskip(NEXT) | instid1(VALU_DEP_3)
	v_fma_f64 v[0:1], v[26:27], v[38:39], v[0:1]
	v_fma_f64 v[9:10], v[28:29], v[44:45], v[9:10]
	s_delay_alu instid0(VALU_DEP_3) | instskip(SKIP_1) | instid1(VALU_DEP_3)
	v_fma_f64 v[2:3], v[42:43], v[44:45], v[2:3]
	s_wait_loadcnt 0x0
	v_fma_f64 v[0:1], v[46:47], v[44:45], v[0:1]
	s_wait_alu 0xfffe
	s_and_not1_b32 exec_lo, exec_lo, s7
	s_cbranch_execnz .LBB29_16
; %bb.17:
	s_or_b32 exec_lo, exec_lo, s7
.LBB29_18:
	s_wait_alu 0xfffe
	s_or_b32 exec_lo, exec_lo, s6
	s_cbranch_execz .LBB29_20
	s_branch .LBB29_25
.LBB29_19:
                                        ; implicit-def: $vgpr0_vgpr1
                                        ; implicit-def: $vgpr2_vgpr3
                                        ; implicit-def: $vgpr9_vgpr10
.LBB29_20:
	v_mov_b32_e32 v0, 0
	v_dual_mov_b32 v1, 0 :: v_dual_mov_b32 v2, 0
	v_mov_b32_e32 v9, 0
	v_dual_mov_b32 v3, 0 :: v_dual_mov_b32 v10, 0
	s_and_saveexec_b32 s3, s2
	s_cbranch_execz .LBB29_24
; %bb.21:
	v_lshlrev_b64_e32 v[17:18], 2, v[11:12]
	v_mov_b32_e32 v0, 0
	v_dual_mov_b32 v1, 0 :: v_dual_mov_b32 v2, 0
	v_mov_b32_e32 v9, 0
	v_mov_b32_e32 v3, 0
	v_add_co_u32 v17, vcc_lo, s8, v17
	v_mov_b32_e32 v10, 0
	s_wait_alu 0xfffd
	v_add_co_ci_u32_e64 v18, null, s9, v18, vcc_lo
	s_mov_b32 s6, 0
.LBB29_22:                              ; =>This Inner Loop Header: Depth=1
	global_load_b32 v19, v[17:18], off
	v_add_co_u32 v17, s2, 0x100, v17
	s_wait_alu 0xf1ff
	v_add_co_ci_u32_e64 v18, null, 0, v18, s2
	s_wait_loadcnt 0x0
	v_subrev_nc_u32_e32 v19, s12, v19
	s_delay_alu instid0(VALU_DEP_1) | instskip(NEXT) | instid1(VALU_DEP_1)
	v_lshl_add_u32 v19, v19, 1, v19
	v_ashrrev_i32_e32 v20, 31, v19
	s_delay_alu instid0(VALU_DEP_1) | instskip(SKIP_1) | instid1(VALU_DEP_1)
	v_lshlrev_b64_e32 v[19:20], 3, v[19:20]
	s_wait_kmcnt 0x0
	v_add_co_u32 v32, vcc_lo, s4, v19
	s_wait_alu 0xfffd
	s_delay_alu instid0(VALU_DEP_2)
	v_add_co_ci_u32_e64 v33, null, s5, v20, vcc_lo
	v_add_co_u32 v11, vcc_lo, v11, 64
	s_clause 0x1
	global_load_b128 v[19:22], v[13:14], off offset:16
	global_load_b128 v[24:27], v[13:14], off
	s_clause 0x1
	global_load_b128 v[28:31], v[32:33], off
	global_load_b64 v[40:41], v[32:33], off offset:16
	s_clause 0x2
	global_load_b128 v[32:35], v[13:14], off offset:32
	global_load_b128 v[36:39], v[13:14], off offset:48
	global_load_b64 v[42:43], v[13:14], off offset:64
	s_wait_alu 0xfffd
	v_add_co_ci_u32_e64 v12, null, 0, v12, vcc_lo
	v_add_co_u32 v13, vcc_lo, 0x1200, v13
	s_wait_alu 0xfffd
	v_add_co_ci_u32_e64 v14, null, 0, v14, vcc_lo
	s_delay_alu instid0(VALU_DEP_3)
	v_cmp_ge_i64_e32 vcc_lo, v[11:12], v[15:16]
	s_wait_alu 0xfffe
	s_or_b32 s6, vcc_lo, s6
	s_wait_loadcnt 0x4
	v_fma_f64 v[9:10], v[24:25], v[28:29], v[9:10]
	v_fma_f64 v[2:3], v[26:27], v[28:29], v[2:3]
	;; [unrolled: 1-line block ×3, first 2 shown]
	s_delay_alu instid0(VALU_DEP_3) | instskip(SKIP_1) | instid1(VALU_DEP_3)
	v_fma_f64 v[9:10], v[21:22], v[30:31], v[9:10]
	s_wait_loadcnt 0x2
	v_fma_f64 v[2:3], v[32:33], v[30:31], v[2:3]
	s_delay_alu instid0(VALU_DEP_3) | instskip(SKIP_1) | instid1(VALU_DEP_3)
	v_fma_f64 v[0:1], v[34:35], v[30:31], v[0:1]
	s_wait_loadcnt 0x1
	v_fma_f64 v[9:10], v[36:37], v[40:41], v[9:10]
	;; [unrolled: 4-line block ×3, first 2 shown]
	s_wait_alu 0xfffe
	s_and_not1_b32 exec_lo, exec_lo, s6
	s_cbranch_execnz .LBB29_22
; %bb.23:
	s_or_b32 exec_lo, exec_lo, s6
.LBB29_24:
	s_wait_alu 0xfffe
	s_or_b32 exec_lo, exec_lo, s3
.LBB29_25:
	v_mbcnt_lo_u32_b32 v17, -1, 0
	s_delay_alu instid0(VALU_DEP_1) | instskip(NEXT) | instid1(VALU_DEP_1)
	v_or_b32_e32 v11, 32, v17
	v_cmp_gt_i32_e32 vcc_lo, 32, v11
	s_wait_alu 0xfffd
	v_cndmask_b32_e32 v11, v17, v11, vcc_lo
	s_delay_alu instid0(VALU_DEP_1)
	v_lshlrev_b32_e32 v16, 2, v11
	ds_bpermute_b32 v11, v16, v9
	ds_bpermute_b32 v12, v16, v10
	ds_bpermute_b32 v13, v16, v2
	ds_bpermute_b32 v14, v16, v3
	ds_bpermute_b32 v15, v16, v0
	ds_bpermute_b32 v16, v16, v1
	s_wait_dscnt 0x4
	v_add_f64_e32 v[9:10], v[9:10], v[11:12]
	v_xor_b32_e32 v11, 16, v17
	s_wait_dscnt 0x2
	v_add_f64_e32 v[2:3], v[2:3], v[13:14]
	s_wait_dscnt 0x0
	v_add_f64_e32 v[0:1], v[0:1], v[15:16]
	v_cmp_gt_i32_e32 vcc_lo, 32, v11
	s_wait_alu 0xfffd
	v_cndmask_b32_e32 v11, v17, v11, vcc_lo
	s_delay_alu instid0(VALU_DEP_1)
	v_lshlrev_b32_e32 v16, 2, v11
	ds_bpermute_b32 v11, v16, v9
	ds_bpermute_b32 v12, v16, v10
	ds_bpermute_b32 v13, v16, v2
	ds_bpermute_b32 v14, v16, v3
	ds_bpermute_b32 v15, v16, v0
	ds_bpermute_b32 v16, v16, v1
	s_wait_dscnt 0x4
	v_add_f64_e32 v[9:10], v[9:10], v[11:12]
	v_xor_b32_e32 v11, 8, v17
	s_wait_dscnt 0x2
	v_add_f64_e32 v[2:3], v[2:3], v[13:14]
	s_wait_dscnt 0x0
	v_add_f64_e32 v[0:1], v[0:1], v[15:16]
	;; [unrolled: 18-line block ×3, first 2 shown]
	v_cmp_gt_i32_e32 vcc_lo, 32, v11
	s_wait_alu 0xfffd
	v_cndmask_b32_e32 v11, v17, v11, vcc_lo
	s_delay_alu instid0(VALU_DEP_1)
	v_lshlrev_b32_e32 v16, 2, v11
	ds_bpermute_b32 v11, v16, v9
	ds_bpermute_b32 v12, v16, v10
	;; [unrolled: 1-line block ×6, first 2 shown]
	s_wait_dscnt 0x4
	v_add_f64_e32 v[9:10], v[9:10], v[11:12]
	s_wait_dscnt 0x2
	v_add_f64_e32 v[2:3], v[2:3], v[13:14]
	;; [unrolled: 2-line block ×3, first 2 shown]
	v_xor_b32_e32 v0, 2, v17
	s_delay_alu instid0(VALU_DEP_1) | instskip(SKIP_2) | instid1(VALU_DEP_1)
	v_cmp_gt_i32_e32 vcc_lo, 32, v0
	s_wait_alu 0xfffd
	v_cndmask_b32_e32 v0, v17, v0, vcc_lo
	v_lshlrev_b32_e32 v16, 2, v0
	ds_bpermute_b32 v0, v16, v9
	ds_bpermute_b32 v1, v16, v10
	;; [unrolled: 1-line block ×6, first 2 shown]
	s_wait_dscnt 0x4
	v_add_f64_e32 v[9:10], v[9:10], v[0:1]
	s_wait_dscnt 0x2
	v_add_f64_e32 v[0:1], v[2:3], v[13:14]
	;; [unrolled: 2-line block ×3, first 2 shown]
	v_xor_b32_e32 v11, 1, v17
	s_delay_alu instid0(VALU_DEP_1) | instskip(SKIP_3) | instid1(VALU_DEP_2)
	v_cmp_gt_i32_e32 vcc_lo, 32, v11
	s_wait_alu 0xfffd
	v_cndmask_b32_e32 v11, v17, v11, vcc_lo
	v_cmp_eq_u32_e32 vcc_lo, 63, v23
	v_lshlrev_b32_e32 v12, 2, v11
	ds_bpermute_b32 v15, v12, v9
	ds_bpermute_b32 v16, v12, v10
	;; [unrolled: 1-line block ×6, first 2 shown]
	s_and_b32 exec_lo, exec_lo, vcc_lo
	s_cbranch_execz .LBB29_10
; %bb.26:
	s_wait_dscnt 0x4
	v_add_f64_e32 v[9:10], v[9:10], v[15:16]
	s_wait_dscnt 0x2
	v_add_f64_e32 v[13:14], v[0:1], v[13:14]
	;; [unrolled: 2-line block ×3, first 2 shown]
	s_load_b64 s[0:1], s[0:1], 0x50
	v_lshl_add_u32 v8, v8, 1, v8
	s_mov_b32 s2, exec_lo
	s_delay_alu instid0(VALU_DEP_4) | instskip(NEXT) | instid1(VALU_DEP_4)
	v_mul_f64_e32 v[0:1], v[6:7], v[9:10]
	v_mul_f64_e32 v[2:3], v[6:7], v[13:14]
	s_delay_alu instid0(VALU_DEP_4)
	v_mul_f64_e32 v[6:7], v[6:7], v[11:12]
	v_ashrrev_i32_e32 v9, 31, v8
	v_cmpx_eq_f64_e32 0, v[4:5]
	s_wait_alu 0xfffe
	s_xor_b32 s2, exec_lo, s2
	s_cbranch_execz .LBB29_28
; %bb.27:
	v_lshlrev_b64_e32 v[4:5], 3, v[8:9]
                                        ; implicit-def: $vgpr8
	s_wait_kmcnt 0x0
	s_delay_alu instid0(VALU_DEP_1) | instskip(SKIP_1) | instid1(VALU_DEP_2)
	v_add_co_u32 v4, vcc_lo, s0, v4
	s_wait_alu 0xfffd
	v_add_co_ci_u32_e64 v5, null, s1, v5, vcc_lo
	s_clause 0x1
	global_store_b128 v[4:5], v[0:3], off
	global_store_b64 v[4:5], v[6:7], off offset:16
                                        ; implicit-def: $vgpr4_vgpr5
                                        ; implicit-def: $vgpr0_vgpr1
                                        ; implicit-def: $vgpr6_vgpr7
.LBB29_28:
	s_wait_alu 0xfffe
	s_and_not1_saveexec_b32 s2, s2
	s_cbranch_execz .LBB29_10
; %bb.29:
	v_lshlrev_b64_e32 v[8:9], 3, v[8:9]
	s_wait_kmcnt 0x0
	s_delay_alu instid0(VALU_DEP_1) | instskip(SKIP_1) | instid1(VALU_DEP_2)
	v_add_co_u32 v12, vcc_lo, s0, v8
	s_wait_alu 0xfffd
	v_add_co_ci_u32_e64 v13, null, s1, v9, vcc_lo
	s_clause 0x1
	global_load_b128 v[8:11], v[12:13], off
	global_load_b64 v[14:15], v[12:13], off offset:16
	s_wait_loadcnt 0x1
	v_fma_f64 v[0:1], v[4:5], v[8:9], v[0:1]
	v_fma_f64 v[2:3], v[4:5], v[10:11], v[2:3]
	s_wait_loadcnt 0x0
	v_fma_f64 v[4:5], v[4:5], v[14:15], v[6:7]
	s_clause 0x1
	global_store_b128 v[12:13], v[0:3], off
	global_store_b64 v[12:13], v[4:5], off offset:16
	s_endpgm
	.section	.rodata,"a",@progbits
	.p2align	6, 0x0
	.amdhsa_kernel _ZN9rocsparseL18bsrxmvn_3x3_kernelILj256ELj64EdlidddEEvT3_20rocsparse_direction_NS_24const_host_device_scalarIT1_EES1_PKS1_PKT2_SA_S7_PKT4_PKT5_S5_PT6_21rocsparse_index_base_b
		.amdhsa_group_segment_fixed_size 0
		.amdhsa_private_segment_fixed_size 0
		.amdhsa_kernarg_size 96
		.amdhsa_user_sgpr_count 2
		.amdhsa_user_sgpr_dispatch_ptr 0
		.amdhsa_user_sgpr_queue_ptr 0
		.amdhsa_user_sgpr_kernarg_segment_ptr 1
		.amdhsa_user_sgpr_dispatch_id 0
		.amdhsa_user_sgpr_private_segment_size 0
		.amdhsa_wavefront_size32 1
		.amdhsa_uses_dynamic_stack 0
		.amdhsa_enable_private_segment 0
		.amdhsa_system_sgpr_workgroup_id_x 1
		.amdhsa_system_sgpr_workgroup_id_y 0
		.amdhsa_system_sgpr_workgroup_id_z 0
		.amdhsa_system_sgpr_workgroup_info 0
		.amdhsa_system_vgpr_workitem_id 0
		.amdhsa_next_free_vgpr 48
		.amdhsa_next_free_sgpr 14
		.amdhsa_reserve_vcc 1
		.amdhsa_float_round_mode_32 0
		.amdhsa_float_round_mode_16_64 0
		.amdhsa_float_denorm_mode_32 3
		.amdhsa_float_denorm_mode_16_64 3
		.amdhsa_fp16_overflow 0
		.amdhsa_workgroup_processor_mode 1
		.amdhsa_memory_ordered 1
		.amdhsa_forward_progress 1
		.amdhsa_inst_pref_size 20
		.amdhsa_round_robin_scheduling 0
		.amdhsa_exception_fp_ieee_invalid_op 0
		.amdhsa_exception_fp_denorm_src 0
		.amdhsa_exception_fp_ieee_div_zero 0
		.amdhsa_exception_fp_ieee_overflow 0
		.amdhsa_exception_fp_ieee_underflow 0
		.amdhsa_exception_fp_ieee_inexact 0
		.amdhsa_exception_int_div_zero 0
	.end_amdhsa_kernel
	.section	.text._ZN9rocsparseL18bsrxmvn_3x3_kernelILj256ELj64EdlidddEEvT3_20rocsparse_direction_NS_24const_host_device_scalarIT1_EES1_PKS1_PKT2_SA_S7_PKT4_PKT5_S5_PT6_21rocsparse_index_base_b,"axG",@progbits,_ZN9rocsparseL18bsrxmvn_3x3_kernelILj256ELj64EdlidddEEvT3_20rocsparse_direction_NS_24const_host_device_scalarIT1_EES1_PKS1_PKT2_SA_S7_PKT4_PKT5_S5_PT6_21rocsparse_index_base_b,comdat
.Lfunc_end29:
	.size	_ZN9rocsparseL18bsrxmvn_3x3_kernelILj256ELj64EdlidddEEvT3_20rocsparse_direction_NS_24const_host_device_scalarIT1_EES1_PKS1_PKT2_SA_S7_PKT4_PKT5_S5_PT6_21rocsparse_index_base_b, .Lfunc_end29-_ZN9rocsparseL18bsrxmvn_3x3_kernelILj256ELj64EdlidddEEvT3_20rocsparse_direction_NS_24const_host_device_scalarIT1_EES1_PKS1_PKT2_SA_S7_PKT4_PKT5_S5_PT6_21rocsparse_index_base_b
                                        ; -- End function
	.set _ZN9rocsparseL18bsrxmvn_3x3_kernelILj256ELj64EdlidddEEvT3_20rocsparse_direction_NS_24const_host_device_scalarIT1_EES1_PKS1_PKT2_SA_S7_PKT4_PKT5_S5_PT6_21rocsparse_index_base_b.num_vgpr, 48
	.set _ZN9rocsparseL18bsrxmvn_3x3_kernelILj256ELj64EdlidddEEvT3_20rocsparse_direction_NS_24const_host_device_scalarIT1_EES1_PKS1_PKT2_SA_S7_PKT4_PKT5_S5_PT6_21rocsparse_index_base_b.num_agpr, 0
	.set _ZN9rocsparseL18bsrxmvn_3x3_kernelILj256ELj64EdlidddEEvT3_20rocsparse_direction_NS_24const_host_device_scalarIT1_EES1_PKS1_PKT2_SA_S7_PKT4_PKT5_S5_PT6_21rocsparse_index_base_b.numbered_sgpr, 14
	.set _ZN9rocsparseL18bsrxmvn_3x3_kernelILj256ELj64EdlidddEEvT3_20rocsparse_direction_NS_24const_host_device_scalarIT1_EES1_PKS1_PKT2_SA_S7_PKT4_PKT5_S5_PT6_21rocsparse_index_base_b.num_named_barrier, 0
	.set _ZN9rocsparseL18bsrxmvn_3x3_kernelILj256ELj64EdlidddEEvT3_20rocsparse_direction_NS_24const_host_device_scalarIT1_EES1_PKS1_PKT2_SA_S7_PKT4_PKT5_S5_PT6_21rocsparse_index_base_b.private_seg_size, 0
	.set _ZN9rocsparseL18bsrxmvn_3x3_kernelILj256ELj64EdlidddEEvT3_20rocsparse_direction_NS_24const_host_device_scalarIT1_EES1_PKS1_PKT2_SA_S7_PKT4_PKT5_S5_PT6_21rocsparse_index_base_b.uses_vcc, 1
	.set _ZN9rocsparseL18bsrxmvn_3x3_kernelILj256ELj64EdlidddEEvT3_20rocsparse_direction_NS_24const_host_device_scalarIT1_EES1_PKS1_PKT2_SA_S7_PKT4_PKT5_S5_PT6_21rocsparse_index_base_b.uses_flat_scratch, 0
	.set _ZN9rocsparseL18bsrxmvn_3x3_kernelILj256ELj64EdlidddEEvT3_20rocsparse_direction_NS_24const_host_device_scalarIT1_EES1_PKS1_PKT2_SA_S7_PKT4_PKT5_S5_PT6_21rocsparse_index_base_b.has_dyn_sized_stack, 0
	.set _ZN9rocsparseL18bsrxmvn_3x3_kernelILj256ELj64EdlidddEEvT3_20rocsparse_direction_NS_24const_host_device_scalarIT1_EES1_PKS1_PKT2_SA_S7_PKT4_PKT5_S5_PT6_21rocsparse_index_base_b.has_recursion, 0
	.set _ZN9rocsparseL18bsrxmvn_3x3_kernelILj256ELj64EdlidddEEvT3_20rocsparse_direction_NS_24const_host_device_scalarIT1_EES1_PKS1_PKT2_SA_S7_PKT4_PKT5_S5_PT6_21rocsparse_index_base_b.has_indirect_call, 0
	.section	.AMDGPU.csdata,"",@progbits
; Kernel info:
; codeLenInByte = 2444
; TotalNumSgprs: 16
; NumVgprs: 48
; ScratchSize: 0
; MemoryBound: 1
; FloatMode: 240
; IeeeMode: 1
; LDSByteSize: 0 bytes/workgroup (compile time only)
; SGPRBlocks: 0
; VGPRBlocks: 5
; NumSGPRsForWavesPerEU: 16
; NumVGPRsForWavesPerEU: 48
; Occupancy: 16
; WaveLimiterHint : 1
; COMPUTE_PGM_RSRC2:SCRATCH_EN: 0
; COMPUTE_PGM_RSRC2:USER_SGPR: 2
; COMPUTE_PGM_RSRC2:TRAP_HANDLER: 0
; COMPUTE_PGM_RSRC2:TGID_X_EN: 1
; COMPUTE_PGM_RSRC2:TGID_Y_EN: 0
; COMPUTE_PGM_RSRC2:TGID_Z_EN: 0
; COMPUTE_PGM_RSRC2:TIDIG_COMP_CNT: 0
	.section	.text._ZN9rocsparseL18bsrxmvn_3x3_kernelILj256ELj4E21rocsparse_complex_numIfEliS2_S2_S2_EEvT3_20rocsparse_direction_NS_24const_host_device_scalarIT1_EES3_PKS3_PKT2_SC_S9_PKT4_PKT5_S7_PT6_21rocsparse_index_base_b,"axG",@progbits,_ZN9rocsparseL18bsrxmvn_3x3_kernelILj256ELj4E21rocsparse_complex_numIfEliS2_S2_S2_EEvT3_20rocsparse_direction_NS_24const_host_device_scalarIT1_EES3_PKS3_PKT2_SC_S9_PKT4_PKT5_S7_PT6_21rocsparse_index_base_b,comdat
	.globl	_ZN9rocsparseL18bsrxmvn_3x3_kernelILj256ELj4E21rocsparse_complex_numIfEliS2_S2_S2_EEvT3_20rocsparse_direction_NS_24const_host_device_scalarIT1_EES3_PKS3_PKT2_SC_S9_PKT4_PKT5_S7_PT6_21rocsparse_index_base_b ; -- Begin function _ZN9rocsparseL18bsrxmvn_3x3_kernelILj256ELj4E21rocsparse_complex_numIfEliS2_S2_S2_EEvT3_20rocsparse_direction_NS_24const_host_device_scalarIT1_EES3_PKS3_PKT2_SC_S9_PKT4_PKT5_S7_PT6_21rocsparse_index_base_b
	.p2align	8
	.type	_ZN9rocsparseL18bsrxmvn_3x3_kernelILj256ELj4E21rocsparse_complex_numIfEliS2_S2_S2_EEvT3_20rocsparse_direction_NS_24const_host_device_scalarIT1_EES3_PKS3_PKT2_SC_S9_PKT4_PKT5_S7_PT6_21rocsparse_index_base_b,@function
_ZN9rocsparseL18bsrxmvn_3x3_kernelILj256ELj4E21rocsparse_complex_numIfEliS2_S2_S2_EEvT3_20rocsparse_direction_NS_24const_host_device_scalarIT1_EES3_PKS3_PKT2_SC_S9_PKT4_PKT5_S7_PT6_21rocsparse_index_base_b: ; @_ZN9rocsparseL18bsrxmvn_3x3_kernelILj256ELj4E21rocsparse_complex_numIfEliS2_S2_S2_EEvT3_20rocsparse_direction_NS_24const_host_device_scalarIT1_EES3_PKS3_PKT2_SC_S9_PKT4_PKT5_S7_PT6_21rocsparse_index_base_b
; %bb.0:
	s_clause 0x2
	s_load_b64 s[12:13], s[0:1], 0x58
	s_load_b64 s[2:3], s[0:1], 0x8
	;; [unrolled: 1-line block ×3, first 2 shown]
	s_add_nc_u64 s[6:7], s[0:1], 8
	s_wait_kmcnt 0x0
	s_bitcmp1_b32 s13, 0
	s_cselect_b32 s2, s6, s2
	s_cselect_b32 s3, s7, s3
	s_delay_alu instid0(SALU_CYCLE_1)
	v_dual_mov_b32 v1, s2 :: v_dual_mov_b32 v2, s3
	s_add_nc_u64 s[2:3], s[0:1], 0x48
	s_wait_alu 0xfffe
	s_cselect_b32 s2, s2, s4
	s_cselect_b32 s3, s3, s5
	flat_load_b64 v[6:7], v[1:2]
	s_wait_alu 0xfffe
	v_dual_mov_b32 v1, s2 :: v_dual_mov_b32 v2, s3
	flat_load_b64 v[4:5], v[1:2]
	s_wait_loadcnt_dscnt 0x101
	v_cmp_eq_f32_e32 vcc_lo, 0, v6
	v_cmp_eq_f32_e64 s2, 0, v7
	s_and_b32 s4, vcc_lo, s2
	s_mov_b32 s2, -1
	s_and_saveexec_b32 s3, s4
	s_cbranch_execz .LBB30_2
; %bb.1:
	s_wait_loadcnt_dscnt 0x0
	v_cmp_neq_f32_e32 vcc_lo, 1.0, v4
	v_cmp_neq_f32_e64 s2, 0, v5
	s_wait_alu 0xfffe
	s_or_b32 s2, vcc_lo, s2
	s_wait_alu 0xfffe
	s_or_not1_b32 s2, s2, exec_lo
.LBB30_2:
	s_wait_alu 0xfffe
	s_or_b32 exec_lo, exec_lo, s3
	s_and_saveexec_b32 s3, s2
	s_cbranch_execz .LBB30_8
; %bb.3:
	s_clause 0x1
	s_load_b64 s[4:5], s[0:1], 0x18
	s_load_b64 s[2:3], s[0:1], 0x0
	v_lshrrev_b32_e32 v1, 2, v0
	s_delay_alu instid0(VALU_DEP_1)
	v_lshl_or_b32 v2, ttmp9, 6, v1
	s_wait_kmcnt 0x0
	s_cmp_lg_u64 s[4:5], 0
	s_cbranch_scc0 .LBB30_9
; %bb.4:
	s_load_b32 s6, s[0:1], 0x10
	s_mov_b32 s7, 0
                                        ; implicit-def: $vgpr1
	s_wait_kmcnt 0x0
	v_cmp_gt_i32_e32 vcc_lo, s6, v2
	s_mov_b32 s6, 0
	s_and_saveexec_b32 s8, vcc_lo
	s_delay_alu instid0(SALU_CYCLE_1)
	s_xor_b32 s8, exec_lo, s8
	s_cbranch_execz .LBB30_6
; %bb.5:
	v_ashrrev_i32_e32 v3, 31, v2
	s_mov_b32 s6, exec_lo
	s_delay_alu instid0(VALU_DEP_1) | instskip(NEXT) | instid1(VALU_DEP_1)
	v_lshlrev_b64_e32 v[8:9], 2, v[2:3]
	v_add_co_u32 v8, vcc_lo, s4, v8
	s_delay_alu instid0(VALU_DEP_1)
	v_add_co_ci_u32_e64 v9, null, s5, v9, vcc_lo
	global_load_b32 v1, v[8:9], off
	s_wait_loadcnt 0x0
	v_subrev_nc_u32_e32 v1, s12, v1
.LBB30_6:
	s_or_b32 exec_lo, exec_lo, s8
	s_delay_alu instid0(SALU_CYCLE_1)
	s_and_b32 vcc_lo, exec_lo, s7
	s_wait_alu 0xfffe
	s_cbranch_vccz .LBB30_10
.LBB30_7:
	v_cmp_gt_i32_e32 vcc_lo, s2, v2
	s_and_not1_b32 s2, s6, exec_lo
	s_and_b32 s4, vcc_lo, exec_lo
	s_wait_alu 0xfffe
	s_or_b32 s6, s2, s4
	s_wait_alu 0xfffe
	s_and_b32 exec_lo, exec_lo, s6
	s_cbranch_execnz .LBB30_11
.LBB30_8:
	s_endpgm
.LBB30_9:
	s_mov_b32 s6, 0
                                        ; implicit-def: $vgpr1
	s_cbranch_execnz .LBB30_7
.LBB30_10:
	v_mov_b32_e32 v2, v1
	s_and_b32 exec_lo, exec_lo, s6
	s_cbranch_execz .LBB30_8
.LBB30_11:
	s_load_b256 s[4:11], s[0:1], 0x20
	s_delay_alu instid0(VALU_DEP_1) | instskip(SKIP_1) | instid1(VALU_DEP_2)
	v_ashrrev_i32_e32 v3, 31, v2
	v_mov_b32_e32 v18, 0
	v_lshlrev_b64_e32 v[8:9], 3, v[2:3]
	s_wait_kmcnt 0x0
	s_delay_alu instid0(VALU_DEP_1) | instskip(SKIP_1) | instid1(VALU_DEP_2)
	v_add_co_u32 v10, vcc_lo, s4, v8
	s_wait_alu 0xfffd
	v_add_co_ci_u32_e64 v11, null, s5, v9, vcc_lo
	v_add_co_u32 v1, vcc_lo, s6, v8
	s_wait_alu 0xfffd
	v_add_co_ci_u32_e64 v3, null, s7, v9, vcc_lo
	global_load_b64 v[12:13], v[10:11], off
	v_add_co_u32 v8, vcc_lo, v10, 8
	s_wait_alu 0xfffd
	v_add_co_ci_u32_e64 v9, null, 0, v11, vcc_lo
	s_cmp_eq_u64 s[6:7], 0
	s_load_b64 s[4:5], s[0:1], 0x40
	s_cselect_b32 vcc_lo, -1, 0
	s_cmp_eq_u32 s3, 1
	s_wait_alu 0xfffe
	v_dual_cndmask_b32 v9, v3, v9 :: v_dual_cndmask_b32 v8, v1, v8
	v_and_b32_e32 v3, 3, v0
	global_load_b64 v[10:11], v[8:9], off
	s_wait_loadcnt 0x1
	v_sub_co_u32 v0, vcc_lo, v12, s12
	s_wait_alu 0xfffd
	v_subrev_co_ci_u32_e64 v1, null, 0, v13, vcc_lo
	s_delay_alu instid0(VALU_DEP_2) | instskip(SKIP_1) | instid1(VALU_DEP_2)
	v_add_co_u32 v0, vcc_lo, v0, v3
	s_wait_alu 0xfffd
	v_add_co_ci_u32_e64 v1, null, 0, v1, vcc_lo
	s_delay_alu instid0(VALU_DEP_2) | instskip(SKIP_1) | instid1(VALU_DEP_1)
	v_mad_co_u64_u32 v[8:9], null, 0x48, v0, s[10:11]
	s_wait_loadcnt 0x0
	v_mad_co_u64_u32 v[12:13], null, 0x48, v1, v[9:10]
	v_sub_co_u32 v10, vcc_lo, v10, s12
	s_wait_alu 0xfffd
	v_subrev_co_ci_u32_e64 v11, null, 0, v11, vcc_lo
	s_delay_alu instid0(VALU_DEP_3) | instskip(NEXT) | instid1(VALU_DEP_2)
	v_mov_b32_e32 v9, v12
	v_cmp_lt_i64_e64 s2, v[0:1], v[10:11]
	s_cbranch_scc1 .LBB30_17
; %bb.12:
	v_dual_mov_b32 v21, 0 :: v_dual_mov_b32 v22, 0
	v_dual_mov_b32 v19, 0 :: v_dual_mov_b32 v20, 0
	v_mov_b32_e32 v23, 0
	s_and_saveexec_b32 s3, s2
	s_cbranch_execz .LBB30_16
; %bb.13:
	v_lshlrev_b64_e32 v[14:15], 2, v[0:1]
	v_dual_mov_b32 v18, 0 :: v_dual_mov_b32 v13, v1
	v_dual_mov_b32 v12, v0 :: v_dual_mov_b32 v17, v9
	;; [unrolled: 1-line block ×3, first 2 shown]
	s_delay_alu instid0(VALU_DEP_4)
	v_add_co_u32 v14, vcc_lo, s8, v14
	s_wait_alu 0xfffd
	v_add_co_ci_u32_e64 v15, null, s9, v15, vcc_lo
	v_dual_mov_b32 v22, 0 :: v_dual_mov_b32 v19, 0
	v_dual_mov_b32 v23, 0 :: v_dual_mov_b32 v20, 0
	s_mov_b32 s6, 0
.LBB30_14:                              ; =>This Inner Loop Header: Depth=1
	global_load_b32 v36, v[14:15], off
	s_clause 0x2
	global_load_b128 v[24:27], v[16:17], off offset:48
	global_load_b128 v[28:31], v[16:17], off offset:16
	global_load_b128 v[32:35], v[16:17], off
	s_wait_loadcnt 0x3
	v_subrev_nc_u32_e32 v36, s12, v36
	s_delay_alu instid0(VALU_DEP_1) | instskip(NEXT) | instid1(VALU_DEP_1)
	v_lshl_add_u32 v36, v36, 1, v36
	v_ashrrev_i32_e32 v37, 31, v36
	s_delay_alu instid0(VALU_DEP_1) | instskip(SKIP_1) | instid1(VALU_DEP_1)
	v_lshlrev_b64_e32 v[36:37], 3, v[36:37]
	s_wait_kmcnt 0x0
	v_add_co_u32 v40, vcc_lo, s4, v36
	s_wait_alu 0xfffd
	s_delay_alu instid0(VALU_DEP_2)
	v_add_co_ci_u32_e64 v41, null, s5, v37, vcc_lo
	s_clause 0x1
	global_load_b128 v[36:39], v[40:41], off
	global_load_b64 v[44:45], v[40:41], off offset:16
	s_clause 0x1
	global_load_b128 v[40:43], v[16:17], off offset:32
	global_load_b64 v[46:47], v[16:17], off offset:64
	v_add_co_u32 v16, vcc_lo, 0x120, v16
	s_wait_alu 0xfffd
	v_add_co_ci_u32_e64 v17, null, 0, v17, vcc_lo
	v_add_co_u32 v12, vcc_lo, v12, 4
	s_wait_alu 0xfffd
	v_add_co_ci_u32_e64 v13, null, 0, v13, vcc_lo
	;; [unrolled: 3-line block ×3, first 2 shown]
	s_delay_alu instid0(VALU_DEP_3)
	v_cmp_ge_i64_e32 vcc_lo, v[12:13], v[10:11]
	s_wait_alu 0xfffe
	s_or_b32 s6, vcc_lo, s6
	s_wait_loadcnt 0x3
	v_fmac_f32_e32 v20, v31, v36
	v_fmac_f32_e32 v21, v32, v36
	;; [unrolled: 1-line block ×4, first 2 shown]
	s_delay_alu instid0(VALU_DEP_4) | instskip(NEXT) | instid1(VALU_DEP_4)
	v_fmac_f32_e32 v20, v30, v37
	v_fma_f32 v21, -v33, v37, v21
	s_delay_alu instid0(VALU_DEP_4) | instskip(NEXT) | instid1(VALU_DEP_4)
	v_fmac_f32_e32 v19, v24, v37
	v_dual_fmac_f32 v23, v30, v36 :: v_dual_fmac_f32 v18, v32, v37
	s_delay_alu instid0(VALU_DEP_3) | instskip(NEXT) | instid1(VALU_DEP_3)
	v_dual_fmac_f32 v22, v24, v36 :: v_dual_fmac_f32 v21, v34, v38
	v_fmac_f32_e32 v19, v27, v38
	s_delay_alu instid0(VALU_DEP_3) | instskip(NEXT) | instid1(VALU_DEP_4)
	v_fma_f32 v23, -v31, v37, v23
	v_fmac_f32_e32 v18, v35, v38
	s_delay_alu instid0(VALU_DEP_4) | instskip(SKIP_2) | instid1(VALU_DEP_3)
	v_fma_f32 v22, -v25, v37, v22
	s_wait_loadcnt 0x1
	v_dual_fmac_f32 v20, v41, v38 :: v_dual_fmac_f32 v19, v26, v39
	v_dual_fmac_f32 v23, v40, v38 :: v_dual_fmac_f32 v18, v34, v39
	v_fma_f32 v21, -v35, v39, v21
	s_wait_loadcnt 0x0
	s_delay_alu instid0(VALU_DEP_3) | instskip(NEXT) | instid1(VALU_DEP_3)
	v_dual_fmac_f32 v22, v26, v38 :: v_dual_fmac_f32 v19, v47, v44
	v_fma_f32 v23, -v41, v39, v23
	v_fmac_f32_e32 v20, v40, v39
	v_fmac_f32_e32 v21, v28, v44
	s_delay_alu instid0(VALU_DEP_4) | instskip(SKIP_3) | instid1(VALU_DEP_4)
	v_fma_f32 v22, -v27, v39, v22
	v_dual_fmac_f32 v18, v29, v44 :: v_dual_fmac_f32 v19, v46, v45
	v_fmac_f32_e32 v23, v42, v44
	v_fmac_f32_e32 v20, v43, v44
	;; [unrolled: 1-line block ×3, first 2 shown]
	v_fma_f32 v21, -v29, v45, v21
	v_fmac_f32_e32 v18, v28, v45
	v_fma_f32 v23, -v43, v45, v23
	v_fmac_f32_e32 v20, v42, v45
	v_fma_f32 v22, -v47, v45, v22
	s_wait_alu 0xfffe
	s_and_not1_b32 exec_lo, exec_lo, s6
	s_cbranch_execnz .LBB30_14
; %bb.15:
	s_or_b32 exec_lo, exec_lo, s6
.LBB30_16:
	s_wait_alu 0xfffe
	s_or_b32 exec_lo, exec_lo, s3
	s_cbranch_execz .LBB30_18
	s_branch .LBB30_23
.LBB30_17:
                                        ; implicit-def: $vgpr18
                                        ; implicit-def: $vgpr21
                                        ; implicit-def: $vgpr22
                                        ; implicit-def: $vgpr19
                                        ; implicit-def: $vgpr23
                                        ; implicit-def: $vgpr20
.LBB30_18:
	v_dual_mov_b32 v18, 0 :: v_dual_mov_b32 v21, 0
	v_dual_mov_b32 v22, 0 :: v_dual_mov_b32 v19, 0
	;; [unrolled: 1-line block ×3, first 2 shown]
	s_and_saveexec_b32 s3, s2
	s_cbranch_execz .LBB30_22
; %bb.19:
	v_lshlrev_b64_e32 v[12:13], 2, v[0:1]
	v_dual_mov_b32 v18, 0 :: v_dual_mov_b32 v21, 0
	v_dual_mov_b32 v22, 0 :: v_dual_mov_b32 v19, 0
	;; [unrolled: 1-line block ×3, first 2 shown]
	s_delay_alu instid0(VALU_DEP_4)
	v_add_co_u32 v12, vcc_lo, s8, v12
	s_wait_alu 0xfffd
	v_add_co_ci_u32_e64 v13, null, s9, v13, vcc_lo
	s_mov_b32 s2, 0
.LBB30_20:                              ; =>This Inner Loop Header: Depth=1
	global_load_b32 v28, v[12:13], off
	s_clause 0x1
	global_load_b128 v[14:17], v[8:9], off offset:16
	global_load_b128 v[24:27], v[8:9], off
	s_wait_loadcnt 0x2
	v_subrev_nc_u32_e32 v28, s12, v28
	s_delay_alu instid0(VALU_DEP_1) | instskip(NEXT) | instid1(VALU_DEP_1)
	v_lshl_add_u32 v28, v28, 1, v28
	v_ashrrev_i32_e32 v29, 31, v28
	s_delay_alu instid0(VALU_DEP_1) | instskip(SKIP_1) | instid1(VALU_DEP_1)
	v_lshlrev_b64_e32 v[28:29], 3, v[28:29]
	s_wait_kmcnt 0x0
	v_add_co_u32 v32, vcc_lo, s4, v28
	s_wait_alu 0xfffd
	s_delay_alu instid0(VALU_DEP_2)
	v_add_co_ci_u32_e64 v33, null, s5, v29, vcc_lo
	s_clause 0x1
	global_load_b128 v[28:31], v[32:33], off
	global_load_b64 v[40:41], v[32:33], off offset:16
	s_clause 0x2
	global_load_b128 v[32:35], v[8:9], off offset:32
	global_load_b128 v[36:39], v[8:9], off offset:48
	global_load_b64 v[42:43], v[8:9], off offset:64
	v_add_co_u32 v8, vcc_lo, 0x120, v8
	s_wait_alu 0xfffd
	v_add_co_ci_u32_e64 v9, null, 0, v9, vcc_lo
	v_add_co_u32 v0, vcc_lo, v0, 4
	s_wait_alu 0xfffd
	v_add_co_ci_u32_e64 v1, null, 0, v1, vcc_lo
	;; [unrolled: 3-line block ×3, first 2 shown]
	s_delay_alu instid0(VALU_DEP_3)
	v_cmp_ge_i64_e32 vcc_lo, v[0:1], v[10:11]
	s_wait_alu 0xfffe
	s_or_b32 s2, vcc_lo, s2
	s_wait_loadcnt 0x4
	v_fmac_f32_e32 v19, v15, v28
	v_fmac_f32_e32 v18, v25, v28
	;; [unrolled: 1-line block ×4, first 2 shown]
	s_delay_alu instid0(VALU_DEP_4) | instskip(NEXT) | instid1(VALU_DEP_4)
	v_fmac_f32_e32 v19, v14, v29
	v_dual_fmac_f32 v23, v26, v28 :: v_dual_fmac_f32 v18, v24, v29
	s_delay_alu instid0(VALU_DEP_4) | instskip(NEXT) | instid1(VALU_DEP_4)
	v_fmac_f32_e32 v20, v26, v29
	v_fma_f32 v21, -v25, v29, v21
	s_wait_loadcnt 0x2
	v_fmac_f32_e32 v19, v35, v30
	v_fma_f32 v23, -v27, v29, v23
	v_fmac_f32_e32 v22, v14, v28
	v_fmac_f32_e32 v20, v33, v30
	;; [unrolled: 1-line block ×5, first 2 shown]
	v_fma_f32 v15, -v15, v29, v22
	v_fmac_f32_e32 v19, v34, v31
	v_fmac_f32_e32 v20, v32, v31
	v_fma_f32 v14, -v17, v31, v21
	s_delay_alu instid0(VALU_DEP_4)
	v_dual_fmac_f32 v18, v16, v31 :: v_dual_fmac_f32 v15, v34, v30
	v_fma_f32 v16, -v33, v31, v23
	s_wait_loadcnt 0x1
	v_fmac_f32_e32 v20, v39, v40
	s_wait_loadcnt 0x0
	v_fmac_f32_e32 v19, v43, v40
	v_fmac_f32_e32 v18, v37, v40
	v_fma_f32 v15, -v35, v31, v15
	v_fmac_f32_e32 v16, v38, v40
	v_fmac_f32_e32 v20, v38, v41
	v_dual_fmac_f32 v14, v36, v40 :: v_dual_fmac_f32 v19, v42, v41
	s_delay_alu instid0(VALU_DEP_4) | instskip(NEXT) | instid1(VALU_DEP_4)
	v_dual_fmac_f32 v15, v42, v40 :: v_dual_fmac_f32 v18, v36, v41
	v_fma_f32 v23, -v39, v41, v16
	s_delay_alu instid0(VALU_DEP_3) | instskip(NEXT) | instid1(VALU_DEP_3)
	v_fma_f32 v21, -v37, v41, v14
	v_fma_f32 v22, -v43, v41, v15
	s_wait_alu 0xfffe
	s_and_not1_b32 exec_lo, exec_lo, s2
	s_cbranch_execnz .LBB30_20
; %bb.21:
	s_or_b32 exec_lo, exec_lo, s2
.LBB30_22:
	s_wait_alu 0xfffe
	s_or_b32 exec_lo, exec_lo, s3
.LBB30_23:
	v_mbcnt_lo_u32_b32 v0, -1, 0
	s_delay_alu instid0(VALU_DEP_1) | instskip(NEXT) | instid1(VALU_DEP_1)
	v_xor_b32_e32 v1, 2, v0
	v_cmp_gt_i32_e32 vcc_lo, 32, v1
	s_wait_alu 0xfffd
	v_cndmask_b32_e32 v1, v0, v1, vcc_lo
	s_delay_alu instid0(VALU_DEP_1)
	v_lshlrev_b32_e32 v1, 2, v1
	ds_bpermute_b32 v8, v1, v21
	ds_bpermute_b32 v9, v1, v18
	;; [unrolled: 1-line block ×6, first 2 shown]
	v_xor_b32_e32 v1, 1, v0
	s_delay_alu instid0(VALU_DEP_1) | instskip(SKIP_3) | instid1(VALU_DEP_2)
	v_cmp_gt_i32_e32 vcc_lo, 32, v1
	s_wait_alu 0xfffd
	v_cndmask_b32_e32 v0, v0, v1, vcc_lo
	v_cmp_eq_u32_e32 vcc_lo, 3, v3
	v_lshlrev_b32_e32 v17, 2, v0
	s_wait_dscnt 0x4
	v_dual_add_f32 v0, v21, v8 :: v_dual_add_f32 v1, v18, v9
	s_wait_dscnt 0x2
	v_dual_add_f32 v8, v23, v10 :: v_dual_add_f32 v9, v20, v11
	;; [unrolled: 2-line block ×3, first 2 shown]
	ds_bpermute_b32 v12, v17, v0
	ds_bpermute_b32 v13, v17, v1
	;; [unrolled: 1-line block ×6, first 2 shown]
	s_and_b32 exec_lo, exec_lo, vcc_lo
	s_cbranch_execz .LBB30_8
; %bb.24:
	s_wait_dscnt 0x4
	v_dual_add_f32 v12, v0, v12 :: v_dual_add_f32 v1, v1, v13
	s_load_b64 s[2:3], s[0:1], 0x50
	s_wait_dscnt 0x1
	v_dual_add_f32 v13, v8, v14 :: v_dual_add_f32 v14, v10, v16
	v_lshl_add_u32 v10, v2, 1, v2
	v_mul_f32_e64 v0, v1, -v7
	v_add_f32_e32 v3, v9, v15
	s_wait_dscnt 0x0
	v_add_f32_e32 v9, v11, v17
	v_mul_f32_e32 v1, v6, v1
	v_cmp_eq_f32_e32 vcc_lo, 0, v4
	v_fmac_f32_e32 v0, v6, v12
	v_mul_f32_e64 v2, v3, -v7
	v_mul_f32_e64 v8, v9, -v7
	v_mul_f32_e32 v3, v6, v3
	v_cmp_eq_f32_e64 s0, 0, v5
	s_delay_alu instid0(VALU_DEP_4) | instskip(NEXT) | instid1(VALU_DEP_4)
	v_dual_fmac_f32 v1, v7, v12 :: v_dual_fmac_f32 v2, v6, v13
	v_fmac_f32_e32 v8, v6, v14
	v_mul_f32_e32 v9, v6, v9
	v_ashrrev_i32_e32 v11, 31, v10
	v_fmac_f32_e32 v3, v7, v13
	s_and_b32 s0, vcc_lo, s0
	s_delay_alu instid0(VALU_DEP_3)
	v_fmac_f32_e32 v9, v7, v14
	s_wait_alu 0xfffe
	s_and_saveexec_b32 s1, s0
	s_wait_alu 0xfffe
	s_xor_b32 s0, exec_lo, s1
	s_cbranch_execz .LBB30_26
; %bb.25:
	v_lshlrev_b64_e32 v[4:5], 3, v[10:11]
                                        ; implicit-def: $vgpr10
	s_wait_kmcnt 0x0
	s_delay_alu instid0(VALU_DEP_1) | instskip(SKIP_1) | instid1(VALU_DEP_2)
	v_add_co_u32 v4, vcc_lo, s2, v4
	s_wait_alu 0xfffd
	v_add_co_ci_u32_e64 v5, null, s3, v5, vcc_lo
	s_clause 0x1
	global_store_b128 v[4:5], v[0:3], off
	global_store_b64 v[4:5], v[8:9], off offset:16
                                        ; implicit-def: $vgpr4_vgpr5
                                        ; implicit-def: $vgpr0
                                        ; implicit-def: $vgpr8
.LBB30_26:
	s_wait_alu 0xfffe
	s_and_not1_saveexec_b32 s0, s0
	s_cbranch_execz .LBB30_8
; %bb.27:
	v_lshlrev_b64_e32 v[6:7], 3, v[10:11]
	s_wait_kmcnt 0x0
	s_delay_alu instid0(VALU_DEP_1) | instskip(SKIP_1) | instid1(VALU_DEP_2)
	v_add_co_u32 v6, vcc_lo, s2, v6
	s_wait_alu 0xfffd
	v_add_co_ci_u32_e64 v7, null, s3, v7, vcc_lo
	s_clause 0x1
	global_load_b128 v[10:13], v[6:7], off
	global_load_b64 v[14:15], v[6:7], off offset:16
	s_wait_loadcnt 0x1
	v_dual_fmac_f32 v0, v4, v10 :: v_dual_fmac_f32 v3, v5, v12
	v_dual_fmac_f32 v1, v5, v10 :: v_dual_fmac_f32 v2, v4, v12
	s_wait_loadcnt 0x0
	v_fmac_f32_e32 v8, v4, v14
	v_fmac_f32_e32 v9, v5, v14
	v_fma_f32 v0, -v5, v11, v0
	v_fmac_f32_e32 v1, v4, v11
	v_fma_f32 v2, -v5, v13, v2
	;; [unrolled: 2-line block ×3, first 2 shown]
	v_fmac_f32_e32 v9, v4, v15
	s_clause 0x1
	global_store_b128 v[6:7], v[0:3], off
	global_store_b64 v[6:7], v[8:9], off offset:16
	s_endpgm
	.section	.rodata,"a",@progbits
	.p2align	6, 0x0
	.amdhsa_kernel _ZN9rocsparseL18bsrxmvn_3x3_kernelILj256ELj4E21rocsparse_complex_numIfEliS2_S2_S2_EEvT3_20rocsparse_direction_NS_24const_host_device_scalarIT1_EES3_PKS3_PKT2_SC_S9_PKT4_PKT5_S7_PT6_21rocsparse_index_base_b
		.amdhsa_group_segment_fixed_size 0
		.amdhsa_private_segment_fixed_size 0
		.amdhsa_kernarg_size 96
		.amdhsa_user_sgpr_count 2
		.amdhsa_user_sgpr_dispatch_ptr 0
		.amdhsa_user_sgpr_queue_ptr 0
		.amdhsa_user_sgpr_kernarg_segment_ptr 1
		.amdhsa_user_sgpr_dispatch_id 0
		.amdhsa_user_sgpr_private_segment_size 0
		.amdhsa_wavefront_size32 1
		.amdhsa_uses_dynamic_stack 0
		.amdhsa_enable_private_segment 0
		.amdhsa_system_sgpr_workgroup_id_x 1
		.amdhsa_system_sgpr_workgroup_id_y 0
		.amdhsa_system_sgpr_workgroup_id_z 0
		.amdhsa_system_sgpr_workgroup_info 0
		.amdhsa_system_vgpr_workitem_id 0
		.amdhsa_next_free_vgpr 48
		.amdhsa_next_free_sgpr 14
		.amdhsa_reserve_vcc 1
		.amdhsa_float_round_mode_32 0
		.amdhsa_float_round_mode_16_64 0
		.amdhsa_float_denorm_mode_32 3
		.amdhsa_float_denorm_mode_16_64 3
		.amdhsa_fp16_overflow 0
		.amdhsa_workgroup_processor_mode 1
		.amdhsa_memory_ordered 1
		.amdhsa_forward_progress 1
		.amdhsa_inst_pref_size 20
		.amdhsa_round_robin_scheduling 0
		.amdhsa_exception_fp_ieee_invalid_op 0
		.amdhsa_exception_fp_denorm_src 0
		.amdhsa_exception_fp_ieee_div_zero 0
		.amdhsa_exception_fp_ieee_overflow 0
		.amdhsa_exception_fp_ieee_underflow 0
		.amdhsa_exception_fp_ieee_inexact 0
		.amdhsa_exception_int_div_zero 0
	.end_amdhsa_kernel
	.section	.text._ZN9rocsparseL18bsrxmvn_3x3_kernelILj256ELj4E21rocsparse_complex_numIfEliS2_S2_S2_EEvT3_20rocsparse_direction_NS_24const_host_device_scalarIT1_EES3_PKS3_PKT2_SC_S9_PKT4_PKT5_S7_PT6_21rocsparse_index_base_b,"axG",@progbits,_ZN9rocsparseL18bsrxmvn_3x3_kernelILj256ELj4E21rocsparse_complex_numIfEliS2_S2_S2_EEvT3_20rocsparse_direction_NS_24const_host_device_scalarIT1_EES3_PKS3_PKT2_SC_S9_PKT4_PKT5_S7_PT6_21rocsparse_index_base_b,comdat
.Lfunc_end30:
	.size	_ZN9rocsparseL18bsrxmvn_3x3_kernelILj256ELj4E21rocsparse_complex_numIfEliS2_S2_S2_EEvT3_20rocsparse_direction_NS_24const_host_device_scalarIT1_EES3_PKS3_PKT2_SC_S9_PKT4_PKT5_S7_PT6_21rocsparse_index_base_b, .Lfunc_end30-_ZN9rocsparseL18bsrxmvn_3x3_kernelILj256ELj4E21rocsparse_complex_numIfEliS2_S2_S2_EEvT3_20rocsparse_direction_NS_24const_host_device_scalarIT1_EES3_PKS3_PKT2_SC_S9_PKT4_PKT5_S7_PT6_21rocsparse_index_base_b
                                        ; -- End function
	.set _ZN9rocsparseL18bsrxmvn_3x3_kernelILj256ELj4E21rocsparse_complex_numIfEliS2_S2_S2_EEvT3_20rocsparse_direction_NS_24const_host_device_scalarIT1_EES3_PKS3_PKT2_SC_S9_PKT4_PKT5_S7_PT6_21rocsparse_index_base_b.num_vgpr, 48
	.set _ZN9rocsparseL18bsrxmvn_3x3_kernelILj256ELj4E21rocsparse_complex_numIfEliS2_S2_S2_EEvT3_20rocsparse_direction_NS_24const_host_device_scalarIT1_EES3_PKS3_PKT2_SC_S9_PKT4_PKT5_S7_PT6_21rocsparse_index_base_b.num_agpr, 0
	.set _ZN9rocsparseL18bsrxmvn_3x3_kernelILj256ELj4E21rocsparse_complex_numIfEliS2_S2_S2_EEvT3_20rocsparse_direction_NS_24const_host_device_scalarIT1_EES3_PKS3_PKT2_SC_S9_PKT4_PKT5_S7_PT6_21rocsparse_index_base_b.numbered_sgpr, 14
	.set _ZN9rocsparseL18bsrxmvn_3x3_kernelILj256ELj4E21rocsparse_complex_numIfEliS2_S2_S2_EEvT3_20rocsparse_direction_NS_24const_host_device_scalarIT1_EES3_PKS3_PKT2_SC_S9_PKT4_PKT5_S7_PT6_21rocsparse_index_base_b.num_named_barrier, 0
	.set _ZN9rocsparseL18bsrxmvn_3x3_kernelILj256ELj4E21rocsparse_complex_numIfEliS2_S2_S2_EEvT3_20rocsparse_direction_NS_24const_host_device_scalarIT1_EES3_PKS3_PKT2_SC_S9_PKT4_PKT5_S7_PT6_21rocsparse_index_base_b.private_seg_size, 0
	.set _ZN9rocsparseL18bsrxmvn_3x3_kernelILj256ELj4E21rocsparse_complex_numIfEliS2_S2_S2_EEvT3_20rocsparse_direction_NS_24const_host_device_scalarIT1_EES3_PKS3_PKT2_SC_S9_PKT4_PKT5_S7_PT6_21rocsparse_index_base_b.uses_vcc, 1
	.set _ZN9rocsparseL18bsrxmvn_3x3_kernelILj256ELj4E21rocsparse_complex_numIfEliS2_S2_S2_EEvT3_20rocsparse_direction_NS_24const_host_device_scalarIT1_EES3_PKS3_PKT2_SC_S9_PKT4_PKT5_S7_PT6_21rocsparse_index_base_b.uses_flat_scratch, 0
	.set _ZN9rocsparseL18bsrxmvn_3x3_kernelILj256ELj4E21rocsparse_complex_numIfEliS2_S2_S2_EEvT3_20rocsparse_direction_NS_24const_host_device_scalarIT1_EES3_PKS3_PKT2_SC_S9_PKT4_PKT5_S7_PT6_21rocsparse_index_base_b.has_dyn_sized_stack, 0
	.set _ZN9rocsparseL18bsrxmvn_3x3_kernelILj256ELj4E21rocsparse_complex_numIfEliS2_S2_S2_EEvT3_20rocsparse_direction_NS_24const_host_device_scalarIT1_EES3_PKS3_PKT2_SC_S9_PKT4_PKT5_S7_PT6_21rocsparse_index_base_b.has_recursion, 0
	.set _ZN9rocsparseL18bsrxmvn_3x3_kernelILj256ELj4E21rocsparse_complex_numIfEliS2_S2_S2_EEvT3_20rocsparse_direction_NS_24const_host_device_scalarIT1_EES3_PKS3_PKT2_SC_S9_PKT4_PKT5_S7_PT6_21rocsparse_index_base_b.has_indirect_call, 0
	.section	.AMDGPU.csdata,"",@progbits
; Kernel info:
; codeLenInByte = 2460
; TotalNumSgprs: 16
; NumVgprs: 48
; ScratchSize: 0
; MemoryBound: 0
; FloatMode: 240
; IeeeMode: 1
; LDSByteSize: 0 bytes/workgroup (compile time only)
; SGPRBlocks: 0
; VGPRBlocks: 5
; NumSGPRsForWavesPerEU: 16
; NumVGPRsForWavesPerEU: 48
; Occupancy: 16
; WaveLimiterHint : 1
; COMPUTE_PGM_RSRC2:SCRATCH_EN: 0
; COMPUTE_PGM_RSRC2:USER_SGPR: 2
; COMPUTE_PGM_RSRC2:TRAP_HANDLER: 0
; COMPUTE_PGM_RSRC2:TGID_X_EN: 1
; COMPUTE_PGM_RSRC2:TGID_Y_EN: 0
; COMPUTE_PGM_RSRC2:TGID_Z_EN: 0
; COMPUTE_PGM_RSRC2:TIDIG_COMP_CNT: 0
	.section	.text._ZN9rocsparseL18bsrxmvn_3x3_kernelILj256ELj8E21rocsparse_complex_numIfEliS2_S2_S2_EEvT3_20rocsparse_direction_NS_24const_host_device_scalarIT1_EES3_PKS3_PKT2_SC_S9_PKT4_PKT5_S7_PT6_21rocsparse_index_base_b,"axG",@progbits,_ZN9rocsparseL18bsrxmvn_3x3_kernelILj256ELj8E21rocsparse_complex_numIfEliS2_S2_S2_EEvT3_20rocsparse_direction_NS_24const_host_device_scalarIT1_EES3_PKS3_PKT2_SC_S9_PKT4_PKT5_S7_PT6_21rocsparse_index_base_b,comdat
	.globl	_ZN9rocsparseL18bsrxmvn_3x3_kernelILj256ELj8E21rocsparse_complex_numIfEliS2_S2_S2_EEvT3_20rocsparse_direction_NS_24const_host_device_scalarIT1_EES3_PKS3_PKT2_SC_S9_PKT4_PKT5_S7_PT6_21rocsparse_index_base_b ; -- Begin function _ZN9rocsparseL18bsrxmvn_3x3_kernelILj256ELj8E21rocsparse_complex_numIfEliS2_S2_S2_EEvT3_20rocsparse_direction_NS_24const_host_device_scalarIT1_EES3_PKS3_PKT2_SC_S9_PKT4_PKT5_S7_PT6_21rocsparse_index_base_b
	.p2align	8
	.type	_ZN9rocsparseL18bsrxmvn_3x3_kernelILj256ELj8E21rocsparse_complex_numIfEliS2_S2_S2_EEvT3_20rocsparse_direction_NS_24const_host_device_scalarIT1_EES3_PKS3_PKT2_SC_S9_PKT4_PKT5_S7_PT6_21rocsparse_index_base_b,@function
_ZN9rocsparseL18bsrxmvn_3x3_kernelILj256ELj8E21rocsparse_complex_numIfEliS2_S2_S2_EEvT3_20rocsparse_direction_NS_24const_host_device_scalarIT1_EES3_PKS3_PKT2_SC_S9_PKT4_PKT5_S7_PT6_21rocsparse_index_base_b: ; @_ZN9rocsparseL18bsrxmvn_3x3_kernelILj256ELj8E21rocsparse_complex_numIfEliS2_S2_S2_EEvT3_20rocsparse_direction_NS_24const_host_device_scalarIT1_EES3_PKS3_PKT2_SC_S9_PKT4_PKT5_S7_PT6_21rocsparse_index_base_b
; %bb.0:
	s_clause 0x2
	s_load_b64 s[12:13], s[0:1], 0x58
	s_load_b64 s[2:3], s[0:1], 0x8
	;; [unrolled: 1-line block ×3, first 2 shown]
	s_add_nc_u64 s[6:7], s[0:1], 8
	s_wait_kmcnt 0x0
	s_bitcmp1_b32 s13, 0
	s_cselect_b32 s2, s6, s2
	s_cselect_b32 s3, s7, s3
	s_delay_alu instid0(SALU_CYCLE_1)
	v_dual_mov_b32 v1, s2 :: v_dual_mov_b32 v2, s3
	s_add_nc_u64 s[2:3], s[0:1], 0x48
	s_wait_alu 0xfffe
	s_cselect_b32 s2, s2, s4
	s_cselect_b32 s3, s3, s5
	flat_load_b64 v[6:7], v[1:2]
	s_wait_alu 0xfffe
	v_dual_mov_b32 v1, s2 :: v_dual_mov_b32 v2, s3
	flat_load_b64 v[4:5], v[1:2]
	s_wait_loadcnt_dscnt 0x101
	v_cmp_eq_f32_e32 vcc_lo, 0, v6
	v_cmp_eq_f32_e64 s2, 0, v7
	s_and_b32 s4, vcc_lo, s2
	s_mov_b32 s2, -1
	s_and_saveexec_b32 s3, s4
	s_cbranch_execz .LBB31_2
; %bb.1:
	s_wait_loadcnt_dscnt 0x0
	v_cmp_neq_f32_e32 vcc_lo, 1.0, v4
	v_cmp_neq_f32_e64 s2, 0, v5
	s_wait_alu 0xfffe
	s_or_b32 s2, vcc_lo, s2
	s_wait_alu 0xfffe
	s_or_not1_b32 s2, s2, exec_lo
.LBB31_2:
	s_wait_alu 0xfffe
	s_or_b32 exec_lo, exec_lo, s3
	s_and_saveexec_b32 s3, s2
	s_cbranch_execz .LBB31_8
; %bb.3:
	s_clause 0x1
	s_load_b64 s[4:5], s[0:1], 0x18
	s_load_b64 s[2:3], s[0:1], 0x0
	v_lshrrev_b32_e32 v1, 3, v0
	s_delay_alu instid0(VALU_DEP_1)
	v_lshl_or_b32 v2, ttmp9, 5, v1
	s_wait_kmcnt 0x0
	s_cmp_lg_u64 s[4:5], 0
	s_cbranch_scc0 .LBB31_9
; %bb.4:
	s_load_b32 s6, s[0:1], 0x10
	s_mov_b32 s7, 0
                                        ; implicit-def: $vgpr1
	s_wait_kmcnt 0x0
	v_cmp_gt_i32_e32 vcc_lo, s6, v2
	s_mov_b32 s6, 0
	s_and_saveexec_b32 s8, vcc_lo
	s_delay_alu instid0(SALU_CYCLE_1)
	s_xor_b32 s8, exec_lo, s8
	s_cbranch_execz .LBB31_6
; %bb.5:
	v_ashrrev_i32_e32 v3, 31, v2
	s_mov_b32 s6, exec_lo
	s_delay_alu instid0(VALU_DEP_1) | instskip(NEXT) | instid1(VALU_DEP_1)
	v_lshlrev_b64_e32 v[8:9], 2, v[2:3]
	v_add_co_u32 v8, vcc_lo, s4, v8
	s_delay_alu instid0(VALU_DEP_1)
	v_add_co_ci_u32_e64 v9, null, s5, v9, vcc_lo
	global_load_b32 v1, v[8:9], off
	s_wait_loadcnt 0x0
	v_subrev_nc_u32_e32 v1, s12, v1
.LBB31_6:
	s_or_b32 exec_lo, exec_lo, s8
	s_delay_alu instid0(SALU_CYCLE_1)
	s_and_b32 vcc_lo, exec_lo, s7
	s_wait_alu 0xfffe
	s_cbranch_vccz .LBB31_10
.LBB31_7:
	v_cmp_gt_i32_e32 vcc_lo, s2, v2
	s_and_not1_b32 s2, s6, exec_lo
	s_and_b32 s4, vcc_lo, exec_lo
	s_wait_alu 0xfffe
	s_or_b32 s6, s2, s4
	s_wait_alu 0xfffe
	s_and_b32 exec_lo, exec_lo, s6
	s_cbranch_execnz .LBB31_11
.LBB31_8:
	s_endpgm
.LBB31_9:
	s_mov_b32 s6, 0
                                        ; implicit-def: $vgpr1
	s_cbranch_execnz .LBB31_7
.LBB31_10:
	v_mov_b32_e32 v2, v1
	s_and_b32 exec_lo, exec_lo, s6
	s_cbranch_execz .LBB31_8
.LBB31_11:
	s_load_b256 s[4:11], s[0:1], 0x20
	s_delay_alu instid0(VALU_DEP_1) | instskip(SKIP_1) | instid1(VALU_DEP_2)
	v_ashrrev_i32_e32 v3, 31, v2
	v_mov_b32_e32 v18, 0
	v_lshlrev_b64_e32 v[8:9], 3, v[2:3]
	s_wait_kmcnt 0x0
	s_delay_alu instid0(VALU_DEP_1) | instskip(SKIP_1) | instid1(VALU_DEP_2)
	v_add_co_u32 v10, vcc_lo, s4, v8
	s_wait_alu 0xfffd
	v_add_co_ci_u32_e64 v11, null, s5, v9, vcc_lo
	v_add_co_u32 v1, vcc_lo, s6, v8
	s_wait_alu 0xfffd
	v_add_co_ci_u32_e64 v3, null, s7, v9, vcc_lo
	global_load_b64 v[12:13], v[10:11], off
	v_add_co_u32 v8, vcc_lo, v10, 8
	s_wait_alu 0xfffd
	v_add_co_ci_u32_e64 v9, null, 0, v11, vcc_lo
	s_cmp_eq_u64 s[6:7], 0
	s_load_b64 s[4:5], s[0:1], 0x40
	s_cselect_b32 vcc_lo, -1, 0
	s_cmp_eq_u32 s3, 1
	s_wait_alu 0xfffe
	v_dual_cndmask_b32 v9, v3, v9 :: v_dual_cndmask_b32 v8, v1, v8
	v_and_b32_e32 v3, 7, v0
	global_load_b64 v[10:11], v[8:9], off
	s_wait_loadcnt 0x1
	v_sub_co_u32 v0, vcc_lo, v12, s12
	s_wait_alu 0xfffd
	v_subrev_co_ci_u32_e64 v1, null, 0, v13, vcc_lo
	s_delay_alu instid0(VALU_DEP_2) | instskip(SKIP_1) | instid1(VALU_DEP_2)
	v_add_co_u32 v0, vcc_lo, v0, v3
	s_wait_alu 0xfffd
	v_add_co_ci_u32_e64 v1, null, 0, v1, vcc_lo
	s_delay_alu instid0(VALU_DEP_2) | instskip(SKIP_1) | instid1(VALU_DEP_1)
	v_mad_co_u64_u32 v[8:9], null, 0x48, v0, s[10:11]
	s_wait_loadcnt 0x0
	v_mad_co_u64_u32 v[12:13], null, 0x48, v1, v[9:10]
	v_sub_co_u32 v10, vcc_lo, v10, s12
	s_wait_alu 0xfffd
	v_subrev_co_ci_u32_e64 v11, null, 0, v11, vcc_lo
	s_delay_alu instid0(VALU_DEP_3) | instskip(NEXT) | instid1(VALU_DEP_2)
	v_mov_b32_e32 v9, v12
	v_cmp_lt_i64_e64 s2, v[0:1], v[10:11]
	s_cbranch_scc1 .LBB31_17
; %bb.12:
	v_dual_mov_b32 v21, 0 :: v_dual_mov_b32 v22, 0
	v_dual_mov_b32 v19, 0 :: v_dual_mov_b32 v20, 0
	v_mov_b32_e32 v23, 0
	s_and_saveexec_b32 s3, s2
	s_cbranch_execz .LBB31_16
; %bb.13:
	v_lshlrev_b64_e32 v[14:15], 2, v[0:1]
	v_dual_mov_b32 v18, 0 :: v_dual_mov_b32 v13, v1
	v_dual_mov_b32 v12, v0 :: v_dual_mov_b32 v17, v9
	;; [unrolled: 1-line block ×3, first 2 shown]
	s_delay_alu instid0(VALU_DEP_4)
	v_add_co_u32 v14, vcc_lo, s8, v14
	s_wait_alu 0xfffd
	v_add_co_ci_u32_e64 v15, null, s9, v15, vcc_lo
	v_dual_mov_b32 v22, 0 :: v_dual_mov_b32 v19, 0
	v_dual_mov_b32 v23, 0 :: v_dual_mov_b32 v20, 0
	s_mov_b32 s6, 0
.LBB31_14:                              ; =>This Inner Loop Header: Depth=1
	global_load_b32 v36, v[14:15], off
	s_clause 0x2
	global_load_b128 v[24:27], v[16:17], off offset:48
	global_load_b128 v[28:31], v[16:17], off offset:16
	global_load_b128 v[32:35], v[16:17], off
	s_wait_loadcnt 0x3
	v_subrev_nc_u32_e32 v36, s12, v36
	s_delay_alu instid0(VALU_DEP_1) | instskip(NEXT) | instid1(VALU_DEP_1)
	v_lshl_add_u32 v36, v36, 1, v36
	v_ashrrev_i32_e32 v37, 31, v36
	s_delay_alu instid0(VALU_DEP_1) | instskip(SKIP_1) | instid1(VALU_DEP_1)
	v_lshlrev_b64_e32 v[36:37], 3, v[36:37]
	s_wait_kmcnt 0x0
	v_add_co_u32 v40, vcc_lo, s4, v36
	s_wait_alu 0xfffd
	s_delay_alu instid0(VALU_DEP_2)
	v_add_co_ci_u32_e64 v41, null, s5, v37, vcc_lo
	s_clause 0x1
	global_load_b128 v[36:39], v[40:41], off
	global_load_b64 v[44:45], v[40:41], off offset:16
	s_clause 0x1
	global_load_b128 v[40:43], v[16:17], off offset:32
	global_load_b64 v[46:47], v[16:17], off offset:64
	v_add_co_u32 v16, vcc_lo, 0x240, v16
	s_wait_alu 0xfffd
	v_add_co_ci_u32_e64 v17, null, 0, v17, vcc_lo
	v_add_co_u32 v12, vcc_lo, v12, 8
	s_wait_alu 0xfffd
	v_add_co_ci_u32_e64 v13, null, 0, v13, vcc_lo
	v_add_co_u32 v14, vcc_lo, v14, 32
	s_wait_alu 0xfffd
	v_add_co_ci_u32_e64 v15, null, 0, v15, vcc_lo
	s_delay_alu instid0(VALU_DEP_3)
	v_cmp_ge_i64_e32 vcc_lo, v[12:13], v[10:11]
	s_wait_alu 0xfffe
	s_or_b32 s6, vcc_lo, s6
	s_wait_loadcnt 0x3
	v_fmac_f32_e32 v20, v31, v36
	v_fmac_f32_e32 v21, v32, v36
	;; [unrolled: 1-line block ×4, first 2 shown]
	s_delay_alu instid0(VALU_DEP_4) | instskip(NEXT) | instid1(VALU_DEP_4)
	v_fmac_f32_e32 v20, v30, v37
	v_fma_f32 v21, -v33, v37, v21
	s_delay_alu instid0(VALU_DEP_4) | instskip(NEXT) | instid1(VALU_DEP_4)
	v_fmac_f32_e32 v19, v24, v37
	v_dual_fmac_f32 v23, v30, v36 :: v_dual_fmac_f32 v18, v32, v37
	s_delay_alu instid0(VALU_DEP_3) | instskip(NEXT) | instid1(VALU_DEP_3)
	v_dual_fmac_f32 v22, v24, v36 :: v_dual_fmac_f32 v21, v34, v38
	v_fmac_f32_e32 v19, v27, v38
	s_delay_alu instid0(VALU_DEP_3) | instskip(NEXT) | instid1(VALU_DEP_4)
	v_fma_f32 v23, -v31, v37, v23
	v_fmac_f32_e32 v18, v35, v38
	s_delay_alu instid0(VALU_DEP_4) | instskip(SKIP_2) | instid1(VALU_DEP_3)
	v_fma_f32 v22, -v25, v37, v22
	s_wait_loadcnt 0x1
	v_dual_fmac_f32 v20, v41, v38 :: v_dual_fmac_f32 v19, v26, v39
	v_dual_fmac_f32 v23, v40, v38 :: v_dual_fmac_f32 v18, v34, v39
	v_fma_f32 v21, -v35, v39, v21
	s_wait_loadcnt 0x0
	s_delay_alu instid0(VALU_DEP_3) | instskip(NEXT) | instid1(VALU_DEP_3)
	v_dual_fmac_f32 v22, v26, v38 :: v_dual_fmac_f32 v19, v47, v44
	v_fma_f32 v23, -v41, v39, v23
	v_fmac_f32_e32 v20, v40, v39
	v_fmac_f32_e32 v21, v28, v44
	s_delay_alu instid0(VALU_DEP_4) | instskip(SKIP_3) | instid1(VALU_DEP_4)
	v_fma_f32 v22, -v27, v39, v22
	v_dual_fmac_f32 v18, v29, v44 :: v_dual_fmac_f32 v19, v46, v45
	v_fmac_f32_e32 v23, v42, v44
	v_fmac_f32_e32 v20, v43, v44
	;; [unrolled: 1-line block ×3, first 2 shown]
	v_fma_f32 v21, -v29, v45, v21
	v_fmac_f32_e32 v18, v28, v45
	v_fma_f32 v23, -v43, v45, v23
	v_fmac_f32_e32 v20, v42, v45
	v_fma_f32 v22, -v47, v45, v22
	s_wait_alu 0xfffe
	s_and_not1_b32 exec_lo, exec_lo, s6
	s_cbranch_execnz .LBB31_14
; %bb.15:
	s_or_b32 exec_lo, exec_lo, s6
.LBB31_16:
	s_wait_alu 0xfffe
	s_or_b32 exec_lo, exec_lo, s3
	s_cbranch_execz .LBB31_18
	s_branch .LBB31_23
.LBB31_17:
                                        ; implicit-def: $vgpr18
                                        ; implicit-def: $vgpr21
                                        ; implicit-def: $vgpr22
                                        ; implicit-def: $vgpr19
                                        ; implicit-def: $vgpr23
                                        ; implicit-def: $vgpr20
.LBB31_18:
	v_dual_mov_b32 v18, 0 :: v_dual_mov_b32 v21, 0
	v_dual_mov_b32 v22, 0 :: v_dual_mov_b32 v19, 0
	;; [unrolled: 1-line block ×3, first 2 shown]
	s_and_saveexec_b32 s3, s2
	s_cbranch_execz .LBB31_22
; %bb.19:
	v_lshlrev_b64_e32 v[12:13], 2, v[0:1]
	v_dual_mov_b32 v18, 0 :: v_dual_mov_b32 v21, 0
	v_dual_mov_b32 v22, 0 :: v_dual_mov_b32 v19, 0
	;; [unrolled: 1-line block ×3, first 2 shown]
	s_delay_alu instid0(VALU_DEP_4)
	v_add_co_u32 v12, vcc_lo, s8, v12
	s_wait_alu 0xfffd
	v_add_co_ci_u32_e64 v13, null, s9, v13, vcc_lo
	s_mov_b32 s2, 0
.LBB31_20:                              ; =>This Inner Loop Header: Depth=1
	global_load_b32 v28, v[12:13], off
	s_clause 0x1
	global_load_b128 v[14:17], v[8:9], off offset:16
	global_load_b128 v[24:27], v[8:9], off
	s_wait_loadcnt 0x2
	v_subrev_nc_u32_e32 v28, s12, v28
	s_delay_alu instid0(VALU_DEP_1) | instskip(NEXT) | instid1(VALU_DEP_1)
	v_lshl_add_u32 v28, v28, 1, v28
	v_ashrrev_i32_e32 v29, 31, v28
	s_delay_alu instid0(VALU_DEP_1) | instskip(SKIP_1) | instid1(VALU_DEP_1)
	v_lshlrev_b64_e32 v[28:29], 3, v[28:29]
	s_wait_kmcnt 0x0
	v_add_co_u32 v32, vcc_lo, s4, v28
	s_wait_alu 0xfffd
	s_delay_alu instid0(VALU_DEP_2)
	v_add_co_ci_u32_e64 v33, null, s5, v29, vcc_lo
	s_clause 0x1
	global_load_b128 v[28:31], v[32:33], off
	global_load_b64 v[40:41], v[32:33], off offset:16
	s_clause 0x2
	global_load_b128 v[32:35], v[8:9], off offset:32
	global_load_b128 v[36:39], v[8:9], off offset:48
	global_load_b64 v[42:43], v[8:9], off offset:64
	v_add_co_u32 v8, vcc_lo, 0x240, v8
	s_wait_alu 0xfffd
	v_add_co_ci_u32_e64 v9, null, 0, v9, vcc_lo
	v_add_co_u32 v0, vcc_lo, v0, 8
	s_wait_alu 0xfffd
	v_add_co_ci_u32_e64 v1, null, 0, v1, vcc_lo
	;; [unrolled: 3-line block ×3, first 2 shown]
	s_delay_alu instid0(VALU_DEP_3)
	v_cmp_ge_i64_e32 vcc_lo, v[0:1], v[10:11]
	s_wait_alu 0xfffe
	s_or_b32 s2, vcc_lo, s2
	s_wait_loadcnt 0x4
	v_fmac_f32_e32 v19, v15, v28
	v_fmac_f32_e32 v18, v25, v28
	;; [unrolled: 1-line block ×4, first 2 shown]
	s_delay_alu instid0(VALU_DEP_4) | instskip(NEXT) | instid1(VALU_DEP_4)
	v_fmac_f32_e32 v19, v14, v29
	v_dual_fmac_f32 v23, v26, v28 :: v_dual_fmac_f32 v18, v24, v29
	s_delay_alu instid0(VALU_DEP_4) | instskip(NEXT) | instid1(VALU_DEP_4)
	v_fmac_f32_e32 v20, v26, v29
	v_fma_f32 v21, -v25, v29, v21
	s_wait_loadcnt 0x2
	v_fmac_f32_e32 v19, v35, v30
	v_fma_f32 v23, -v27, v29, v23
	v_fmac_f32_e32 v22, v14, v28
	v_fmac_f32_e32 v20, v33, v30
	;; [unrolled: 1-line block ×5, first 2 shown]
	v_fma_f32 v15, -v15, v29, v22
	v_fmac_f32_e32 v19, v34, v31
	v_fmac_f32_e32 v20, v32, v31
	v_fma_f32 v14, -v17, v31, v21
	s_delay_alu instid0(VALU_DEP_4)
	v_dual_fmac_f32 v18, v16, v31 :: v_dual_fmac_f32 v15, v34, v30
	v_fma_f32 v16, -v33, v31, v23
	s_wait_loadcnt 0x1
	v_fmac_f32_e32 v20, v39, v40
	s_wait_loadcnt 0x0
	v_fmac_f32_e32 v19, v43, v40
	v_fmac_f32_e32 v18, v37, v40
	v_fma_f32 v15, -v35, v31, v15
	v_fmac_f32_e32 v16, v38, v40
	v_fmac_f32_e32 v20, v38, v41
	v_dual_fmac_f32 v14, v36, v40 :: v_dual_fmac_f32 v19, v42, v41
	s_delay_alu instid0(VALU_DEP_4) | instskip(NEXT) | instid1(VALU_DEP_4)
	v_dual_fmac_f32 v15, v42, v40 :: v_dual_fmac_f32 v18, v36, v41
	v_fma_f32 v23, -v39, v41, v16
	s_delay_alu instid0(VALU_DEP_3) | instskip(NEXT) | instid1(VALU_DEP_3)
	v_fma_f32 v21, -v37, v41, v14
	v_fma_f32 v22, -v43, v41, v15
	s_wait_alu 0xfffe
	s_and_not1_b32 exec_lo, exec_lo, s2
	s_cbranch_execnz .LBB31_20
; %bb.21:
	s_or_b32 exec_lo, exec_lo, s2
.LBB31_22:
	s_wait_alu 0xfffe
	s_or_b32 exec_lo, exec_lo, s3
.LBB31_23:
	v_mbcnt_lo_u32_b32 v0, -1, 0
	s_delay_alu instid0(VALU_DEP_1) | instskip(SKIP_1) | instid1(VALU_DEP_2)
	v_xor_b32_e32 v1, 4, v0
	v_xor_b32_e32 v13, 2, v0
	v_cmp_gt_i32_e32 vcc_lo, 32, v1
	s_wait_alu 0xfffd
	v_cndmask_b32_e32 v1, v0, v1, vcc_lo
	s_delay_alu instid0(VALU_DEP_3) | instskip(NEXT) | instid1(VALU_DEP_2)
	v_cmp_gt_i32_e32 vcc_lo, 32, v13
	v_lshlrev_b32_e32 v1, 2, v1
	ds_bpermute_b32 v10, v1, v23
	s_wait_dscnt 0x0
	v_add_f32_e32 v10, v23, v10
	ds_bpermute_b32 v8, v1, v21
	ds_bpermute_b32 v9, v1, v18
	;; [unrolled: 1-line block ×5, first 2 shown]
	s_wait_dscnt 0x4
	s_wait_alu 0xfffd
	v_dual_cndmask_b32 v13, v0, v13 :: v_dual_add_f32 v8, v21, v8
	s_wait_dscnt 0x1
	v_dual_add_f32 v11, v20, v11 :: v_dual_add_f32 v12, v22, v12
	s_wait_dscnt 0x0
	v_add_f32_e32 v14, v19, v1
	v_xor_b32_e32 v19, 1, v0
	v_add_f32_e32 v9, v18, v9
	s_delay_alu instid0(VALU_DEP_2)
	v_cmp_gt_i32_e32 vcc_lo, 32, v19
	s_wait_alu 0xfffd
	v_dual_cndmask_b32 v0, v0, v19 :: v_dual_lshlrev_b32 v13, 2, v13
	ds_bpermute_b32 v1, v13, v8
	ds_bpermute_b32 v16, v13, v10
	;; [unrolled: 1-line block ×4, first 2 shown]
	v_lshlrev_b32_e32 v19, 2, v0
	v_cmp_eq_u32_e32 vcc_lo, 7, v3
	s_wait_dscnt 0x3
	v_add_f32_e32 v0, v8, v1
	s_wait_dscnt 0x2
	v_add_f32_e32 v8, v10, v16
	;; [unrolled: 2-line block ×3, first 2 shown]
	ds_bpermute_b32 v15, v13, v9
	ds_bpermute_b32 v13, v13, v14
	;; [unrolled: 1-line block ×4, first 2 shown]
	s_wait_dscnt 0x3
	v_add_f32_e32 v1, v9, v15
	v_add_f32_e32 v9, v11, v17
	s_wait_dscnt 0x2
	v_add_f32_e32 v11, v14, v13
	ds_bpermute_b32 v14, v19, v8
	ds_bpermute_b32 v13, v19, v1
	;; [unrolled: 1-line block ×4, first 2 shown]
	s_and_b32 exec_lo, exec_lo, vcc_lo
	s_cbranch_execz .LBB31_8
; %bb.24:
	s_wait_dscnt 0x2
	v_dual_add_f32 v12, v0, v12 :: v_dual_add_f32 v1, v1, v13
	s_load_b64 s[2:3], s[0:1], 0x50
	v_dual_add_f32 v13, v8, v14 :: v_dual_add_f32 v14, v10, v16
	v_lshl_add_u32 v10, v2, 1, v2
	s_delay_alu instid0(VALU_DEP_3)
	v_mul_f32_e64 v0, v1, -v7
	s_wait_dscnt 0x1
	v_add_f32_e32 v3, v9, v15
	s_wait_dscnt 0x0
	v_add_f32_e32 v9, v11, v17
	v_mul_f32_e32 v1, v6, v1
	v_cmp_eq_f32_e32 vcc_lo, 0, v4
	v_fmac_f32_e32 v0, v6, v12
	v_mul_f32_e64 v2, v3, -v7
	v_mul_f32_e64 v8, v9, -v7
	v_mul_f32_e32 v3, v6, v3
	v_cmp_eq_f32_e64 s0, 0, v5
	s_delay_alu instid0(VALU_DEP_4) | instskip(NEXT) | instid1(VALU_DEP_4)
	v_dual_fmac_f32 v1, v7, v12 :: v_dual_fmac_f32 v2, v6, v13
	v_fmac_f32_e32 v8, v6, v14
	v_mul_f32_e32 v9, v6, v9
	v_ashrrev_i32_e32 v11, 31, v10
	v_fmac_f32_e32 v3, v7, v13
	s_and_b32 s0, vcc_lo, s0
	s_delay_alu instid0(VALU_DEP_3)
	v_fmac_f32_e32 v9, v7, v14
	s_wait_alu 0xfffe
	s_and_saveexec_b32 s1, s0
	s_wait_alu 0xfffe
	s_xor_b32 s0, exec_lo, s1
	s_cbranch_execz .LBB31_26
; %bb.25:
	v_lshlrev_b64_e32 v[4:5], 3, v[10:11]
                                        ; implicit-def: $vgpr10
	s_wait_kmcnt 0x0
	s_delay_alu instid0(VALU_DEP_1) | instskip(SKIP_1) | instid1(VALU_DEP_2)
	v_add_co_u32 v4, vcc_lo, s2, v4
	s_wait_alu 0xfffd
	v_add_co_ci_u32_e64 v5, null, s3, v5, vcc_lo
	s_clause 0x1
	global_store_b128 v[4:5], v[0:3], off
	global_store_b64 v[4:5], v[8:9], off offset:16
                                        ; implicit-def: $vgpr4_vgpr5
                                        ; implicit-def: $vgpr0
                                        ; implicit-def: $vgpr8
.LBB31_26:
	s_wait_alu 0xfffe
	s_and_not1_saveexec_b32 s0, s0
	s_cbranch_execz .LBB31_8
; %bb.27:
	v_lshlrev_b64_e32 v[6:7], 3, v[10:11]
	s_wait_kmcnt 0x0
	s_delay_alu instid0(VALU_DEP_1) | instskip(SKIP_1) | instid1(VALU_DEP_2)
	v_add_co_u32 v6, vcc_lo, s2, v6
	s_wait_alu 0xfffd
	v_add_co_ci_u32_e64 v7, null, s3, v7, vcc_lo
	s_clause 0x1
	global_load_b128 v[10:13], v[6:7], off
	global_load_b64 v[14:15], v[6:7], off offset:16
	s_wait_loadcnt 0x1
	v_dual_fmac_f32 v0, v4, v10 :: v_dual_fmac_f32 v3, v5, v12
	v_dual_fmac_f32 v1, v5, v10 :: v_dual_fmac_f32 v2, v4, v12
	s_wait_loadcnt 0x0
	v_fmac_f32_e32 v8, v4, v14
	v_fmac_f32_e32 v9, v5, v14
	v_fma_f32 v0, -v5, v11, v0
	v_fmac_f32_e32 v1, v4, v11
	v_fma_f32 v2, -v5, v13, v2
	;; [unrolled: 2-line block ×3, first 2 shown]
	v_fmac_f32_e32 v9, v4, v15
	s_clause 0x1
	global_store_b128 v[6:7], v[0:3], off
	global_store_b64 v[6:7], v[8:9], off offset:16
	s_endpgm
	.section	.rodata,"a",@progbits
	.p2align	6, 0x0
	.amdhsa_kernel _ZN9rocsparseL18bsrxmvn_3x3_kernelILj256ELj8E21rocsparse_complex_numIfEliS2_S2_S2_EEvT3_20rocsparse_direction_NS_24const_host_device_scalarIT1_EES3_PKS3_PKT2_SC_S9_PKT4_PKT5_S7_PT6_21rocsparse_index_base_b
		.amdhsa_group_segment_fixed_size 0
		.amdhsa_private_segment_fixed_size 0
		.amdhsa_kernarg_size 96
		.amdhsa_user_sgpr_count 2
		.amdhsa_user_sgpr_dispatch_ptr 0
		.amdhsa_user_sgpr_queue_ptr 0
		.amdhsa_user_sgpr_kernarg_segment_ptr 1
		.amdhsa_user_sgpr_dispatch_id 0
		.amdhsa_user_sgpr_private_segment_size 0
		.amdhsa_wavefront_size32 1
		.amdhsa_uses_dynamic_stack 0
		.amdhsa_enable_private_segment 0
		.amdhsa_system_sgpr_workgroup_id_x 1
		.amdhsa_system_sgpr_workgroup_id_y 0
		.amdhsa_system_sgpr_workgroup_id_z 0
		.amdhsa_system_sgpr_workgroup_info 0
		.amdhsa_system_vgpr_workitem_id 0
		.amdhsa_next_free_vgpr 48
		.amdhsa_next_free_sgpr 14
		.amdhsa_reserve_vcc 1
		.amdhsa_float_round_mode_32 0
		.amdhsa_float_round_mode_16_64 0
		.amdhsa_float_denorm_mode_32 3
		.amdhsa_float_denorm_mode_16_64 3
		.amdhsa_fp16_overflow 0
		.amdhsa_workgroup_processor_mode 1
		.amdhsa_memory_ordered 1
		.amdhsa_forward_progress 1
		.amdhsa_inst_pref_size 21
		.amdhsa_round_robin_scheduling 0
		.amdhsa_exception_fp_ieee_invalid_op 0
		.amdhsa_exception_fp_denorm_src 0
		.amdhsa_exception_fp_ieee_div_zero 0
		.amdhsa_exception_fp_ieee_overflow 0
		.amdhsa_exception_fp_ieee_underflow 0
		.amdhsa_exception_fp_ieee_inexact 0
		.amdhsa_exception_int_div_zero 0
	.end_amdhsa_kernel
	.section	.text._ZN9rocsparseL18bsrxmvn_3x3_kernelILj256ELj8E21rocsparse_complex_numIfEliS2_S2_S2_EEvT3_20rocsparse_direction_NS_24const_host_device_scalarIT1_EES3_PKS3_PKT2_SC_S9_PKT4_PKT5_S7_PT6_21rocsparse_index_base_b,"axG",@progbits,_ZN9rocsparseL18bsrxmvn_3x3_kernelILj256ELj8E21rocsparse_complex_numIfEliS2_S2_S2_EEvT3_20rocsparse_direction_NS_24const_host_device_scalarIT1_EES3_PKS3_PKT2_SC_S9_PKT4_PKT5_S7_PT6_21rocsparse_index_base_b,comdat
.Lfunc_end31:
	.size	_ZN9rocsparseL18bsrxmvn_3x3_kernelILj256ELj8E21rocsparse_complex_numIfEliS2_S2_S2_EEvT3_20rocsparse_direction_NS_24const_host_device_scalarIT1_EES3_PKS3_PKT2_SC_S9_PKT4_PKT5_S7_PT6_21rocsparse_index_base_b, .Lfunc_end31-_ZN9rocsparseL18bsrxmvn_3x3_kernelILj256ELj8E21rocsparse_complex_numIfEliS2_S2_S2_EEvT3_20rocsparse_direction_NS_24const_host_device_scalarIT1_EES3_PKS3_PKT2_SC_S9_PKT4_PKT5_S7_PT6_21rocsparse_index_base_b
                                        ; -- End function
	.set _ZN9rocsparseL18bsrxmvn_3x3_kernelILj256ELj8E21rocsparse_complex_numIfEliS2_S2_S2_EEvT3_20rocsparse_direction_NS_24const_host_device_scalarIT1_EES3_PKS3_PKT2_SC_S9_PKT4_PKT5_S7_PT6_21rocsparse_index_base_b.num_vgpr, 48
	.set _ZN9rocsparseL18bsrxmvn_3x3_kernelILj256ELj8E21rocsparse_complex_numIfEliS2_S2_S2_EEvT3_20rocsparse_direction_NS_24const_host_device_scalarIT1_EES3_PKS3_PKT2_SC_S9_PKT4_PKT5_S7_PT6_21rocsparse_index_base_b.num_agpr, 0
	.set _ZN9rocsparseL18bsrxmvn_3x3_kernelILj256ELj8E21rocsparse_complex_numIfEliS2_S2_S2_EEvT3_20rocsparse_direction_NS_24const_host_device_scalarIT1_EES3_PKS3_PKT2_SC_S9_PKT4_PKT5_S7_PT6_21rocsparse_index_base_b.numbered_sgpr, 14
	.set _ZN9rocsparseL18bsrxmvn_3x3_kernelILj256ELj8E21rocsparse_complex_numIfEliS2_S2_S2_EEvT3_20rocsparse_direction_NS_24const_host_device_scalarIT1_EES3_PKS3_PKT2_SC_S9_PKT4_PKT5_S7_PT6_21rocsparse_index_base_b.num_named_barrier, 0
	.set _ZN9rocsparseL18bsrxmvn_3x3_kernelILj256ELj8E21rocsparse_complex_numIfEliS2_S2_S2_EEvT3_20rocsparse_direction_NS_24const_host_device_scalarIT1_EES3_PKS3_PKT2_SC_S9_PKT4_PKT5_S7_PT6_21rocsparse_index_base_b.private_seg_size, 0
	.set _ZN9rocsparseL18bsrxmvn_3x3_kernelILj256ELj8E21rocsparse_complex_numIfEliS2_S2_S2_EEvT3_20rocsparse_direction_NS_24const_host_device_scalarIT1_EES3_PKS3_PKT2_SC_S9_PKT4_PKT5_S7_PT6_21rocsparse_index_base_b.uses_vcc, 1
	.set _ZN9rocsparseL18bsrxmvn_3x3_kernelILj256ELj8E21rocsparse_complex_numIfEliS2_S2_S2_EEvT3_20rocsparse_direction_NS_24const_host_device_scalarIT1_EES3_PKS3_PKT2_SC_S9_PKT4_PKT5_S7_PT6_21rocsparse_index_base_b.uses_flat_scratch, 0
	.set _ZN9rocsparseL18bsrxmvn_3x3_kernelILj256ELj8E21rocsparse_complex_numIfEliS2_S2_S2_EEvT3_20rocsparse_direction_NS_24const_host_device_scalarIT1_EES3_PKS3_PKT2_SC_S9_PKT4_PKT5_S7_PT6_21rocsparse_index_base_b.has_dyn_sized_stack, 0
	.set _ZN9rocsparseL18bsrxmvn_3x3_kernelILj256ELj8E21rocsparse_complex_numIfEliS2_S2_S2_EEvT3_20rocsparse_direction_NS_24const_host_device_scalarIT1_EES3_PKS3_PKT2_SC_S9_PKT4_PKT5_S7_PT6_21rocsparse_index_base_b.has_recursion, 0
	.set _ZN9rocsparseL18bsrxmvn_3x3_kernelILj256ELj8E21rocsparse_complex_numIfEliS2_S2_S2_EEvT3_20rocsparse_direction_NS_24const_host_device_scalarIT1_EES3_PKS3_PKT2_SC_S9_PKT4_PKT5_S7_PT6_21rocsparse_index_base_b.has_indirect_call, 0
	.section	.AMDGPU.csdata,"",@progbits
; Kernel info:
; codeLenInByte = 2580
; TotalNumSgprs: 16
; NumVgprs: 48
; ScratchSize: 0
; MemoryBound: 0
; FloatMode: 240
; IeeeMode: 1
; LDSByteSize: 0 bytes/workgroup (compile time only)
; SGPRBlocks: 0
; VGPRBlocks: 5
; NumSGPRsForWavesPerEU: 16
; NumVGPRsForWavesPerEU: 48
; Occupancy: 16
; WaveLimiterHint : 1
; COMPUTE_PGM_RSRC2:SCRATCH_EN: 0
; COMPUTE_PGM_RSRC2:USER_SGPR: 2
; COMPUTE_PGM_RSRC2:TRAP_HANDLER: 0
; COMPUTE_PGM_RSRC2:TGID_X_EN: 1
; COMPUTE_PGM_RSRC2:TGID_Y_EN: 0
; COMPUTE_PGM_RSRC2:TGID_Z_EN: 0
; COMPUTE_PGM_RSRC2:TIDIG_COMP_CNT: 0
	.section	.text._ZN9rocsparseL18bsrxmvn_3x3_kernelILj256ELj16E21rocsparse_complex_numIfEliS2_S2_S2_EEvT3_20rocsparse_direction_NS_24const_host_device_scalarIT1_EES3_PKS3_PKT2_SC_S9_PKT4_PKT5_S7_PT6_21rocsparse_index_base_b,"axG",@progbits,_ZN9rocsparseL18bsrxmvn_3x3_kernelILj256ELj16E21rocsparse_complex_numIfEliS2_S2_S2_EEvT3_20rocsparse_direction_NS_24const_host_device_scalarIT1_EES3_PKS3_PKT2_SC_S9_PKT4_PKT5_S7_PT6_21rocsparse_index_base_b,comdat
	.globl	_ZN9rocsparseL18bsrxmvn_3x3_kernelILj256ELj16E21rocsparse_complex_numIfEliS2_S2_S2_EEvT3_20rocsparse_direction_NS_24const_host_device_scalarIT1_EES3_PKS3_PKT2_SC_S9_PKT4_PKT5_S7_PT6_21rocsparse_index_base_b ; -- Begin function _ZN9rocsparseL18bsrxmvn_3x3_kernelILj256ELj16E21rocsparse_complex_numIfEliS2_S2_S2_EEvT3_20rocsparse_direction_NS_24const_host_device_scalarIT1_EES3_PKS3_PKT2_SC_S9_PKT4_PKT5_S7_PT6_21rocsparse_index_base_b
	.p2align	8
	.type	_ZN9rocsparseL18bsrxmvn_3x3_kernelILj256ELj16E21rocsparse_complex_numIfEliS2_S2_S2_EEvT3_20rocsparse_direction_NS_24const_host_device_scalarIT1_EES3_PKS3_PKT2_SC_S9_PKT4_PKT5_S7_PT6_21rocsparse_index_base_b,@function
_ZN9rocsparseL18bsrxmvn_3x3_kernelILj256ELj16E21rocsparse_complex_numIfEliS2_S2_S2_EEvT3_20rocsparse_direction_NS_24const_host_device_scalarIT1_EES3_PKS3_PKT2_SC_S9_PKT4_PKT5_S7_PT6_21rocsparse_index_base_b: ; @_ZN9rocsparseL18bsrxmvn_3x3_kernelILj256ELj16E21rocsparse_complex_numIfEliS2_S2_S2_EEvT3_20rocsparse_direction_NS_24const_host_device_scalarIT1_EES3_PKS3_PKT2_SC_S9_PKT4_PKT5_S7_PT6_21rocsparse_index_base_b
; %bb.0:
	s_clause 0x2
	s_load_b64 s[12:13], s[0:1], 0x58
	s_load_b64 s[2:3], s[0:1], 0x8
	;; [unrolled: 1-line block ×3, first 2 shown]
	s_add_nc_u64 s[6:7], s[0:1], 8
	s_wait_kmcnt 0x0
	s_bitcmp1_b32 s13, 0
	s_cselect_b32 s2, s6, s2
	s_cselect_b32 s3, s7, s3
	s_delay_alu instid0(SALU_CYCLE_1)
	v_dual_mov_b32 v1, s2 :: v_dual_mov_b32 v2, s3
	s_add_nc_u64 s[2:3], s[0:1], 0x48
	s_wait_alu 0xfffe
	s_cselect_b32 s2, s2, s4
	s_cselect_b32 s3, s3, s5
	flat_load_b64 v[6:7], v[1:2]
	s_wait_alu 0xfffe
	v_dual_mov_b32 v1, s2 :: v_dual_mov_b32 v2, s3
	flat_load_b64 v[4:5], v[1:2]
	s_wait_loadcnt_dscnt 0x101
	v_cmp_eq_f32_e32 vcc_lo, 0, v6
	v_cmp_eq_f32_e64 s2, 0, v7
	s_and_b32 s4, vcc_lo, s2
	s_mov_b32 s2, -1
	s_and_saveexec_b32 s3, s4
	s_cbranch_execz .LBB32_2
; %bb.1:
	s_wait_loadcnt_dscnt 0x0
	v_cmp_neq_f32_e32 vcc_lo, 1.0, v4
	v_cmp_neq_f32_e64 s2, 0, v5
	s_wait_alu 0xfffe
	s_or_b32 s2, vcc_lo, s2
	s_wait_alu 0xfffe
	s_or_not1_b32 s2, s2, exec_lo
.LBB32_2:
	s_wait_alu 0xfffe
	s_or_b32 exec_lo, exec_lo, s3
	s_and_saveexec_b32 s3, s2
	s_cbranch_execz .LBB32_8
; %bb.3:
	s_clause 0x1
	s_load_b64 s[4:5], s[0:1], 0x18
	s_load_b64 s[2:3], s[0:1], 0x0
	v_lshrrev_b32_e32 v1, 4, v0
	s_delay_alu instid0(VALU_DEP_1)
	v_lshl_or_b32 v2, ttmp9, 4, v1
	s_wait_kmcnt 0x0
	s_cmp_lg_u64 s[4:5], 0
	s_cbranch_scc0 .LBB32_9
; %bb.4:
	s_load_b32 s6, s[0:1], 0x10
	s_mov_b32 s7, 0
                                        ; implicit-def: $vgpr1
	s_wait_kmcnt 0x0
	v_cmp_gt_i32_e32 vcc_lo, s6, v2
	s_mov_b32 s6, 0
	s_and_saveexec_b32 s8, vcc_lo
	s_delay_alu instid0(SALU_CYCLE_1)
	s_xor_b32 s8, exec_lo, s8
	s_cbranch_execz .LBB32_6
; %bb.5:
	v_ashrrev_i32_e32 v3, 31, v2
	s_mov_b32 s6, exec_lo
	s_delay_alu instid0(VALU_DEP_1) | instskip(NEXT) | instid1(VALU_DEP_1)
	v_lshlrev_b64_e32 v[8:9], 2, v[2:3]
	v_add_co_u32 v8, vcc_lo, s4, v8
	s_delay_alu instid0(VALU_DEP_1)
	v_add_co_ci_u32_e64 v9, null, s5, v9, vcc_lo
	global_load_b32 v1, v[8:9], off
	s_wait_loadcnt 0x0
	v_subrev_nc_u32_e32 v1, s12, v1
.LBB32_6:
	s_or_b32 exec_lo, exec_lo, s8
	s_delay_alu instid0(SALU_CYCLE_1)
	s_and_b32 vcc_lo, exec_lo, s7
	s_wait_alu 0xfffe
	s_cbranch_vccz .LBB32_10
.LBB32_7:
	v_cmp_gt_i32_e32 vcc_lo, s2, v2
	s_and_not1_b32 s2, s6, exec_lo
	s_and_b32 s4, vcc_lo, exec_lo
	s_wait_alu 0xfffe
	s_or_b32 s6, s2, s4
	s_wait_alu 0xfffe
	s_and_b32 exec_lo, exec_lo, s6
	s_cbranch_execnz .LBB32_11
.LBB32_8:
	s_endpgm
.LBB32_9:
	s_mov_b32 s6, 0
                                        ; implicit-def: $vgpr1
	s_cbranch_execnz .LBB32_7
.LBB32_10:
	v_mov_b32_e32 v2, v1
	s_and_b32 exec_lo, exec_lo, s6
	s_cbranch_execz .LBB32_8
.LBB32_11:
	s_load_b256 s[4:11], s[0:1], 0x20
	s_delay_alu instid0(VALU_DEP_1) | instskip(SKIP_1) | instid1(VALU_DEP_2)
	v_ashrrev_i32_e32 v3, 31, v2
	v_mov_b32_e32 v18, 0
	v_lshlrev_b64_e32 v[8:9], 3, v[2:3]
	s_wait_kmcnt 0x0
	s_delay_alu instid0(VALU_DEP_1) | instskip(SKIP_1) | instid1(VALU_DEP_2)
	v_add_co_u32 v10, vcc_lo, s4, v8
	s_wait_alu 0xfffd
	v_add_co_ci_u32_e64 v11, null, s5, v9, vcc_lo
	v_add_co_u32 v1, vcc_lo, s6, v8
	s_wait_alu 0xfffd
	v_add_co_ci_u32_e64 v3, null, s7, v9, vcc_lo
	global_load_b64 v[12:13], v[10:11], off
	v_add_co_u32 v8, vcc_lo, v10, 8
	s_wait_alu 0xfffd
	v_add_co_ci_u32_e64 v9, null, 0, v11, vcc_lo
	s_cmp_eq_u64 s[6:7], 0
	s_load_b64 s[4:5], s[0:1], 0x40
	s_cselect_b32 vcc_lo, -1, 0
	s_cmp_eq_u32 s3, 1
	s_wait_alu 0xfffe
	v_dual_cndmask_b32 v9, v3, v9 :: v_dual_cndmask_b32 v8, v1, v8
	v_and_b32_e32 v3, 15, v0
	global_load_b64 v[10:11], v[8:9], off
	s_wait_loadcnt 0x1
	v_sub_co_u32 v0, vcc_lo, v12, s12
	s_wait_alu 0xfffd
	v_subrev_co_ci_u32_e64 v1, null, 0, v13, vcc_lo
	s_delay_alu instid0(VALU_DEP_2) | instskip(SKIP_1) | instid1(VALU_DEP_2)
	v_add_co_u32 v0, vcc_lo, v0, v3
	s_wait_alu 0xfffd
	v_add_co_ci_u32_e64 v1, null, 0, v1, vcc_lo
	s_delay_alu instid0(VALU_DEP_2) | instskip(SKIP_1) | instid1(VALU_DEP_1)
	v_mad_co_u64_u32 v[8:9], null, 0x48, v0, s[10:11]
	s_wait_loadcnt 0x0
	v_mad_co_u64_u32 v[12:13], null, 0x48, v1, v[9:10]
	v_sub_co_u32 v10, vcc_lo, v10, s12
	s_wait_alu 0xfffd
	v_subrev_co_ci_u32_e64 v11, null, 0, v11, vcc_lo
	s_delay_alu instid0(VALU_DEP_3) | instskip(NEXT) | instid1(VALU_DEP_2)
	v_mov_b32_e32 v9, v12
	v_cmp_lt_i64_e64 s2, v[0:1], v[10:11]
	s_cbranch_scc1 .LBB32_17
; %bb.12:
	v_dual_mov_b32 v21, 0 :: v_dual_mov_b32 v22, 0
	v_dual_mov_b32 v19, 0 :: v_dual_mov_b32 v20, 0
	v_mov_b32_e32 v23, 0
	s_and_saveexec_b32 s3, s2
	s_cbranch_execz .LBB32_16
; %bb.13:
	v_lshlrev_b64_e32 v[14:15], 2, v[0:1]
	v_dual_mov_b32 v18, 0 :: v_dual_mov_b32 v13, v1
	v_dual_mov_b32 v12, v0 :: v_dual_mov_b32 v17, v9
	;; [unrolled: 1-line block ×3, first 2 shown]
	s_delay_alu instid0(VALU_DEP_4)
	v_add_co_u32 v14, vcc_lo, s8, v14
	s_wait_alu 0xfffd
	v_add_co_ci_u32_e64 v15, null, s9, v15, vcc_lo
	v_dual_mov_b32 v22, 0 :: v_dual_mov_b32 v19, 0
	v_dual_mov_b32 v23, 0 :: v_dual_mov_b32 v20, 0
	s_mov_b32 s6, 0
.LBB32_14:                              ; =>This Inner Loop Header: Depth=1
	global_load_b32 v36, v[14:15], off
	s_clause 0x2
	global_load_b128 v[24:27], v[16:17], off offset:48
	global_load_b128 v[28:31], v[16:17], off offset:16
	global_load_b128 v[32:35], v[16:17], off
	s_wait_loadcnt 0x3
	v_subrev_nc_u32_e32 v36, s12, v36
	s_delay_alu instid0(VALU_DEP_1) | instskip(NEXT) | instid1(VALU_DEP_1)
	v_lshl_add_u32 v36, v36, 1, v36
	v_ashrrev_i32_e32 v37, 31, v36
	s_delay_alu instid0(VALU_DEP_1) | instskip(SKIP_1) | instid1(VALU_DEP_1)
	v_lshlrev_b64_e32 v[36:37], 3, v[36:37]
	s_wait_kmcnt 0x0
	v_add_co_u32 v40, vcc_lo, s4, v36
	s_wait_alu 0xfffd
	s_delay_alu instid0(VALU_DEP_2)
	v_add_co_ci_u32_e64 v41, null, s5, v37, vcc_lo
	s_clause 0x1
	global_load_b128 v[36:39], v[40:41], off
	global_load_b64 v[44:45], v[40:41], off offset:16
	s_clause 0x1
	global_load_b128 v[40:43], v[16:17], off offset:32
	global_load_b64 v[46:47], v[16:17], off offset:64
	v_add_co_u32 v16, vcc_lo, 0x480, v16
	s_wait_alu 0xfffd
	v_add_co_ci_u32_e64 v17, null, 0, v17, vcc_lo
	v_add_co_u32 v12, vcc_lo, v12, 16
	s_wait_alu 0xfffd
	v_add_co_ci_u32_e64 v13, null, 0, v13, vcc_lo
	;; [unrolled: 3-line block ×3, first 2 shown]
	s_delay_alu instid0(VALU_DEP_3)
	v_cmp_ge_i64_e32 vcc_lo, v[12:13], v[10:11]
	s_wait_alu 0xfffe
	s_or_b32 s6, vcc_lo, s6
	s_wait_loadcnt 0x3
	v_fmac_f32_e32 v20, v31, v36
	v_fmac_f32_e32 v21, v32, v36
	;; [unrolled: 1-line block ×4, first 2 shown]
	s_delay_alu instid0(VALU_DEP_4) | instskip(NEXT) | instid1(VALU_DEP_4)
	v_fmac_f32_e32 v20, v30, v37
	v_fma_f32 v21, -v33, v37, v21
	s_delay_alu instid0(VALU_DEP_4) | instskip(NEXT) | instid1(VALU_DEP_4)
	v_fmac_f32_e32 v19, v24, v37
	v_dual_fmac_f32 v23, v30, v36 :: v_dual_fmac_f32 v18, v32, v37
	s_delay_alu instid0(VALU_DEP_3) | instskip(NEXT) | instid1(VALU_DEP_3)
	v_dual_fmac_f32 v22, v24, v36 :: v_dual_fmac_f32 v21, v34, v38
	v_fmac_f32_e32 v19, v27, v38
	s_delay_alu instid0(VALU_DEP_3) | instskip(NEXT) | instid1(VALU_DEP_4)
	v_fma_f32 v23, -v31, v37, v23
	v_fmac_f32_e32 v18, v35, v38
	s_delay_alu instid0(VALU_DEP_4) | instskip(SKIP_2) | instid1(VALU_DEP_3)
	v_fma_f32 v22, -v25, v37, v22
	s_wait_loadcnt 0x1
	v_dual_fmac_f32 v20, v41, v38 :: v_dual_fmac_f32 v19, v26, v39
	v_dual_fmac_f32 v23, v40, v38 :: v_dual_fmac_f32 v18, v34, v39
	v_fma_f32 v21, -v35, v39, v21
	s_wait_loadcnt 0x0
	s_delay_alu instid0(VALU_DEP_3) | instskip(NEXT) | instid1(VALU_DEP_3)
	v_dual_fmac_f32 v22, v26, v38 :: v_dual_fmac_f32 v19, v47, v44
	v_fma_f32 v23, -v41, v39, v23
	v_fmac_f32_e32 v20, v40, v39
	v_fmac_f32_e32 v21, v28, v44
	s_delay_alu instid0(VALU_DEP_4) | instskip(SKIP_3) | instid1(VALU_DEP_4)
	v_fma_f32 v22, -v27, v39, v22
	v_dual_fmac_f32 v18, v29, v44 :: v_dual_fmac_f32 v19, v46, v45
	v_fmac_f32_e32 v23, v42, v44
	v_fmac_f32_e32 v20, v43, v44
	;; [unrolled: 1-line block ×3, first 2 shown]
	v_fma_f32 v21, -v29, v45, v21
	v_fmac_f32_e32 v18, v28, v45
	v_fma_f32 v23, -v43, v45, v23
	v_fmac_f32_e32 v20, v42, v45
	v_fma_f32 v22, -v47, v45, v22
	s_wait_alu 0xfffe
	s_and_not1_b32 exec_lo, exec_lo, s6
	s_cbranch_execnz .LBB32_14
; %bb.15:
	s_or_b32 exec_lo, exec_lo, s6
.LBB32_16:
	s_wait_alu 0xfffe
	s_or_b32 exec_lo, exec_lo, s3
	s_cbranch_execz .LBB32_18
	s_branch .LBB32_23
.LBB32_17:
                                        ; implicit-def: $vgpr18
                                        ; implicit-def: $vgpr21
                                        ; implicit-def: $vgpr22
                                        ; implicit-def: $vgpr19
                                        ; implicit-def: $vgpr23
                                        ; implicit-def: $vgpr20
.LBB32_18:
	v_dual_mov_b32 v18, 0 :: v_dual_mov_b32 v21, 0
	v_dual_mov_b32 v22, 0 :: v_dual_mov_b32 v19, 0
	v_dual_mov_b32 v23, 0 :: v_dual_mov_b32 v20, 0
	s_and_saveexec_b32 s3, s2
	s_cbranch_execz .LBB32_22
; %bb.19:
	v_lshlrev_b64_e32 v[12:13], 2, v[0:1]
	v_dual_mov_b32 v18, 0 :: v_dual_mov_b32 v21, 0
	v_dual_mov_b32 v22, 0 :: v_dual_mov_b32 v19, 0
	v_dual_mov_b32 v23, 0 :: v_dual_mov_b32 v20, 0
	s_delay_alu instid0(VALU_DEP_4)
	v_add_co_u32 v12, vcc_lo, s8, v12
	s_wait_alu 0xfffd
	v_add_co_ci_u32_e64 v13, null, s9, v13, vcc_lo
	s_mov_b32 s2, 0
.LBB32_20:                              ; =>This Inner Loop Header: Depth=1
	global_load_b32 v28, v[12:13], off
	s_clause 0x1
	global_load_b128 v[14:17], v[8:9], off offset:16
	global_load_b128 v[24:27], v[8:9], off
	s_wait_loadcnt 0x2
	v_subrev_nc_u32_e32 v28, s12, v28
	s_delay_alu instid0(VALU_DEP_1) | instskip(NEXT) | instid1(VALU_DEP_1)
	v_lshl_add_u32 v28, v28, 1, v28
	v_ashrrev_i32_e32 v29, 31, v28
	s_delay_alu instid0(VALU_DEP_1) | instskip(SKIP_1) | instid1(VALU_DEP_1)
	v_lshlrev_b64_e32 v[28:29], 3, v[28:29]
	s_wait_kmcnt 0x0
	v_add_co_u32 v32, vcc_lo, s4, v28
	s_wait_alu 0xfffd
	s_delay_alu instid0(VALU_DEP_2)
	v_add_co_ci_u32_e64 v33, null, s5, v29, vcc_lo
	s_clause 0x1
	global_load_b128 v[28:31], v[32:33], off
	global_load_b64 v[40:41], v[32:33], off offset:16
	s_clause 0x2
	global_load_b128 v[32:35], v[8:9], off offset:32
	global_load_b128 v[36:39], v[8:9], off offset:48
	global_load_b64 v[42:43], v[8:9], off offset:64
	v_add_co_u32 v8, vcc_lo, 0x480, v8
	s_wait_alu 0xfffd
	v_add_co_ci_u32_e64 v9, null, 0, v9, vcc_lo
	v_add_co_u32 v0, vcc_lo, v0, 16
	s_wait_alu 0xfffd
	v_add_co_ci_u32_e64 v1, null, 0, v1, vcc_lo
	;; [unrolled: 3-line block ×3, first 2 shown]
	s_delay_alu instid0(VALU_DEP_3)
	v_cmp_ge_i64_e32 vcc_lo, v[0:1], v[10:11]
	s_wait_alu 0xfffe
	s_or_b32 s2, vcc_lo, s2
	s_wait_loadcnt 0x4
	v_fmac_f32_e32 v19, v15, v28
	v_fmac_f32_e32 v18, v25, v28
	;; [unrolled: 1-line block ×4, first 2 shown]
	s_delay_alu instid0(VALU_DEP_4) | instskip(NEXT) | instid1(VALU_DEP_4)
	v_fmac_f32_e32 v19, v14, v29
	v_dual_fmac_f32 v23, v26, v28 :: v_dual_fmac_f32 v18, v24, v29
	s_delay_alu instid0(VALU_DEP_4) | instskip(NEXT) | instid1(VALU_DEP_4)
	v_fmac_f32_e32 v20, v26, v29
	v_fma_f32 v21, -v25, v29, v21
	s_wait_loadcnt 0x2
	v_fmac_f32_e32 v19, v35, v30
	v_fma_f32 v23, -v27, v29, v23
	v_fmac_f32_e32 v22, v14, v28
	v_fmac_f32_e32 v20, v33, v30
	;; [unrolled: 1-line block ×5, first 2 shown]
	v_fma_f32 v15, -v15, v29, v22
	v_fmac_f32_e32 v19, v34, v31
	v_fmac_f32_e32 v20, v32, v31
	v_fma_f32 v14, -v17, v31, v21
	s_delay_alu instid0(VALU_DEP_4)
	v_dual_fmac_f32 v18, v16, v31 :: v_dual_fmac_f32 v15, v34, v30
	v_fma_f32 v16, -v33, v31, v23
	s_wait_loadcnt 0x1
	v_fmac_f32_e32 v20, v39, v40
	s_wait_loadcnt 0x0
	v_fmac_f32_e32 v19, v43, v40
	v_fmac_f32_e32 v18, v37, v40
	v_fma_f32 v15, -v35, v31, v15
	v_fmac_f32_e32 v16, v38, v40
	v_fmac_f32_e32 v20, v38, v41
	v_dual_fmac_f32 v14, v36, v40 :: v_dual_fmac_f32 v19, v42, v41
	s_delay_alu instid0(VALU_DEP_4) | instskip(NEXT) | instid1(VALU_DEP_4)
	v_dual_fmac_f32 v15, v42, v40 :: v_dual_fmac_f32 v18, v36, v41
	v_fma_f32 v23, -v39, v41, v16
	s_delay_alu instid0(VALU_DEP_3) | instskip(NEXT) | instid1(VALU_DEP_3)
	v_fma_f32 v21, -v37, v41, v14
	v_fma_f32 v22, -v43, v41, v15
	s_wait_alu 0xfffe
	s_and_not1_b32 exec_lo, exec_lo, s2
	s_cbranch_execnz .LBB32_20
; %bb.21:
	s_or_b32 exec_lo, exec_lo, s2
.LBB32_22:
	s_wait_alu 0xfffe
	s_or_b32 exec_lo, exec_lo, s3
.LBB32_23:
	v_mbcnt_lo_u32_b32 v0, -1, 0
	s_delay_alu instid0(VALU_DEP_1) | instskip(SKIP_1) | instid1(VALU_DEP_2)
	v_xor_b32_e32 v1, 8, v0
	v_xor_b32_e32 v13, 4, v0
	v_cmp_gt_i32_e32 vcc_lo, 32, v1
	s_wait_alu 0xfffd
	v_cndmask_b32_e32 v1, v0, v1, vcc_lo
	s_delay_alu instid0(VALU_DEP_3) | instskip(NEXT) | instid1(VALU_DEP_2)
	v_cmp_gt_i32_e32 vcc_lo, 32, v13
	v_lshlrev_b32_e32 v1, 2, v1
	ds_bpermute_b32 v10, v1, v23
	s_wait_dscnt 0x0
	v_add_f32_e32 v10, v23, v10
	ds_bpermute_b32 v8, v1, v21
	ds_bpermute_b32 v12, v1, v22
	s_wait_alu 0xfffd
	v_cndmask_b32_e32 v13, v0, v13, vcc_lo
	ds_bpermute_b32 v9, v1, v18
	ds_bpermute_b32 v11, v1, v20
	;; [unrolled: 1-line block ×3, first 2 shown]
	s_wait_dscnt 0x4
	v_add_f32_e32 v8, v21, v8
	s_wait_dscnt 0x3
	v_dual_add_f32 v12, v22, v12 :: v_dual_lshlrev_b32 v13, 2, v13
	s_wait_dscnt 0x2
	v_add_f32_e32 v9, v18, v9
	s_wait_dscnt 0x0
	v_add_f32_e32 v1, v19, v1
	v_xor_b32_e32 v19, 2, v0
	ds_bpermute_b32 v14, v13, v8
	v_cmp_gt_i32_e32 vcc_lo, 32, v19
	s_wait_alu 0xfffd
	v_cndmask_b32_e32 v19, v0, v19, vcc_lo
	s_wait_dscnt 0x0
	v_add_f32_e32 v8, v8, v14
	ds_bpermute_b32 v16, v13, v10
	ds_bpermute_b32 v18, v13, v12
	v_add_f32_e32 v11, v20, v11
	s_wait_dscnt 0x1
	v_dual_add_f32 v10, v10, v16 :: v_dual_lshlrev_b32 v19, 2, v19
	ds_bpermute_b32 v17, v13, v11
	s_wait_dscnt 0x1
	v_add_f32_e32 v12, v12, v18
	ds_bpermute_b32 v15, v13, v9
	ds_bpermute_b32 v13, v13, v1
	s_wait_dscnt 0x2
	v_add_f32_e32 v11, v11, v17
	ds_bpermute_b32 v17, v19, v12
	s_wait_dscnt 0x2
	v_add_f32_e32 v9, v9, v15
	s_wait_dscnt 0x1
	v_add_f32_e32 v13, v1, v13
	ds_bpermute_b32 v1, v19, v8
	ds_bpermute_b32 v15, v19, v10
	;; [unrolled: 1-line block ×5, first 2 shown]
	v_xor_b32_e32 v19, 1, v0
	s_delay_alu instid0(VALU_DEP_1) | instskip(SKIP_4) | instid1(VALU_DEP_2)
	v_cmp_gt_i32_e32 vcc_lo, 32, v19
	s_wait_alu 0xfffd
	v_cndmask_b32_e32 v0, v0, v19, vcc_lo
	v_cmp_eq_u32_e32 vcc_lo, 15, v3
	s_wait_dscnt 0x4
	v_dual_add_f32 v0, v8, v1 :: v_dual_lshlrev_b32 v19, 2, v0
	s_wait_dscnt 0x3
	v_add_f32_e32 v8, v10, v15
	s_wait_dscnt 0x1
	v_dual_add_f32 v10, v12, v17 :: v_dual_add_f32 v1, v9, v14
	v_add_f32_e32 v9, v11, v16
	s_wait_dscnt 0x0
	v_add_f32_e32 v11, v13, v18
	ds_bpermute_b32 v12, v19, v0
	ds_bpermute_b32 v14, v19, v8
	ds_bpermute_b32 v13, v19, v1
	ds_bpermute_b32 v15, v19, v9
	ds_bpermute_b32 v16, v19, v10
	ds_bpermute_b32 v17, v19, v11
	s_and_b32 exec_lo, exec_lo, vcc_lo
	s_cbranch_execz .LBB32_8
; %bb.24:
	s_wait_dscnt 0x3
	v_dual_add_f32 v12, v0, v12 :: v_dual_add_f32 v1, v1, v13
	s_load_b64 s[2:3], s[0:1], 0x50
	s_wait_dscnt 0x1
	v_dual_add_f32 v13, v8, v14 :: v_dual_add_f32 v14, v10, v16
	v_lshl_add_u32 v10, v2, 1, v2
	v_mul_f32_e64 v0, v1, -v7
	v_add_f32_e32 v3, v9, v15
	s_wait_dscnt 0x0
	v_add_f32_e32 v9, v11, v17
	v_mul_f32_e32 v1, v6, v1
	v_cmp_eq_f32_e32 vcc_lo, 0, v4
	v_fmac_f32_e32 v0, v6, v12
	v_mul_f32_e64 v2, v3, -v7
	v_mul_f32_e64 v8, v9, -v7
	v_mul_f32_e32 v3, v6, v3
	v_cmp_eq_f32_e64 s0, 0, v5
	s_delay_alu instid0(VALU_DEP_4) | instskip(NEXT) | instid1(VALU_DEP_4)
	v_dual_fmac_f32 v1, v7, v12 :: v_dual_fmac_f32 v2, v6, v13
	v_fmac_f32_e32 v8, v6, v14
	v_mul_f32_e32 v9, v6, v9
	v_ashrrev_i32_e32 v11, 31, v10
	v_fmac_f32_e32 v3, v7, v13
	s_and_b32 s0, vcc_lo, s0
	s_delay_alu instid0(VALU_DEP_3)
	v_fmac_f32_e32 v9, v7, v14
	s_wait_alu 0xfffe
	s_and_saveexec_b32 s1, s0
	s_wait_alu 0xfffe
	s_xor_b32 s0, exec_lo, s1
	s_cbranch_execz .LBB32_26
; %bb.25:
	v_lshlrev_b64_e32 v[4:5], 3, v[10:11]
                                        ; implicit-def: $vgpr10
	s_wait_kmcnt 0x0
	s_delay_alu instid0(VALU_DEP_1) | instskip(SKIP_1) | instid1(VALU_DEP_2)
	v_add_co_u32 v4, vcc_lo, s2, v4
	s_wait_alu 0xfffd
	v_add_co_ci_u32_e64 v5, null, s3, v5, vcc_lo
	s_clause 0x1
	global_store_b128 v[4:5], v[0:3], off
	global_store_b64 v[4:5], v[8:9], off offset:16
                                        ; implicit-def: $vgpr4_vgpr5
                                        ; implicit-def: $vgpr0
                                        ; implicit-def: $vgpr8
.LBB32_26:
	s_wait_alu 0xfffe
	s_and_not1_saveexec_b32 s0, s0
	s_cbranch_execz .LBB32_8
; %bb.27:
	v_lshlrev_b64_e32 v[6:7], 3, v[10:11]
	s_wait_kmcnt 0x0
	s_delay_alu instid0(VALU_DEP_1) | instskip(SKIP_1) | instid1(VALU_DEP_2)
	v_add_co_u32 v6, vcc_lo, s2, v6
	s_wait_alu 0xfffd
	v_add_co_ci_u32_e64 v7, null, s3, v7, vcc_lo
	s_clause 0x1
	global_load_b128 v[10:13], v[6:7], off
	global_load_b64 v[14:15], v[6:7], off offset:16
	s_wait_loadcnt 0x1
	v_dual_fmac_f32 v0, v4, v10 :: v_dual_fmac_f32 v3, v5, v12
	v_dual_fmac_f32 v1, v5, v10 :: v_dual_fmac_f32 v2, v4, v12
	s_wait_loadcnt 0x0
	v_fmac_f32_e32 v8, v4, v14
	v_fmac_f32_e32 v9, v5, v14
	v_fma_f32 v0, -v5, v11, v0
	v_fmac_f32_e32 v1, v4, v11
	v_fma_f32 v2, -v5, v13, v2
	;; [unrolled: 2-line block ×3, first 2 shown]
	v_fmac_f32_e32 v9, v4, v15
	s_clause 0x1
	global_store_b128 v[6:7], v[0:3], off
	global_store_b64 v[6:7], v[8:9], off offset:16
	s_endpgm
	.section	.rodata,"a",@progbits
	.p2align	6, 0x0
	.amdhsa_kernel _ZN9rocsparseL18bsrxmvn_3x3_kernelILj256ELj16E21rocsparse_complex_numIfEliS2_S2_S2_EEvT3_20rocsparse_direction_NS_24const_host_device_scalarIT1_EES3_PKS3_PKT2_SC_S9_PKT4_PKT5_S7_PT6_21rocsparse_index_base_b
		.amdhsa_group_segment_fixed_size 0
		.amdhsa_private_segment_fixed_size 0
		.amdhsa_kernarg_size 96
		.amdhsa_user_sgpr_count 2
		.amdhsa_user_sgpr_dispatch_ptr 0
		.amdhsa_user_sgpr_queue_ptr 0
		.amdhsa_user_sgpr_kernarg_segment_ptr 1
		.amdhsa_user_sgpr_dispatch_id 0
		.amdhsa_user_sgpr_private_segment_size 0
		.amdhsa_wavefront_size32 1
		.amdhsa_uses_dynamic_stack 0
		.amdhsa_enable_private_segment 0
		.amdhsa_system_sgpr_workgroup_id_x 1
		.amdhsa_system_sgpr_workgroup_id_y 0
		.amdhsa_system_sgpr_workgroup_id_z 0
		.amdhsa_system_sgpr_workgroup_info 0
		.amdhsa_system_vgpr_workitem_id 0
		.amdhsa_next_free_vgpr 48
		.amdhsa_next_free_sgpr 14
		.amdhsa_reserve_vcc 1
		.amdhsa_float_round_mode_32 0
		.amdhsa_float_round_mode_16_64 0
		.amdhsa_float_denorm_mode_32 3
		.amdhsa_float_denorm_mode_16_64 3
		.amdhsa_fp16_overflow 0
		.amdhsa_workgroup_processor_mode 1
		.amdhsa_memory_ordered 1
		.amdhsa_forward_progress 1
		.amdhsa_inst_pref_size 22
		.amdhsa_round_robin_scheduling 0
		.amdhsa_exception_fp_ieee_invalid_op 0
		.amdhsa_exception_fp_denorm_src 0
		.amdhsa_exception_fp_ieee_div_zero 0
		.amdhsa_exception_fp_ieee_overflow 0
		.amdhsa_exception_fp_ieee_underflow 0
		.amdhsa_exception_fp_ieee_inexact 0
		.amdhsa_exception_int_div_zero 0
	.end_amdhsa_kernel
	.section	.text._ZN9rocsparseL18bsrxmvn_3x3_kernelILj256ELj16E21rocsparse_complex_numIfEliS2_S2_S2_EEvT3_20rocsparse_direction_NS_24const_host_device_scalarIT1_EES3_PKS3_PKT2_SC_S9_PKT4_PKT5_S7_PT6_21rocsparse_index_base_b,"axG",@progbits,_ZN9rocsparseL18bsrxmvn_3x3_kernelILj256ELj16E21rocsparse_complex_numIfEliS2_S2_S2_EEvT3_20rocsparse_direction_NS_24const_host_device_scalarIT1_EES3_PKS3_PKT2_SC_S9_PKT4_PKT5_S7_PT6_21rocsparse_index_base_b,comdat
.Lfunc_end32:
	.size	_ZN9rocsparseL18bsrxmvn_3x3_kernelILj256ELj16E21rocsparse_complex_numIfEliS2_S2_S2_EEvT3_20rocsparse_direction_NS_24const_host_device_scalarIT1_EES3_PKS3_PKT2_SC_S9_PKT4_PKT5_S7_PT6_21rocsparse_index_base_b, .Lfunc_end32-_ZN9rocsparseL18bsrxmvn_3x3_kernelILj256ELj16E21rocsparse_complex_numIfEliS2_S2_S2_EEvT3_20rocsparse_direction_NS_24const_host_device_scalarIT1_EES3_PKS3_PKT2_SC_S9_PKT4_PKT5_S7_PT6_21rocsparse_index_base_b
                                        ; -- End function
	.set _ZN9rocsparseL18bsrxmvn_3x3_kernelILj256ELj16E21rocsparse_complex_numIfEliS2_S2_S2_EEvT3_20rocsparse_direction_NS_24const_host_device_scalarIT1_EES3_PKS3_PKT2_SC_S9_PKT4_PKT5_S7_PT6_21rocsparse_index_base_b.num_vgpr, 48
	.set _ZN9rocsparseL18bsrxmvn_3x3_kernelILj256ELj16E21rocsparse_complex_numIfEliS2_S2_S2_EEvT3_20rocsparse_direction_NS_24const_host_device_scalarIT1_EES3_PKS3_PKT2_SC_S9_PKT4_PKT5_S7_PT6_21rocsparse_index_base_b.num_agpr, 0
	.set _ZN9rocsparseL18bsrxmvn_3x3_kernelILj256ELj16E21rocsparse_complex_numIfEliS2_S2_S2_EEvT3_20rocsparse_direction_NS_24const_host_device_scalarIT1_EES3_PKS3_PKT2_SC_S9_PKT4_PKT5_S7_PT6_21rocsparse_index_base_b.numbered_sgpr, 14
	.set _ZN9rocsparseL18bsrxmvn_3x3_kernelILj256ELj16E21rocsparse_complex_numIfEliS2_S2_S2_EEvT3_20rocsparse_direction_NS_24const_host_device_scalarIT1_EES3_PKS3_PKT2_SC_S9_PKT4_PKT5_S7_PT6_21rocsparse_index_base_b.num_named_barrier, 0
	.set _ZN9rocsparseL18bsrxmvn_3x3_kernelILj256ELj16E21rocsparse_complex_numIfEliS2_S2_S2_EEvT3_20rocsparse_direction_NS_24const_host_device_scalarIT1_EES3_PKS3_PKT2_SC_S9_PKT4_PKT5_S7_PT6_21rocsparse_index_base_b.private_seg_size, 0
	.set _ZN9rocsparseL18bsrxmvn_3x3_kernelILj256ELj16E21rocsparse_complex_numIfEliS2_S2_S2_EEvT3_20rocsparse_direction_NS_24const_host_device_scalarIT1_EES3_PKS3_PKT2_SC_S9_PKT4_PKT5_S7_PT6_21rocsparse_index_base_b.uses_vcc, 1
	.set _ZN9rocsparseL18bsrxmvn_3x3_kernelILj256ELj16E21rocsparse_complex_numIfEliS2_S2_S2_EEvT3_20rocsparse_direction_NS_24const_host_device_scalarIT1_EES3_PKS3_PKT2_SC_S9_PKT4_PKT5_S7_PT6_21rocsparse_index_base_b.uses_flat_scratch, 0
	.set _ZN9rocsparseL18bsrxmvn_3x3_kernelILj256ELj16E21rocsparse_complex_numIfEliS2_S2_S2_EEvT3_20rocsparse_direction_NS_24const_host_device_scalarIT1_EES3_PKS3_PKT2_SC_S9_PKT4_PKT5_S7_PT6_21rocsparse_index_base_b.has_dyn_sized_stack, 0
	.set _ZN9rocsparseL18bsrxmvn_3x3_kernelILj256ELj16E21rocsparse_complex_numIfEliS2_S2_S2_EEvT3_20rocsparse_direction_NS_24const_host_device_scalarIT1_EES3_PKS3_PKT2_SC_S9_PKT4_PKT5_S7_PT6_21rocsparse_index_base_b.has_recursion, 0
	.set _ZN9rocsparseL18bsrxmvn_3x3_kernelILj256ELj16E21rocsparse_complex_numIfEliS2_S2_S2_EEvT3_20rocsparse_direction_NS_24const_host_device_scalarIT1_EES3_PKS3_PKT2_SC_S9_PKT4_PKT5_S7_PT6_21rocsparse_index_base_b.has_indirect_call, 0
	.section	.AMDGPU.csdata,"",@progbits
; Kernel info:
; codeLenInByte = 2692
; TotalNumSgprs: 16
; NumVgprs: 48
; ScratchSize: 0
; MemoryBound: 0
; FloatMode: 240
; IeeeMode: 1
; LDSByteSize: 0 bytes/workgroup (compile time only)
; SGPRBlocks: 0
; VGPRBlocks: 5
; NumSGPRsForWavesPerEU: 16
; NumVGPRsForWavesPerEU: 48
; Occupancy: 16
; WaveLimiterHint : 1
; COMPUTE_PGM_RSRC2:SCRATCH_EN: 0
; COMPUTE_PGM_RSRC2:USER_SGPR: 2
; COMPUTE_PGM_RSRC2:TRAP_HANDLER: 0
; COMPUTE_PGM_RSRC2:TGID_X_EN: 1
; COMPUTE_PGM_RSRC2:TGID_Y_EN: 0
; COMPUTE_PGM_RSRC2:TGID_Z_EN: 0
; COMPUTE_PGM_RSRC2:TIDIG_COMP_CNT: 0
	.section	.text._ZN9rocsparseL18bsrxmvn_3x3_kernelILj256ELj32E21rocsparse_complex_numIfEliS2_S2_S2_EEvT3_20rocsparse_direction_NS_24const_host_device_scalarIT1_EES3_PKS3_PKT2_SC_S9_PKT4_PKT5_S7_PT6_21rocsparse_index_base_b,"axG",@progbits,_ZN9rocsparseL18bsrxmvn_3x3_kernelILj256ELj32E21rocsparse_complex_numIfEliS2_S2_S2_EEvT3_20rocsparse_direction_NS_24const_host_device_scalarIT1_EES3_PKS3_PKT2_SC_S9_PKT4_PKT5_S7_PT6_21rocsparse_index_base_b,comdat
	.globl	_ZN9rocsparseL18bsrxmvn_3x3_kernelILj256ELj32E21rocsparse_complex_numIfEliS2_S2_S2_EEvT3_20rocsparse_direction_NS_24const_host_device_scalarIT1_EES3_PKS3_PKT2_SC_S9_PKT4_PKT5_S7_PT6_21rocsparse_index_base_b ; -- Begin function _ZN9rocsparseL18bsrxmvn_3x3_kernelILj256ELj32E21rocsparse_complex_numIfEliS2_S2_S2_EEvT3_20rocsparse_direction_NS_24const_host_device_scalarIT1_EES3_PKS3_PKT2_SC_S9_PKT4_PKT5_S7_PT6_21rocsparse_index_base_b
	.p2align	8
	.type	_ZN9rocsparseL18bsrxmvn_3x3_kernelILj256ELj32E21rocsparse_complex_numIfEliS2_S2_S2_EEvT3_20rocsparse_direction_NS_24const_host_device_scalarIT1_EES3_PKS3_PKT2_SC_S9_PKT4_PKT5_S7_PT6_21rocsparse_index_base_b,@function
_ZN9rocsparseL18bsrxmvn_3x3_kernelILj256ELj32E21rocsparse_complex_numIfEliS2_S2_S2_EEvT3_20rocsparse_direction_NS_24const_host_device_scalarIT1_EES3_PKS3_PKT2_SC_S9_PKT4_PKT5_S7_PT6_21rocsparse_index_base_b: ; @_ZN9rocsparseL18bsrxmvn_3x3_kernelILj256ELj32E21rocsparse_complex_numIfEliS2_S2_S2_EEvT3_20rocsparse_direction_NS_24const_host_device_scalarIT1_EES3_PKS3_PKT2_SC_S9_PKT4_PKT5_S7_PT6_21rocsparse_index_base_b
; %bb.0:
	s_clause 0x2
	s_load_b64 s[12:13], s[0:1], 0x58
	s_load_b64 s[2:3], s[0:1], 0x8
	;; [unrolled: 1-line block ×3, first 2 shown]
	s_add_nc_u64 s[6:7], s[0:1], 8
	s_wait_kmcnt 0x0
	s_bitcmp1_b32 s13, 0
	s_cselect_b32 s2, s6, s2
	s_cselect_b32 s3, s7, s3
	s_delay_alu instid0(SALU_CYCLE_1)
	v_dual_mov_b32 v1, s2 :: v_dual_mov_b32 v2, s3
	s_add_nc_u64 s[2:3], s[0:1], 0x48
	s_wait_alu 0xfffe
	s_cselect_b32 s2, s2, s4
	s_cselect_b32 s3, s3, s5
	flat_load_b64 v[6:7], v[1:2]
	s_wait_alu 0xfffe
	v_dual_mov_b32 v1, s2 :: v_dual_mov_b32 v2, s3
	flat_load_b64 v[4:5], v[1:2]
	s_wait_loadcnt_dscnt 0x101
	v_cmp_eq_f32_e32 vcc_lo, 0, v6
	v_cmp_eq_f32_e64 s2, 0, v7
	s_and_b32 s4, vcc_lo, s2
	s_mov_b32 s2, -1
	s_and_saveexec_b32 s3, s4
	s_cbranch_execz .LBB33_2
; %bb.1:
	s_wait_loadcnt_dscnt 0x0
	v_cmp_neq_f32_e32 vcc_lo, 1.0, v4
	v_cmp_neq_f32_e64 s2, 0, v5
	s_wait_alu 0xfffe
	s_or_b32 s2, vcc_lo, s2
	s_wait_alu 0xfffe
	s_or_not1_b32 s2, s2, exec_lo
.LBB33_2:
	s_wait_alu 0xfffe
	s_or_b32 exec_lo, exec_lo, s3
	s_and_saveexec_b32 s3, s2
	s_cbranch_execz .LBB33_8
; %bb.3:
	s_clause 0x1
	s_load_b64 s[4:5], s[0:1], 0x18
	s_load_b64 s[2:3], s[0:1], 0x0
	v_lshrrev_b32_e32 v1, 5, v0
	s_delay_alu instid0(VALU_DEP_1)
	v_lshl_or_b32 v2, ttmp9, 3, v1
	s_wait_kmcnt 0x0
	s_cmp_lg_u64 s[4:5], 0
	s_cbranch_scc0 .LBB33_9
; %bb.4:
	s_load_b32 s6, s[0:1], 0x10
	s_mov_b32 s7, 0
                                        ; implicit-def: $vgpr1
	s_wait_kmcnt 0x0
	v_cmp_gt_i32_e32 vcc_lo, s6, v2
	s_mov_b32 s6, 0
	s_and_saveexec_b32 s8, vcc_lo
	s_delay_alu instid0(SALU_CYCLE_1)
	s_xor_b32 s8, exec_lo, s8
	s_cbranch_execz .LBB33_6
; %bb.5:
	v_ashrrev_i32_e32 v3, 31, v2
	s_mov_b32 s6, exec_lo
	s_delay_alu instid0(VALU_DEP_1) | instskip(NEXT) | instid1(VALU_DEP_1)
	v_lshlrev_b64_e32 v[8:9], 2, v[2:3]
	v_add_co_u32 v8, vcc_lo, s4, v8
	s_delay_alu instid0(VALU_DEP_1)
	v_add_co_ci_u32_e64 v9, null, s5, v9, vcc_lo
	global_load_b32 v1, v[8:9], off
	s_wait_loadcnt 0x0
	v_subrev_nc_u32_e32 v1, s12, v1
.LBB33_6:
	s_or_b32 exec_lo, exec_lo, s8
	s_delay_alu instid0(SALU_CYCLE_1)
	s_and_b32 vcc_lo, exec_lo, s7
	s_wait_alu 0xfffe
	s_cbranch_vccz .LBB33_10
.LBB33_7:
	v_cmp_gt_i32_e32 vcc_lo, s2, v2
	s_and_not1_b32 s2, s6, exec_lo
	s_and_b32 s4, vcc_lo, exec_lo
	s_wait_alu 0xfffe
	s_or_b32 s6, s2, s4
	s_wait_alu 0xfffe
	s_and_b32 exec_lo, exec_lo, s6
	s_cbranch_execnz .LBB33_11
.LBB33_8:
	s_endpgm
.LBB33_9:
	s_mov_b32 s6, 0
                                        ; implicit-def: $vgpr1
	s_cbranch_execnz .LBB33_7
.LBB33_10:
	v_mov_b32_e32 v2, v1
	s_and_b32 exec_lo, exec_lo, s6
	s_cbranch_execz .LBB33_8
.LBB33_11:
	s_load_b256 s[4:11], s[0:1], 0x20
	s_delay_alu instid0(VALU_DEP_1) | instskip(SKIP_1) | instid1(VALU_DEP_2)
	v_ashrrev_i32_e32 v3, 31, v2
	v_mov_b32_e32 v18, 0
	v_lshlrev_b64_e32 v[8:9], 3, v[2:3]
	s_wait_kmcnt 0x0
	s_delay_alu instid0(VALU_DEP_1) | instskip(SKIP_1) | instid1(VALU_DEP_2)
	v_add_co_u32 v10, vcc_lo, s4, v8
	s_wait_alu 0xfffd
	v_add_co_ci_u32_e64 v11, null, s5, v9, vcc_lo
	v_add_co_u32 v1, vcc_lo, s6, v8
	s_wait_alu 0xfffd
	v_add_co_ci_u32_e64 v3, null, s7, v9, vcc_lo
	global_load_b64 v[12:13], v[10:11], off
	v_add_co_u32 v8, vcc_lo, v10, 8
	s_wait_alu 0xfffd
	v_add_co_ci_u32_e64 v9, null, 0, v11, vcc_lo
	s_cmp_eq_u64 s[6:7], 0
	s_load_b64 s[4:5], s[0:1], 0x40
	s_cselect_b32 vcc_lo, -1, 0
	s_cmp_eq_u32 s3, 1
	s_wait_alu 0xfffe
	v_dual_cndmask_b32 v9, v3, v9 :: v_dual_cndmask_b32 v8, v1, v8
	v_and_b32_e32 v3, 31, v0
	global_load_b64 v[10:11], v[8:9], off
	s_wait_loadcnt 0x1
	v_sub_co_u32 v0, vcc_lo, v12, s12
	s_wait_alu 0xfffd
	v_subrev_co_ci_u32_e64 v1, null, 0, v13, vcc_lo
	s_delay_alu instid0(VALU_DEP_2) | instskip(SKIP_1) | instid1(VALU_DEP_2)
	v_add_co_u32 v0, vcc_lo, v0, v3
	s_wait_alu 0xfffd
	v_add_co_ci_u32_e64 v1, null, 0, v1, vcc_lo
	s_delay_alu instid0(VALU_DEP_2) | instskip(SKIP_1) | instid1(VALU_DEP_1)
	v_mad_co_u64_u32 v[8:9], null, 0x48, v0, s[10:11]
	s_wait_loadcnt 0x0
	v_mad_co_u64_u32 v[12:13], null, 0x48, v1, v[9:10]
	v_sub_co_u32 v10, vcc_lo, v10, s12
	s_wait_alu 0xfffd
	v_subrev_co_ci_u32_e64 v11, null, 0, v11, vcc_lo
	s_delay_alu instid0(VALU_DEP_3) | instskip(NEXT) | instid1(VALU_DEP_2)
	v_mov_b32_e32 v9, v12
	v_cmp_lt_i64_e64 s2, v[0:1], v[10:11]
	s_cbranch_scc1 .LBB33_17
; %bb.12:
	v_dual_mov_b32 v21, 0 :: v_dual_mov_b32 v22, 0
	v_dual_mov_b32 v19, 0 :: v_dual_mov_b32 v20, 0
	v_mov_b32_e32 v23, 0
	s_and_saveexec_b32 s3, s2
	s_cbranch_execz .LBB33_16
; %bb.13:
	v_lshlrev_b64_e32 v[14:15], 2, v[0:1]
	v_dual_mov_b32 v18, 0 :: v_dual_mov_b32 v13, v1
	v_dual_mov_b32 v12, v0 :: v_dual_mov_b32 v17, v9
	;; [unrolled: 1-line block ×3, first 2 shown]
	s_delay_alu instid0(VALU_DEP_4)
	v_add_co_u32 v14, vcc_lo, s8, v14
	s_wait_alu 0xfffd
	v_add_co_ci_u32_e64 v15, null, s9, v15, vcc_lo
	v_dual_mov_b32 v22, 0 :: v_dual_mov_b32 v19, 0
	v_dual_mov_b32 v23, 0 :: v_dual_mov_b32 v20, 0
	s_mov_b32 s6, 0
.LBB33_14:                              ; =>This Inner Loop Header: Depth=1
	global_load_b32 v36, v[14:15], off
	s_clause 0x2
	global_load_b128 v[24:27], v[16:17], off offset:48
	global_load_b128 v[28:31], v[16:17], off offset:16
	global_load_b128 v[32:35], v[16:17], off
	s_wait_loadcnt 0x3
	v_subrev_nc_u32_e32 v36, s12, v36
	s_delay_alu instid0(VALU_DEP_1) | instskip(NEXT) | instid1(VALU_DEP_1)
	v_lshl_add_u32 v36, v36, 1, v36
	v_ashrrev_i32_e32 v37, 31, v36
	s_delay_alu instid0(VALU_DEP_1) | instskip(SKIP_1) | instid1(VALU_DEP_1)
	v_lshlrev_b64_e32 v[36:37], 3, v[36:37]
	s_wait_kmcnt 0x0
	v_add_co_u32 v40, vcc_lo, s4, v36
	s_wait_alu 0xfffd
	s_delay_alu instid0(VALU_DEP_2)
	v_add_co_ci_u32_e64 v41, null, s5, v37, vcc_lo
	s_clause 0x1
	global_load_b128 v[36:39], v[40:41], off
	global_load_b64 v[44:45], v[40:41], off offset:16
	s_clause 0x1
	global_load_b128 v[40:43], v[16:17], off offset:32
	global_load_b64 v[46:47], v[16:17], off offset:64
	v_add_co_u32 v16, vcc_lo, 0x900, v16
	s_wait_alu 0xfffd
	v_add_co_ci_u32_e64 v17, null, 0, v17, vcc_lo
	v_add_co_u32 v12, vcc_lo, v12, 32
	s_wait_alu 0xfffd
	v_add_co_ci_u32_e64 v13, null, 0, v13, vcc_lo
	;; [unrolled: 3-line block ×3, first 2 shown]
	s_delay_alu instid0(VALU_DEP_3)
	v_cmp_ge_i64_e32 vcc_lo, v[12:13], v[10:11]
	s_wait_alu 0xfffe
	s_or_b32 s6, vcc_lo, s6
	s_wait_loadcnt 0x3
	v_fmac_f32_e32 v20, v31, v36
	v_fmac_f32_e32 v21, v32, v36
	;; [unrolled: 1-line block ×4, first 2 shown]
	s_delay_alu instid0(VALU_DEP_4) | instskip(NEXT) | instid1(VALU_DEP_4)
	v_fmac_f32_e32 v20, v30, v37
	v_fma_f32 v21, -v33, v37, v21
	s_delay_alu instid0(VALU_DEP_4) | instskip(NEXT) | instid1(VALU_DEP_4)
	v_fmac_f32_e32 v19, v24, v37
	v_dual_fmac_f32 v23, v30, v36 :: v_dual_fmac_f32 v18, v32, v37
	s_delay_alu instid0(VALU_DEP_3) | instskip(NEXT) | instid1(VALU_DEP_3)
	v_dual_fmac_f32 v22, v24, v36 :: v_dual_fmac_f32 v21, v34, v38
	v_fmac_f32_e32 v19, v27, v38
	s_delay_alu instid0(VALU_DEP_3) | instskip(NEXT) | instid1(VALU_DEP_4)
	v_fma_f32 v23, -v31, v37, v23
	v_fmac_f32_e32 v18, v35, v38
	s_delay_alu instid0(VALU_DEP_4) | instskip(SKIP_2) | instid1(VALU_DEP_3)
	v_fma_f32 v22, -v25, v37, v22
	s_wait_loadcnt 0x1
	v_dual_fmac_f32 v20, v41, v38 :: v_dual_fmac_f32 v19, v26, v39
	v_dual_fmac_f32 v23, v40, v38 :: v_dual_fmac_f32 v18, v34, v39
	v_fma_f32 v21, -v35, v39, v21
	s_wait_loadcnt 0x0
	s_delay_alu instid0(VALU_DEP_3) | instskip(NEXT) | instid1(VALU_DEP_3)
	v_dual_fmac_f32 v22, v26, v38 :: v_dual_fmac_f32 v19, v47, v44
	v_fma_f32 v23, -v41, v39, v23
	v_fmac_f32_e32 v20, v40, v39
	v_fmac_f32_e32 v21, v28, v44
	s_delay_alu instid0(VALU_DEP_4) | instskip(SKIP_3) | instid1(VALU_DEP_4)
	v_fma_f32 v22, -v27, v39, v22
	v_dual_fmac_f32 v18, v29, v44 :: v_dual_fmac_f32 v19, v46, v45
	v_fmac_f32_e32 v23, v42, v44
	v_fmac_f32_e32 v20, v43, v44
	;; [unrolled: 1-line block ×3, first 2 shown]
	v_fma_f32 v21, -v29, v45, v21
	v_fmac_f32_e32 v18, v28, v45
	v_fma_f32 v23, -v43, v45, v23
	v_fmac_f32_e32 v20, v42, v45
	v_fma_f32 v22, -v47, v45, v22
	s_wait_alu 0xfffe
	s_and_not1_b32 exec_lo, exec_lo, s6
	s_cbranch_execnz .LBB33_14
; %bb.15:
	s_or_b32 exec_lo, exec_lo, s6
.LBB33_16:
	s_wait_alu 0xfffe
	s_or_b32 exec_lo, exec_lo, s3
	s_cbranch_execz .LBB33_18
	s_branch .LBB33_23
.LBB33_17:
                                        ; implicit-def: $vgpr18
                                        ; implicit-def: $vgpr21
                                        ; implicit-def: $vgpr22
                                        ; implicit-def: $vgpr19
                                        ; implicit-def: $vgpr23
                                        ; implicit-def: $vgpr20
.LBB33_18:
	v_dual_mov_b32 v18, 0 :: v_dual_mov_b32 v21, 0
	v_dual_mov_b32 v22, 0 :: v_dual_mov_b32 v19, 0
	v_dual_mov_b32 v23, 0 :: v_dual_mov_b32 v20, 0
	s_and_saveexec_b32 s3, s2
	s_cbranch_execz .LBB33_22
; %bb.19:
	v_lshlrev_b64_e32 v[12:13], 2, v[0:1]
	v_dual_mov_b32 v18, 0 :: v_dual_mov_b32 v21, 0
	v_dual_mov_b32 v22, 0 :: v_dual_mov_b32 v19, 0
	;; [unrolled: 1-line block ×3, first 2 shown]
	s_delay_alu instid0(VALU_DEP_4)
	v_add_co_u32 v12, vcc_lo, s8, v12
	s_wait_alu 0xfffd
	v_add_co_ci_u32_e64 v13, null, s9, v13, vcc_lo
	s_mov_b32 s2, 0
.LBB33_20:                              ; =>This Inner Loop Header: Depth=1
	global_load_b32 v28, v[12:13], off
	s_clause 0x1
	global_load_b128 v[14:17], v[8:9], off offset:16
	global_load_b128 v[24:27], v[8:9], off
	s_wait_loadcnt 0x2
	v_subrev_nc_u32_e32 v28, s12, v28
	s_delay_alu instid0(VALU_DEP_1) | instskip(NEXT) | instid1(VALU_DEP_1)
	v_lshl_add_u32 v28, v28, 1, v28
	v_ashrrev_i32_e32 v29, 31, v28
	s_delay_alu instid0(VALU_DEP_1) | instskip(SKIP_1) | instid1(VALU_DEP_1)
	v_lshlrev_b64_e32 v[28:29], 3, v[28:29]
	s_wait_kmcnt 0x0
	v_add_co_u32 v32, vcc_lo, s4, v28
	s_wait_alu 0xfffd
	s_delay_alu instid0(VALU_DEP_2)
	v_add_co_ci_u32_e64 v33, null, s5, v29, vcc_lo
	s_clause 0x1
	global_load_b128 v[28:31], v[32:33], off
	global_load_b64 v[40:41], v[32:33], off offset:16
	s_clause 0x2
	global_load_b128 v[32:35], v[8:9], off offset:32
	global_load_b128 v[36:39], v[8:9], off offset:48
	global_load_b64 v[42:43], v[8:9], off offset:64
	v_add_co_u32 v8, vcc_lo, 0x900, v8
	s_wait_alu 0xfffd
	v_add_co_ci_u32_e64 v9, null, 0, v9, vcc_lo
	v_add_co_u32 v0, vcc_lo, v0, 32
	s_wait_alu 0xfffd
	v_add_co_ci_u32_e64 v1, null, 0, v1, vcc_lo
	;; [unrolled: 3-line block ×3, first 2 shown]
	s_delay_alu instid0(VALU_DEP_3)
	v_cmp_ge_i64_e32 vcc_lo, v[0:1], v[10:11]
	s_wait_alu 0xfffe
	s_or_b32 s2, vcc_lo, s2
	s_wait_loadcnt 0x4
	v_fmac_f32_e32 v19, v15, v28
	v_fmac_f32_e32 v18, v25, v28
	;; [unrolled: 1-line block ×4, first 2 shown]
	s_delay_alu instid0(VALU_DEP_4) | instskip(NEXT) | instid1(VALU_DEP_4)
	v_fmac_f32_e32 v19, v14, v29
	v_dual_fmac_f32 v23, v26, v28 :: v_dual_fmac_f32 v18, v24, v29
	s_delay_alu instid0(VALU_DEP_4) | instskip(NEXT) | instid1(VALU_DEP_4)
	v_fmac_f32_e32 v20, v26, v29
	v_fma_f32 v21, -v25, v29, v21
	s_wait_loadcnt 0x2
	v_fmac_f32_e32 v19, v35, v30
	v_fma_f32 v23, -v27, v29, v23
	v_fmac_f32_e32 v22, v14, v28
	v_fmac_f32_e32 v20, v33, v30
	;; [unrolled: 1-line block ×5, first 2 shown]
	v_fma_f32 v15, -v15, v29, v22
	v_fmac_f32_e32 v19, v34, v31
	v_fmac_f32_e32 v20, v32, v31
	v_fma_f32 v14, -v17, v31, v21
	s_delay_alu instid0(VALU_DEP_4)
	v_dual_fmac_f32 v18, v16, v31 :: v_dual_fmac_f32 v15, v34, v30
	v_fma_f32 v16, -v33, v31, v23
	s_wait_loadcnt 0x1
	v_fmac_f32_e32 v20, v39, v40
	s_wait_loadcnt 0x0
	v_fmac_f32_e32 v19, v43, v40
	v_fmac_f32_e32 v18, v37, v40
	v_fma_f32 v15, -v35, v31, v15
	v_fmac_f32_e32 v16, v38, v40
	v_fmac_f32_e32 v20, v38, v41
	v_dual_fmac_f32 v14, v36, v40 :: v_dual_fmac_f32 v19, v42, v41
	s_delay_alu instid0(VALU_DEP_4) | instskip(NEXT) | instid1(VALU_DEP_4)
	v_dual_fmac_f32 v15, v42, v40 :: v_dual_fmac_f32 v18, v36, v41
	v_fma_f32 v23, -v39, v41, v16
	s_delay_alu instid0(VALU_DEP_3) | instskip(NEXT) | instid1(VALU_DEP_3)
	v_fma_f32 v21, -v37, v41, v14
	v_fma_f32 v22, -v43, v41, v15
	s_wait_alu 0xfffe
	s_and_not1_b32 exec_lo, exec_lo, s2
	s_cbranch_execnz .LBB33_20
; %bb.21:
	s_or_b32 exec_lo, exec_lo, s2
.LBB33_22:
	s_wait_alu 0xfffe
	s_or_b32 exec_lo, exec_lo, s3
.LBB33_23:
	v_mbcnt_lo_u32_b32 v0, -1, 0
	s_delay_alu instid0(VALU_DEP_1) | instskip(SKIP_1) | instid1(VALU_DEP_2)
	v_xor_b32_e32 v1, 16, v0
	v_xor_b32_e32 v13, 8, v0
	v_cmp_gt_i32_e32 vcc_lo, 32, v1
	s_wait_alu 0xfffd
	v_cndmask_b32_e32 v1, v0, v1, vcc_lo
	s_delay_alu instid0(VALU_DEP_3) | instskip(NEXT) | instid1(VALU_DEP_2)
	v_cmp_gt_i32_e32 vcc_lo, 32, v13
	v_lshlrev_b32_e32 v1, 2, v1
	ds_bpermute_b32 v10, v1, v23
	s_wait_dscnt 0x0
	v_add_f32_e32 v10, v23, v10
	ds_bpermute_b32 v8, v1, v21
	ds_bpermute_b32 v12, v1, v22
	s_wait_alu 0xfffd
	v_cndmask_b32_e32 v13, v0, v13, vcc_lo
	ds_bpermute_b32 v9, v1, v18
	ds_bpermute_b32 v11, v1, v20
	;; [unrolled: 1-line block ×3, first 2 shown]
	s_wait_dscnt 0x4
	v_add_f32_e32 v8, v21, v8
	s_wait_dscnt 0x3
	v_dual_add_f32 v12, v22, v12 :: v_dual_lshlrev_b32 v13, 2, v13
	s_wait_dscnt 0x2
	v_add_f32_e32 v9, v18, v9
	ds_bpermute_b32 v14, v13, v8
	s_wait_dscnt 0x0
	v_add_f32_e32 v8, v8, v14
	ds_bpermute_b32 v16, v13, v10
	ds_bpermute_b32 v18, v13, v12
	s_wait_dscnt 0x1
	v_dual_add_f32 v11, v20, v11 :: v_dual_add_f32 v10, v10, v16
	v_add_f32_e32 v1, v19, v1
	v_xor_b32_e32 v19, 4, v0
	s_wait_dscnt 0x0
	v_add_f32_e32 v12, v12, v18
	ds_bpermute_b32 v15, v13, v9
	ds_bpermute_b32 v17, v13, v11
	v_cmp_gt_i32_e32 vcc_lo, 32, v19
	s_wait_alu 0xfffd
	v_cndmask_b32_e32 v19, v0, v19, vcc_lo
	s_delay_alu instid0(VALU_DEP_1)
	v_lshlrev_b32_e32 v19, 2, v19
	s_wait_dscnt 0x1
	v_add_f32_e32 v9, v9, v15
	ds_bpermute_b32 v15, v19, v10
	s_wait_dscnt 0x0
	v_dual_add_f32 v11, v11, v17 :: v_dual_add_f32 v10, v10, v15
	ds_bpermute_b32 v13, v13, v1
	s_wait_dscnt 0x0
	v_add_f32_e32 v1, v1, v13
	ds_bpermute_b32 v13, v19, v8
	s_wait_dscnt 0x0
	v_add_f32_e32 v8, v8, v13
	ds_bpermute_b32 v17, v19, v12
	ds_bpermute_b32 v16, v19, v11
	;; [unrolled: 1-line block ×3, first 2 shown]
	s_wait_dscnt 0x2
	v_add_f32_e32 v12, v12, v17
	ds_bpermute_b32 v14, v19, v9
	v_xor_b32_e32 v19, 2, v0
	s_wait_dscnt 0x2
	v_add_f32_e32 v11, v11, v16
	s_wait_dscnt 0x1
	v_add_f32_e32 v13, v1, v18
	v_cmp_gt_i32_e32 vcc_lo, 32, v19
	s_wait_alu 0xfffd
	v_cndmask_b32_e32 v19, v0, v19, vcc_lo
	s_delay_alu instid0(VALU_DEP_1)
	v_lshlrev_b32_e32 v19, 2, v19
	ds_bpermute_b32 v17, v19, v12
	s_wait_dscnt 0x1
	v_add_f32_e32 v9, v9, v14
	ds_bpermute_b32 v1, v19, v8
	ds_bpermute_b32 v15, v19, v10
	;; [unrolled: 1-line block ×5, first 2 shown]
	v_xor_b32_e32 v19, 1, v0
	s_delay_alu instid0(VALU_DEP_1) | instskip(SKIP_4) | instid1(VALU_DEP_2)
	v_cmp_gt_i32_e32 vcc_lo, 32, v19
	s_wait_alu 0xfffd
	v_cndmask_b32_e32 v0, v0, v19, vcc_lo
	v_cmp_eq_u32_e32 vcc_lo, 31, v3
	s_wait_dscnt 0x4
	v_dual_add_f32 v0, v8, v1 :: v_dual_lshlrev_b32 v19, 2, v0
	s_wait_dscnt 0x3
	v_add_f32_e32 v8, v10, v15
	s_wait_dscnt 0x0
	v_dual_add_f32 v10, v12, v17 :: v_dual_add_f32 v1, v9, v14
	v_add_f32_e32 v9, v11, v16
	v_add_f32_e32 v11, v13, v18
	ds_bpermute_b32 v12, v19, v0
	ds_bpermute_b32 v14, v19, v8
	;; [unrolled: 1-line block ×6, first 2 shown]
	s_and_b32 exec_lo, exec_lo, vcc_lo
	s_cbranch_execz .LBB33_8
; %bb.24:
	s_wait_dscnt 0x3
	v_dual_add_f32 v12, v0, v12 :: v_dual_add_f32 v1, v1, v13
	s_load_b64 s[2:3], s[0:1], 0x50
	s_wait_dscnt 0x1
	v_dual_add_f32 v13, v8, v14 :: v_dual_add_f32 v14, v10, v16
	v_lshl_add_u32 v10, v2, 1, v2
	v_mul_f32_e64 v0, v1, -v7
	v_add_f32_e32 v3, v9, v15
	s_wait_dscnt 0x0
	v_add_f32_e32 v9, v11, v17
	v_mul_f32_e32 v1, v6, v1
	v_cmp_eq_f32_e32 vcc_lo, 0, v4
	v_fmac_f32_e32 v0, v6, v12
	v_mul_f32_e64 v2, v3, -v7
	v_mul_f32_e64 v8, v9, -v7
	v_mul_f32_e32 v3, v6, v3
	v_cmp_eq_f32_e64 s0, 0, v5
	s_delay_alu instid0(VALU_DEP_4) | instskip(NEXT) | instid1(VALU_DEP_4)
	v_dual_fmac_f32 v1, v7, v12 :: v_dual_fmac_f32 v2, v6, v13
	v_fmac_f32_e32 v8, v6, v14
	v_mul_f32_e32 v9, v6, v9
	v_ashrrev_i32_e32 v11, 31, v10
	v_fmac_f32_e32 v3, v7, v13
	s_and_b32 s0, vcc_lo, s0
	s_delay_alu instid0(VALU_DEP_3)
	v_fmac_f32_e32 v9, v7, v14
	s_wait_alu 0xfffe
	s_and_saveexec_b32 s1, s0
	s_wait_alu 0xfffe
	s_xor_b32 s0, exec_lo, s1
	s_cbranch_execz .LBB33_26
; %bb.25:
	v_lshlrev_b64_e32 v[4:5], 3, v[10:11]
                                        ; implicit-def: $vgpr10
	s_wait_kmcnt 0x0
	s_delay_alu instid0(VALU_DEP_1) | instskip(SKIP_1) | instid1(VALU_DEP_2)
	v_add_co_u32 v4, vcc_lo, s2, v4
	s_wait_alu 0xfffd
	v_add_co_ci_u32_e64 v5, null, s3, v5, vcc_lo
	s_clause 0x1
	global_store_b128 v[4:5], v[0:3], off
	global_store_b64 v[4:5], v[8:9], off offset:16
                                        ; implicit-def: $vgpr4_vgpr5
                                        ; implicit-def: $vgpr0
                                        ; implicit-def: $vgpr8
.LBB33_26:
	s_wait_alu 0xfffe
	s_and_not1_saveexec_b32 s0, s0
	s_cbranch_execz .LBB33_8
; %bb.27:
	v_lshlrev_b64_e32 v[6:7], 3, v[10:11]
	s_wait_kmcnt 0x0
	s_delay_alu instid0(VALU_DEP_1) | instskip(SKIP_1) | instid1(VALU_DEP_2)
	v_add_co_u32 v6, vcc_lo, s2, v6
	s_wait_alu 0xfffd
	v_add_co_ci_u32_e64 v7, null, s3, v7, vcc_lo
	s_clause 0x1
	global_load_b128 v[10:13], v[6:7], off
	global_load_b64 v[14:15], v[6:7], off offset:16
	s_wait_loadcnt 0x1
	v_dual_fmac_f32 v0, v4, v10 :: v_dual_fmac_f32 v3, v5, v12
	v_dual_fmac_f32 v1, v5, v10 :: v_dual_fmac_f32 v2, v4, v12
	s_wait_loadcnt 0x0
	v_fmac_f32_e32 v8, v4, v14
	v_fmac_f32_e32 v9, v5, v14
	v_fma_f32 v0, -v5, v11, v0
	v_fmac_f32_e32 v1, v4, v11
	v_fma_f32 v2, -v5, v13, v2
	;; [unrolled: 2-line block ×3, first 2 shown]
	v_fmac_f32_e32 v9, v4, v15
	s_clause 0x1
	global_store_b128 v[6:7], v[0:3], off
	global_store_b64 v[6:7], v[8:9], off offset:16
	s_endpgm
	.section	.rodata,"a",@progbits
	.p2align	6, 0x0
	.amdhsa_kernel _ZN9rocsparseL18bsrxmvn_3x3_kernelILj256ELj32E21rocsparse_complex_numIfEliS2_S2_S2_EEvT3_20rocsparse_direction_NS_24const_host_device_scalarIT1_EES3_PKS3_PKT2_SC_S9_PKT4_PKT5_S7_PT6_21rocsparse_index_base_b
		.amdhsa_group_segment_fixed_size 0
		.amdhsa_private_segment_fixed_size 0
		.amdhsa_kernarg_size 96
		.amdhsa_user_sgpr_count 2
		.amdhsa_user_sgpr_dispatch_ptr 0
		.amdhsa_user_sgpr_queue_ptr 0
		.amdhsa_user_sgpr_kernarg_segment_ptr 1
		.amdhsa_user_sgpr_dispatch_id 0
		.amdhsa_user_sgpr_private_segment_size 0
		.amdhsa_wavefront_size32 1
		.amdhsa_uses_dynamic_stack 0
		.amdhsa_enable_private_segment 0
		.amdhsa_system_sgpr_workgroup_id_x 1
		.amdhsa_system_sgpr_workgroup_id_y 0
		.amdhsa_system_sgpr_workgroup_id_z 0
		.amdhsa_system_sgpr_workgroup_info 0
		.amdhsa_system_vgpr_workitem_id 0
		.amdhsa_next_free_vgpr 48
		.amdhsa_next_free_sgpr 14
		.amdhsa_reserve_vcc 1
		.amdhsa_float_round_mode_32 0
		.amdhsa_float_round_mode_16_64 0
		.amdhsa_float_denorm_mode_32 3
		.amdhsa_float_denorm_mode_16_64 3
		.amdhsa_fp16_overflow 0
		.amdhsa_workgroup_processor_mode 1
		.amdhsa_memory_ordered 1
		.amdhsa_forward_progress 1
		.amdhsa_inst_pref_size 22
		.amdhsa_round_robin_scheduling 0
		.amdhsa_exception_fp_ieee_invalid_op 0
		.amdhsa_exception_fp_denorm_src 0
		.amdhsa_exception_fp_ieee_div_zero 0
		.amdhsa_exception_fp_ieee_overflow 0
		.amdhsa_exception_fp_ieee_underflow 0
		.amdhsa_exception_fp_ieee_inexact 0
		.amdhsa_exception_int_div_zero 0
	.end_amdhsa_kernel
	.section	.text._ZN9rocsparseL18bsrxmvn_3x3_kernelILj256ELj32E21rocsparse_complex_numIfEliS2_S2_S2_EEvT3_20rocsparse_direction_NS_24const_host_device_scalarIT1_EES3_PKS3_PKT2_SC_S9_PKT4_PKT5_S7_PT6_21rocsparse_index_base_b,"axG",@progbits,_ZN9rocsparseL18bsrxmvn_3x3_kernelILj256ELj32E21rocsparse_complex_numIfEliS2_S2_S2_EEvT3_20rocsparse_direction_NS_24const_host_device_scalarIT1_EES3_PKS3_PKT2_SC_S9_PKT4_PKT5_S7_PT6_21rocsparse_index_base_b,comdat
.Lfunc_end33:
	.size	_ZN9rocsparseL18bsrxmvn_3x3_kernelILj256ELj32E21rocsparse_complex_numIfEliS2_S2_S2_EEvT3_20rocsparse_direction_NS_24const_host_device_scalarIT1_EES3_PKS3_PKT2_SC_S9_PKT4_PKT5_S7_PT6_21rocsparse_index_base_b, .Lfunc_end33-_ZN9rocsparseL18bsrxmvn_3x3_kernelILj256ELj32E21rocsparse_complex_numIfEliS2_S2_S2_EEvT3_20rocsparse_direction_NS_24const_host_device_scalarIT1_EES3_PKS3_PKT2_SC_S9_PKT4_PKT5_S7_PT6_21rocsparse_index_base_b
                                        ; -- End function
	.set _ZN9rocsparseL18bsrxmvn_3x3_kernelILj256ELj32E21rocsparse_complex_numIfEliS2_S2_S2_EEvT3_20rocsparse_direction_NS_24const_host_device_scalarIT1_EES3_PKS3_PKT2_SC_S9_PKT4_PKT5_S7_PT6_21rocsparse_index_base_b.num_vgpr, 48
	.set _ZN9rocsparseL18bsrxmvn_3x3_kernelILj256ELj32E21rocsparse_complex_numIfEliS2_S2_S2_EEvT3_20rocsparse_direction_NS_24const_host_device_scalarIT1_EES3_PKS3_PKT2_SC_S9_PKT4_PKT5_S7_PT6_21rocsparse_index_base_b.num_agpr, 0
	.set _ZN9rocsparseL18bsrxmvn_3x3_kernelILj256ELj32E21rocsparse_complex_numIfEliS2_S2_S2_EEvT3_20rocsparse_direction_NS_24const_host_device_scalarIT1_EES3_PKS3_PKT2_SC_S9_PKT4_PKT5_S7_PT6_21rocsparse_index_base_b.numbered_sgpr, 14
	.set _ZN9rocsparseL18bsrxmvn_3x3_kernelILj256ELj32E21rocsparse_complex_numIfEliS2_S2_S2_EEvT3_20rocsparse_direction_NS_24const_host_device_scalarIT1_EES3_PKS3_PKT2_SC_S9_PKT4_PKT5_S7_PT6_21rocsparse_index_base_b.num_named_barrier, 0
	.set _ZN9rocsparseL18bsrxmvn_3x3_kernelILj256ELj32E21rocsparse_complex_numIfEliS2_S2_S2_EEvT3_20rocsparse_direction_NS_24const_host_device_scalarIT1_EES3_PKS3_PKT2_SC_S9_PKT4_PKT5_S7_PT6_21rocsparse_index_base_b.private_seg_size, 0
	.set _ZN9rocsparseL18bsrxmvn_3x3_kernelILj256ELj32E21rocsparse_complex_numIfEliS2_S2_S2_EEvT3_20rocsparse_direction_NS_24const_host_device_scalarIT1_EES3_PKS3_PKT2_SC_S9_PKT4_PKT5_S7_PT6_21rocsparse_index_base_b.uses_vcc, 1
	.set _ZN9rocsparseL18bsrxmvn_3x3_kernelILj256ELj32E21rocsparse_complex_numIfEliS2_S2_S2_EEvT3_20rocsparse_direction_NS_24const_host_device_scalarIT1_EES3_PKS3_PKT2_SC_S9_PKT4_PKT5_S7_PT6_21rocsparse_index_base_b.uses_flat_scratch, 0
	.set _ZN9rocsparseL18bsrxmvn_3x3_kernelILj256ELj32E21rocsparse_complex_numIfEliS2_S2_S2_EEvT3_20rocsparse_direction_NS_24const_host_device_scalarIT1_EES3_PKS3_PKT2_SC_S9_PKT4_PKT5_S7_PT6_21rocsparse_index_base_b.has_dyn_sized_stack, 0
	.set _ZN9rocsparseL18bsrxmvn_3x3_kernelILj256ELj32E21rocsparse_complex_numIfEliS2_S2_S2_EEvT3_20rocsparse_direction_NS_24const_host_device_scalarIT1_EES3_PKS3_PKT2_SC_S9_PKT4_PKT5_S7_PT6_21rocsparse_index_base_b.has_recursion, 0
	.set _ZN9rocsparseL18bsrxmvn_3x3_kernelILj256ELj32E21rocsparse_complex_numIfEliS2_S2_S2_EEvT3_20rocsparse_direction_NS_24const_host_device_scalarIT1_EES3_PKS3_PKT2_SC_S9_PKT4_PKT5_S7_PT6_21rocsparse_index_base_b.has_indirect_call, 0
	.section	.AMDGPU.csdata,"",@progbits
; Kernel info:
; codeLenInByte = 2812
; TotalNumSgprs: 16
; NumVgprs: 48
; ScratchSize: 0
; MemoryBound: 0
; FloatMode: 240
; IeeeMode: 1
; LDSByteSize: 0 bytes/workgroup (compile time only)
; SGPRBlocks: 0
; VGPRBlocks: 5
; NumSGPRsForWavesPerEU: 16
; NumVGPRsForWavesPerEU: 48
; Occupancy: 16
; WaveLimiterHint : 1
; COMPUTE_PGM_RSRC2:SCRATCH_EN: 0
; COMPUTE_PGM_RSRC2:USER_SGPR: 2
; COMPUTE_PGM_RSRC2:TRAP_HANDLER: 0
; COMPUTE_PGM_RSRC2:TGID_X_EN: 1
; COMPUTE_PGM_RSRC2:TGID_Y_EN: 0
; COMPUTE_PGM_RSRC2:TGID_Z_EN: 0
; COMPUTE_PGM_RSRC2:TIDIG_COMP_CNT: 0
	.section	.text._ZN9rocsparseL18bsrxmvn_3x3_kernelILj256ELj64E21rocsparse_complex_numIfEliS2_S2_S2_EEvT3_20rocsparse_direction_NS_24const_host_device_scalarIT1_EES3_PKS3_PKT2_SC_S9_PKT4_PKT5_S7_PT6_21rocsparse_index_base_b,"axG",@progbits,_ZN9rocsparseL18bsrxmvn_3x3_kernelILj256ELj64E21rocsparse_complex_numIfEliS2_S2_S2_EEvT3_20rocsparse_direction_NS_24const_host_device_scalarIT1_EES3_PKS3_PKT2_SC_S9_PKT4_PKT5_S7_PT6_21rocsparse_index_base_b,comdat
	.globl	_ZN9rocsparseL18bsrxmvn_3x3_kernelILj256ELj64E21rocsparse_complex_numIfEliS2_S2_S2_EEvT3_20rocsparse_direction_NS_24const_host_device_scalarIT1_EES3_PKS3_PKT2_SC_S9_PKT4_PKT5_S7_PT6_21rocsparse_index_base_b ; -- Begin function _ZN9rocsparseL18bsrxmvn_3x3_kernelILj256ELj64E21rocsparse_complex_numIfEliS2_S2_S2_EEvT3_20rocsparse_direction_NS_24const_host_device_scalarIT1_EES3_PKS3_PKT2_SC_S9_PKT4_PKT5_S7_PT6_21rocsparse_index_base_b
	.p2align	8
	.type	_ZN9rocsparseL18bsrxmvn_3x3_kernelILj256ELj64E21rocsparse_complex_numIfEliS2_S2_S2_EEvT3_20rocsparse_direction_NS_24const_host_device_scalarIT1_EES3_PKS3_PKT2_SC_S9_PKT4_PKT5_S7_PT6_21rocsparse_index_base_b,@function
_ZN9rocsparseL18bsrxmvn_3x3_kernelILj256ELj64E21rocsparse_complex_numIfEliS2_S2_S2_EEvT3_20rocsparse_direction_NS_24const_host_device_scalarIT1_EES3_PKS3_PKT2_SC_S9_PKT4_PKT5_S7_PT6_21rocsparse_index_base_b: ; @_ZN9rocsparseL18bsrxmvn_3x3_kernelILj256ELj64E21rocsparse_complex_numIfEliS2_S2_S2_EEvT3_20rocsparse_direction_NS_24const_host_device_scalarIT1_EES3_PKS3_PKT2_SC_S9_PKT4_PKT5_S7_PT6_21rocsparse_index_base_b
; %bb.0:
	s_clause 0x2
	s_load_b64 s[12:13], s[0:1], 0x58
	s_load_b64 s[2:3], s[0:1], 0x8
	;; [unrolled: 1-line block ×3, first 2 shown]
	s_add_nc_u64 s[6:7], s[0:1], 8
	s_wait_kmcnt 0x0
	s_bitcmp1_b32 s13, 0
	s_cselect_b32 s2, s6, s2
	s_cselect_b32 s3, s7, s3
	s_delay_alu instid0(SALU_CYCLE_1)
	v_dual_mov_b32 v1, s2 :: v_dual_mov_b32 v2, s3
	s_add_nc_u64 s[2:3], s[0:1], 0x48
	s_wait_alu 0xfffe
	s_cselect_b32 s2, s2, s4
	s_cselect_b32 s3, s3, s5
	flat_load_b64 v[6:7], v[1:2]
	s_wait_alu 0xfffe
	v_dual_mov_b32 v1, s2 :: v_dual_mov_b32 v2, s3
	flat_load_b64 v[4:5], v[1:2]
	s_wait_loadcnt_dscnt 0x101
	v_cmp_eq_f32_e32 vcc_lo, 0, v6
	v_cmp_eq_f32_e64 s2, 0, v7
	s_and_b32 s4, vcc_lo, s2
	s_mov_b32 s2, -1
	s_and_saveexec_b32 s3, s4
	s_cbranch_execz .LBB34_2
; %bb.1:
	s_wait_loadcnt_dscnt 0x0
	v_cmp_neq_f32_e32 vcc_lo, 1.0, v4
	v_cmp_neq_f32_e64 s2, 0, v5
	s_wait_alu 0xfffe
	s_or_b32 s2, vcc_lo, s2
	s_wait_alu 0xfffe
	s_or_not1_b32 s2, s2, exec_lo
.LBB34_2:
	s_wait_alu 0xfffe
	s_or_b32 exec_lo, exec_lo, s3
	s_and_saveexec_b32 s3, s2
	s_cbranch_execz .LBB34_8
; %bb.3:
	s_clause 0x1
	s_load_b64 s[4:5], s[0:1], 0x18
	s_load_b64 s[2:3], s[0:1], 0x0
	v_lshrrev_b32_e32 v1, 6, v0
	s_delay_alu instid0(VALU_DEP_1)
	v_lshl_or_b32 v2, ttmp9, 2, v1
	s_wait_kmcnt 0x0
	s_cmp_lg_u64 s[4:5], 0
	s_cbranch_scc0 .LBB34_9
; %bb.4:
	s_load_b32 s6, s[0:1], 0x10
	s_mov_b32 s7, 0
                                        ; implicit-def: $vgpr1
	s_wait_kmcnt 0x0
	v_cmp_gt_i32_e32 vcc_lo, s6, v2
	s_mov_b32 s6, 0
	s_and_saveexec_b32 s8, vcc_lo
	s_delay_alu instid0(SALU_CYCLE_1)
	s_xor_b32 s8, exec_lo, s8
	s_cbranch_execz .LBB34_6
; %bb.5:
	v_ashrrev_i32_e32 v3, 31, v2
	s_mov_b32 s6, exec_lo
	s_delay_alu instid0(VALU_DEP_1) | instskip(NEXT) | instid1(VALU_DEP_1)
	v_lshlrev_b64_e32 v[8:9], 2, v[2:3]
	v_add_co_u32 v8, vcc_lo, s4, v8
	s_delay_alu instid0(VALU_DEP_1)
	v_add_co_ci_u32_e64 v9, null, s5, v9, vcc_lo
	global_load_b32 v1, v[8:9], off
	s_wait_loadcnt 0x0
	v_subrev_nc_u32_e32 v1, s12, v1
.LBB34_6:
	s_or_b32 exec_lo, exec_lo, s8
	s_delay_alu instid0(SALU_CYCLE_1)
	s_and_b32 vcc_lo, exec_lo, s7
	s_wait_alu 0xfffe
	s_cbranch_vccz .LBB34_10
.LBB34_7:
	v_cmp_gt_i32_e32 vcc_lo, s2, v2
	s_and_not1_b32 s2, s6, exec_lo
	s_and_b32 s4, vcc_lo, exec_lo
	s_wait_alu 0xfffe
	s_or_b32 s6, s2, s4
	s_wait_alu 0xfffe
	s_and_b32 exec_lo, exec_lo, s6
	s_cbranch_execnz .LBB34_11
.LBB34_8:
	s_endpgm
.LBB34_9:
	s_mov_b32 s6, 0
                                        ; implicit-def: $vgpr1
	s_cbranch_execnz .LBB34_7
.LBB34_10:
	v_mov_b32_e32 v2, v1
	s_and_b32 exec_lo, exec_lo, s6
	s_cbranch_execz .LBB34_8
.LBB34_11:
	s_load_b256 s[4:11], s[0:1], 0x20
	s_delay_alu instid0(VALU_DEP_1) | instskip(SKIP_1) | instid1(VALU_DEP_2)
	v_ashrrev_i32_e32 v3, 31, v2
	v_mov_b32_e32 v18, 0
	v_lshlrev_b64_e32 v[8:9], 3, v[2:3]
	s_wait_kmcnt 0x0
	s_delay_alu instid0(VALU_DEP_1) | instskip(SKIP_1) | instid1(VALU_DEP_2)
	v_add_co_u32 v10, vcc_lo, s4, v8
	s_wait_alu 0xfffd
	v_add_co_ci_u32_e64 v11, null, s5, v9, vcc_lo
	v_add_co_u32 v1, vcc_lo, s6, v8
	s_wait_alu 0xfffd
	v_add_co_ci_u32_e64 v3, null, s7, v9, vcc_lo
	global_load_b64 v[12:13], v[10:11], off
	v_add_co_u32 v8, vcc_lo, v10, 8
	s_wait_alu 0xfffd
	v_add_co_ci_u32_e64 v9, null, 0, v11, vcc_lo
	s_cmp_eq_u64 s[6:7], 0
	s_load_b64 s[4:5], s[0:1], 0x40
	s_cselect_b32 vcc_lo, -1, 0
	s_cmp_eq_u32 s3, 1
	s_wait_alu 0xfffe
	v_dual_cndmask_b32 v9, v3, v9 :: v_dual_cndmask_b32 v8, v1, v8
	v_and_b32_e32 v3, 63, v0
	global_load_b64 v[10:11], v[8:9], off
	s_wait_loadcnt 0x1
	v_sub_co_u32 v0, vcc_lo, v12, s12
	s_wait_alu 0xfffd
	v_subrev_co_ci_u32_e64 v1, null, 0, v13, vcc_lo
	s_delay_alu instid0(VALU_DEP_2) | instskip(SKIP_1) | instid1(VALU_DEP_2)
	v_add_co_u32 v0, vcc_lo, v0, v3
	s_wait_alu 0xfffd
	v_add_co_ci_u32_e64 v1, null, 0, v1, vcc_lo
	s_delay_alu instid0(VALU_DEP_2) | instskip(SKIP_1) | instid1(VALU_DEP_1)
	v_mad_co_u64_u32 v[8:9], null, 0x48, v0, s[10:11]
	s_wait_loadcnt 0x0
	v_mad_co_u64_u32 v[12:13], null, 0x48, v1, v[9:10]
	v_sub_co_u32 v10, vcc_lo, v10, s12
	s_wait_alu 0xfffd
	v_subrev_co_ci_u32_e64 v11, null, 0, v11, vcc_lo
	s_delay_alu instid0(VALU_DEP_3) | instskip(NEXT) | instid1(VALU_DEP_2)
	v_mov_b32_e32 v9, v12
	v_cmp_lt_i64_e64 s2, v[0:1], v[10:11]
	s_cbranch_scc1 .LBB34_17
; %bb.12:
	v_dual_mov_b32 v21, 0 :: v_dual_mov_b32 v22, 0
	v_dual_mov_b32 v19, 0 :: v_dual_mov_b32 v20, 0
	v_mov_b32_e32 v23, 0
	s_and_saveexec_b32 s3, s2
	s_cbranch_execz .LBB34_16
; %bb.13:
	v_lshlrev_b64_e32 v[14:15], 2, v[0:1]
	v_dual_mov_b32 v18, 0 :: v_dual_mov_b32 v13, v1
	v_dual_mov_b32 v12, v0 :: v_dual_mov_b32 v17, v9
	;; [unrolled: 1-line block ×3, first 2 shown]
	s_delay_alu instid0(VALU_DEP_4)
	v_add_co_u32 v14, vcc_lo, s8, v14
	s_wait_alu 0xfffd
	v_add_co_ci_u32_e64 v15, null, s9, v15, vcc_lo
	v_dual_mov_b32 v22, 0 :: v_dual_mov_b32 v19, 0
	v_dual_mov_b32 v23, 0 :: v_dual_mov_b32 v20, 0
	s_mov_b32 s6, 0
.LBB34_14:                              ; =>This Inner Loop Header: Depth=1
	global_load_b32 v36, v[14:15], off
	s_clause 0x2
	global_load_b128 v[24:27], v[16:17], off offset:48
	global_load_b128 v[28:31], v[16:17], off offset:16
	global_load_b128 v[32:35], v[16:17], off
	s_wait_loadcnt 0x3
	v_subrev_nc_u32_e32 v36, s12, v36
	s_delay_alu instid0(VALU_DEP_1) | instskip(NEXT) | instid1(VALU_DEP_1)
	v_lshl_add_u32 v36, v36, 1, v36
	v_ashrrev_i32_e32 v37, 31, v36
	s_delay_alu instid0(VALU_DEP_1) | instskip(SKIP_1) | instid1(VALU_DEP_1)
	v_lshlrev_b64_e32 v[36:37], 3, v[36:37]
	s_wait_kmcnt 0x0
	v_add_co_u32 v40, vcc_lo, s4, v36
	s_wait_alu 0xfffd
	s_delay_alu instid0(VALU_DEP_2)
	v_add_co_ci_u32_e64 v41, null, s5, v37, vcc_lo
	s_clause 0x1
	global_load_b128 v[36:39], v[40:41], off
	global_load_b64 v[44:45], v[40:41], off offset:16
	s_clause 0x1
	global_load_b128 v[40:43], v[16:17], off offset:32
	global_load_b64 v[46:47], v[16:17], off offset:64
	v_add_co_u32 v16, vcc_lo, 0x1200, v16
	s_wait_alu 0xfffd
	v_add_co_ci_u32_e64 v17, null, 0, v17, vcc_lo
	v_add_co_u32 v12, vcc_lo, v12, 64
	s_wait_alu 0xfffd
	v_add_co_ci_u32_e64 v13, null, 0, v13, vcc_lo
	;; [unrolled: 3-line block ×3, first 2 shown]
	s_delay_alu instid0(VALU_DEP_3)
	v_cmp_ge_i64_e32 vcc_lo, v[12:13], v[10:11]
	s_wait_alu 0xfffe
	s_or_b32 s6, vcc_lo, s6
	s_wait_loadcnt 0x3
	v_fmac_f32_e32 v20, v31, v36
	v_fmac_f32_e32 v21, v32, v36
	v_fmac_f32_e32 v19, v25, v36
	v_fmac_f32_e32 v18, v33, v36
	s_delay_alu instid0(VALU_DEP_4) | instskip(NEXT) | instid1(VALU_DEP_4)
	v_fmac_f32_e32 v20, v30, v37
	v_fma_f32 v21, -v33, v37, v21
	s_delay_alu instid0(VALU_DEP_4) | instskip(NEXT) | instid1(VALU_DEP_4)
	v_fmac_f32_e32 v19, v24, v37
	v_dual_fmac_f32 v23, v30, v36 :: v_dual_fmac_f32 v18, v32, v37
	s_delay_alu instid0(VALU_DEP_3) | instskip(NEXT) | instid1(VALU_DEP_3)
	v_dual_fmac_f32 v22, v24, v36 :: v_dual_fmac_f32 v21, v34, v38
	v_fmac_f32_e32 v19, v27, v38
	s_delay_alu instid0(VALU_DEP_3) | instskip(NEXT) | instid1(VALU_DEP_4)
	v_fma_f32 v23, -v31, v37, v23
	v_fmac_f32_e32 v18, v35, v38
	s_delay_alu instid0(VALU_DEP_4) | instskip(SKIP_2) | instid1(VALU_DEP_3)
	v_fma_f32 v22, -v25, v37, v22
	s_wait_loadcnt 0x1
	v_dual_fmac_f32 v20, v41, v38 :: v_dual_fmac_f32 v19, v26, v39
	v_dual_fmac_f32 v23, v40, v38 :: v_dual_fmac_f32 v18, v34, v39
	v_fma_f32 v21, -v35, v39, v21
	s_wait_loadcnt 0x0
	s_delay_alu instid0(VALU_DEP_3) | instskip(NEXT) | instid1(VALU_DEP_3)
	v_dual_fmac_f32 v22, v26, v38 :: v_dual_fmac_f32 v19, v47, v44
	v_fma_f32 v23, -v41, v39, v23
	v_fmac_f32_e32 v20, v40, v39
	v_fmac_f32_e32 v21, v28, v44
	s_delay_alu instid0(VALU_DEP_4) | instskip(SKIP_3) | instid1(VALU_DEP_4)
	v_fma_f32 v22, -v27, v39, v22
	v_dual_fmac_f32 v18, v29, v44 :: v_dual_fmac_f32 v19, v46, v45
	v_fmac_f32_e32 v23, v42, v44
	v_fmac_f32_e32 v20, v43, v44
	;; [unrolled: 1-line block ×3, first 2 shown]
	v_fma_f32 v21, -v29, v45, v21
	v_fmac_f32_e32 v18, v28, v45
	v_fma_f32 v23, -v43, v45, v23
	v_fmac_f32_e32 v20, v42, v45
	v_fma_f32 v22, -v47, v45, v22
	s_wait_alu 0xfffe
	s_and_not1_b32 exec_lo, exec_lo, s6
	s_cbranch_execnz .LBB34_14
; %bb.15:
	s_or_b32 exec_lo, exec_lo, s6
.LBB34_16:
	s_wait_alu 0xfffe
	s_or_b32 exec_lo, exec_lo, s3
	s_cbranch_execz .LBB34_18
	s_branch .LBB34_23
.LBB34_17:
                                        ; implicit-def: $vgpr18
                                        ; implicit-def: $vgpr21
                                        ; implicit-def: $vgpr22
                                        ; implicit-def: $vgpr19
                                        ; implicit-def: $vgpr23
                                        ; implicit-def: $vgpr20
.LBB34_18:
	v_dual_mov_b32 v18, 0 :: v_dual_mov_b32 v21, 0
	v_dual_mov_b32 v22, 0 :: v_dual_mov_b32 v19, 0
	;; [unrolled: 1-line block ×3, first 2 shown]
	s_and_saveexec_b32 s3, s2
	s_cbranch_execz .LBB34_22
; %bb.19:
	v_lshlrev_b64_e32 v[12:13], 2, v[0:1]
	v_dual_mov_b32 v18, 0 :: v_dual_mov_b32 v21, 0
	v_dual_mov_b32 v22, 0 :: v_dual_mov_b32 v19, 0
	;; [unrolled: 1-line block ×3, first 2 shown]
	s_delay_alu instid0(VALU_DEP_4)
	v_add_co_u32 v12, vcc_lo, s8, v12
	s_wait_alu 0xfffd
	v_add_co_ci_u32_e64 v13, null, s9, v13, vcc_lo
	s_mov_b32 s2, 0
.LBB34_20:                              ; =>This Inner Loop Header: Depth=1
	global_load_b32 v28, v[12:13], off
	s_clause 0x1
	global_load_b128 v[14:17], v[8:9], off offset:16
	global_load_b128 v[24:27], v[8:9], off
	s_wait_loadcnt 0x2
	v_subrev_nc_u32_e32 v28, s12, v28
	s_delay_alu instid0(VALU_DEP_1) | instskip(NEXT) | instid1(VALU_DEP_1)
	v_lshl_add_u32 v28, v28, 1, v28
	v_ashrrev_i32_e32 v29, 31, v28
	s_delay_alu instid0(VALU_DEP_1) | instskip(SKIP_1) | instid1(VALU_DEP_1)
	v_lshlrev_b64_e32 v[28:29], 3, v[28:29]
	s_wait_kmcnt 0x0
	v_add_co_u32 v32, vcc_lo, s4, v28
	s_wait_alu 0xfffd
	s_delay_alu instid0(VALU_DEP_2)
	v_add_co_ci_u32_e64 v33, null, s5, v29, vcc_lo
	s_clause 0x1
	global_load_b128 v[28:31], v[32:33], off
	global_load_b64 v[40:41], v[32:33], off offset:16
	s_clause 0x2
	global_load_b128 v[32:35], v[8:9], off offset:32
	global_load_b128 v[36:39], v[8:9], off offset:48
	global_load_b64 v[42:43], v[8:9], off offset:64
	v_add_co_u32 v8, vcc_lo, 0x1200, v8
	s_wait_alu 0xfffd
	v_add_co_ci_u32_e64 v9, null, 0, v9, vcc_lo
	v_add_co_u32 v0, vcc_lo, v0, 64
	s_wait_alu 0xfffd
	v_add_co_ci_u32_e64 v1, null, 0, v1, vcc_lo
	;; [unrolled: 3-line block ×3, first 2 shown]
	s_delay_alu instid0(VALU_DEP_3)
	v_cmp_ge_i64_e32 vcc_lo, v[0:1], v[10:11]
	s_wait_alu 0xfffe
	s_or_b32 s2, vcc_lo, s2
	s_wait_loadcnt 0x4
	v_fmac_f32_e32 v19, v15, v28
	v_fmac_f32_e32 v18, v25, v28
	;; [unrolled: 1-line block ×4, first 2 shown]
	s_delay_alu instid0(VALU_DEP_4) | instskip(NEXT) | instid1(VALU_DEP_4)
	v_fmac_f32_e32 v19, v14, v29
	v_dual_fmac_f32 v23, v26, v28 :: v_dual_fmac_f32 v18, v24, v29
	s_delay_alu instid0(VALU_DEP_4) | instskip(NEXT) | instid1(VALU_DEP_4)
	v_fmac_f32_e32 v20, v26, v29
	v_fma_f32 v21, -v25, v29, v21
	s_wait_loadcnt 0x2
	v_fmac_f32_e32 v19, v35, v30
	v_fma_f32 v23, -v27, v29, v23
	v_fmac_f32_e32 v22, v14, v28
	v_fmac_f32_e32 v20, v33, v30
	;; [unrolled: 1-line block ×5, first 2 shown]
	v_fma_f32 v15, -v15, v29, v22
	v_fmac_f32_e32 v19, v34, v31
	v_fmac_f32_e32 v20, v32, v31
	v_fma_f32 v14, -v17, v31, v21
	s_delay_alu instid0(VALU_DEP_4)
	v_dual_fmac_f32 v18, v16, v31 :: v_dual_fmac_f32 v15, v34, v30
	v_fma_f32 v16, -v33, v31, v23
	s_wait_loadcnt 0x1
	v_fmac_f32_e32 v20, v39, v40
	s_wait_loadcnt 0x0
	v_fmac_f32_e32 v19, v43, v40
	v_fmac_f32_e32 v18, v37, v40
	v_fma_f32 v15, -v35, v31, v15
	v_fmac_f32_e32 v16, v38, v40
	v_fmac_f32_e32 v20, v38, v41
	v_dual_fmac_f32 v14, v36, v40 :: v_dual_fmac_f32 v19, v42, v41
	s_delay_alu instid0(VALU_DEP_4) | instskip(NEXT) | instid1(VALU_DEP_4)
	v_dual_fmac_f32 v15, v42, v40 :: v_dual_fmac_f32 v18, v36, v41
	v_fma_f32 v23, -v39, v41, v16
	s_delay_alu instid0(VALU_DEP_3) | instskip(NEXT) | instid1(VALU_DEP_3)
	v_fma_f32 v21, -v37, v41, v14
	v_fma_f32 v22, -v43, v41, v15
	s_wait_alu 0xfffe
	s_and_not1_b32 exec_lo, exec_lo, s2
	s_cbranch_execnz .LBB34_20
; %bb.21:
	s_or_b32 exec_lo, exec_lo, s2
.LBB34_22:
	s_wait_alu 0xfffe
	s_or_b32 exec_lo, exec_lo, s3
.LBB34_23:
	v_mbcnt_lo_u32_b32 v0, -1, 0
	s_delay_alu instid0(VALU_DEP_1) | instskip(SKIP_1) | instid1(VALU_DEP_2)
	v_or_b32_e32 v1, 32, v0
	v_xor_b32_e32 v13, 16, v0
	v_cmp_gt_i32_e32 vcc_lo, 32, v1
	s_wait_alu 0xfffd
	v_cndmask_b32_e32 v1, v0, v1, vcc_lo
	s_delay_alu instid0(VALU_DEP_3) | instskip(NEXT) | instid1(VALU_DEP_2)
	v_cmp_gt_i32_e32 vcc_lo, 32, v13
	v_lshlrev_b32_e32 v1, 2, v1
	ds_bpermute_b32 v10, v1, v23
	s_wait_dscnt 0x0
	v_add_f32_e32 v10, v23, v10
	ds_bpermute_b32 v8, v1, v21
	ds_bpermute_b32 v12, v1, v22
	s_wait_alu 0xfffd
	v_cndmask_b32_e32 v13, v0, v13, vcc_lo
	ds_bpermute_b32 v9, v1, v18
	ds_bpermute_b32 v11, v1, v20
	;; [unrolled: 1-line block ×3, first 2 shown]
	s_wait_dscnt 0x4
	v_add_f32_e32 v8, v21, v8
	s_wait_dscnt 0x3
	v_dual_add_f32 v12, v22, v12 :: v_dual_lshlrev_b32 v13, 2, v13
	s_wait_dscnt 0x2
	v_add_f32_e32 v9, v18, v9
	ds_bpermute_b32 v14, v13, v8
	s_wait_dscnt 0x0
	v_add_f32_e32 v8, v8, v14
	ds_bpermute_b32 v16, v13, v10
	ds_bpermute_b32 v18, v13, v12
	s_wait_dscnt 0x1
	v_dual_add_f32 v11, v20, v11 :: v_dual_add_f32 v10, v10, v16
	v_add_f32_e32 v1, v19, v1
	v_xor_b32_e32 v19, 8, v0
	s_wait_dscnt 0x0
	v_add_f32_e32 v12, v12, v18
	ds_bpermute_b32 v15, v13, v9
	ds_bpermute_b32 v17, v13, v11
	v_cmp_gt_i32_e32 vcc_lo, 32, v19
	s_wait_alu 0xfffd
	v_cndmask_b32_e32 v19, v0, v19, vcc_lo
	s_delay_alu instid0(VALU_DEP_1)
	v_lshlrev_b32_e32 v19, 2, v19
	s_wait_dscnt 0x1
	v_add_f32_e32 v9, v9, v15
	ds_bpermute_b32 v15, v19, v10
	s_wait_dscnt 0x0
	v_add_f32_e32 v10, v10, v15
	ds_bpermute_b32 v13, v13, v1
	v_add_f32_e32 v11, v11, v17
	s_wait_dscnt 0x0
	v_add_f32_e32 v1, v1, v13
	ds_bpermute_b32 v13, v19, v8
	s_wait_dscnt 0x0
	v_add_f32_e32 v8, v8, v13
	ds_bpermute_b32 v17, v19, v12
	ds_bpermute_b32 v16, v19, v11
	ds_bpermute_b32 v18, v19, v1
	s_wait_dscnt 0x2
	v_add_f32_e32 v12, v12, v17
	ds_bpermute_b32 v14, v19, v9
	v_xor_b32_e32 v19, 4, v0
	s_delay_alu instid0(VALU_DEP_1) | instskip(SKIP_2) | instid1(VALU_DEP_1)
	v_cmp_gt_i32_e32 vcc_lo, 32, v19
	s_wait_alu 0xfffd
	v_cndmask_b32_e32 v19, v0, v19, vcc_lo
	v_lshlrev_b32_e32 v19, 2, v19
	ds_bpermute_b32 v13, v19, v8
	s_wait_dscnt 0x0
	v_add_f32_e32 v8, v8, v13
	ds_bpermute_b32 v15, v19, v10
	ds_bpermute_b32 v17, v19, v12
	s_wait_dscnt 0x1
	v_dual_add_f32 v9, v9, v14 :: v_dual_add_f32 v10, v10, v15
	v_add_f32_e32 v11, v11, v16
	s_wait_dscnt 0x0
	v_dual_add_f32 v1, v1, v18 :: v_dual_add_f32 v12, v12, v17
	ds_bpermute_b32 v14, v19, v9
	ds_bpermute_b32 v16, v19, v11
	;; [unrolled: 1-line block ×3, first 2 shown]
	v_xor_b32_e32 v19, 2, v0
	s_delay_alu instid0(VALU_DEP_1) | instskip(SKIP_2) | instid1(VALU_DEP_1)
	v_cmp_gt_i32_e32 vcc_lo, 32, v19
	s_wait_alu 0xfffd
	v_cndmask_b32_e32 v19, v0, v19, vcc_lo
	v_lshlrev_b32_e32 v19, 2, v19
	s_wait_dscnt 0x2
	v_add_f32_e32 v9, v9, v14
	s_wait_dscnt 0x1
	v_add_f32_e32 v11, v11, v16
	;; [unrolled: 2-line block ×3, first 2 shown]
	ds_bpermute_b32 v1, v19, v8
	ds_bpermute_b32 v14, v19, v9
	;; [unrolled: 1-line block ×6, first 2 shown]
	v_xor_b32_e32 v19, 1, v0
	s_delay_alu instid0(VALU_DEP_1) | instskip(SKIP_4) | instid1(VALU_DEP_2)
	v_cmp_gt_i32_e32 vcc_lo, 32, v19
	s_wait_alu 0xfffd
	v_cndmask_b32_e32 v0, v0, v19, vcc_lo
	v_cmp_eq_u32_e32 vcc_lo, 63, v3
	s_wait_dscnt 0x5
	v_dual_add_f32 v0, v8, v1 :: v_dual_lshlrev_b32 v19, 2, v0
	s_wait_dscnt 0x3
	v_dual_add_f32 v1, v9, v14 :: v_dual_add_f32 v8, v10, v15
	s_wait_dscnt 0x1
	v_dual_add_f32 v9, v11, v16 :: v_dual_add_f32 v10, v12, v17
	s_wait_dscnt 0x0
	v_add_f32_e32 v11, v13, v18
	ds_bpermute_b32 v12, v19, v0
	ds_bpermute_b32 v13, v19, v1
	ds_bpermute_b32 v14, v19, v8
	ds_bpermute_b32 v15, v19, v9
	ds_bpermute_b32 v16, v19, v10
	ds_bpermute_b32 v17, v19, v11
	s_and_b32 exec_lo, exec_lo, vcc_lo
	s_cbranch_execz .LBB34_8
; %bb.24:
	s_wait_dscnt 0x4
	v_dual_add_f32 v12, v0, v12 :: v_dual_add_f32 v1, v1, v13
	s_load_b64 s[2:3], s[0:1], 0x50
	s_wait_dscnt 0x1
	v_dual_add_f32 v13, v8, v14 :: v_dual_add_f32 v14, v10, v16
	v_lshl_add_u32 v10, v2, 1, v2
	v_mul_f32_e64 v0, v1, -v7
	v_add_f32_e32 v3, v9, v15
	s_wait_dscnt 0x0
	v_add_f32_e32 v9, v11, v17
	v_mul_f32_e32 v1, v6, v1
	v_cmp_eq_f32_e32 vcc_lo, 0, v4
	v_fmac_f32_e32 v0, v6, v12
	v_mul_f32_e64 v2, v3, -v7
	v_mul_f32_e64 v8, v9, -v7
	v_mul_f32_e32 v3, v6, v3
	v_cmp_eq_f32_e64 s0, 0, v5
	s_delay_alu instid0(VALU_DEP_4) | instskip(NEXT) | instid1(VALU_DEP_4)
	v_dual_fmac_f32 v1, v7, v12 :: v_dual_fmac_f32 v2, v6, v13
	v_fmac_f32_e32 v8, v6, v14
	v_mul_f32_e32 v9, v6, v9
	v_ashrrev_i32_e32 v11, 31, v10
	v_fmac_f32_e32 v3, v7, v13
	s_and_b32 s0, vcc_lo, s0
	s_delay_alu instid0(VALU_DEP_3)
	v_fmac_f32_e32 v9, v7, v14
	s_wait_alu 0xfffe
	s_and_saveexec_b32 s1, s0
	s_wait_alu 0xfffe
	s_xor_b32 s0, exec_lo, s1
	s_cbranch_execz .LBB34_26
; %bb.25:
	v_lshlrev_b64_e32 v[4:5], 3, v[10:11]
                                        ; implicit-def: $vgpr10
	s_wait_kmcnt 0x0
	s_delay_alu instid0(VALU_DEP_1) | instskip(SKIP_1) | instid1(VALU_DEP_2)
	v_add_co_u32 v4, vcc_lo, s2, v4
	s_wait_alu 0xfffd
	v_add_co_ci_u32_e64 v5, null, s3, v5, vcc_lo
	s_clause 0x1
	global_store_b128 v[4:5], v[0:3], off
	global_store_b64 v[4:5], v[8:9], off offset:16
                                        ; implicit-def: $vgpr4_vgpr5
                                        ; implicit-def: $vgpr0
                                        ; implicit-def: $vgpr8
.LBB34_26:
	s_wait_alu 0xfffe
	s_and_not1_saveexec_b32 s0, s0
	s_cbranch_execz .LBB34_8
; %bb.27:
	v_lshlrev_b64_e32 v[6:7], 3, v[10:11]
	s_wait_kmcnt 0x0
	s_delay_alu instid0(VALU_DEP_1) | instskip(SKIP_1) | instid1(VALU_DEP_2)
	v_add_co_u32 v6, vcc_lo, s2, v6
	s_wait_alu 0xfffd
	v_add_co_ci_u32_e64 v7, null, s3, v7, vcc_lo
	s_clause 0x1
	global_load_b128 v[10:13], v[6:7], off
	global_load_b64 v[14:15], v[6:7], off offset:16
	s_wait_loadcnt 0x1
	v_dual_fmac_f32 v0, v4, v10 :: v_dual_fmac_f32 v3, v5, v12
	v_dual_fmac_f32 v1, v5, v10 :: v_dual_fmac_f32 v2, v4, v12
	s_wait_loadcnt 0x0
	v_fmac_f32_e32 v8, v4, v14
	v_fmac_f32_e32 v9, v5, v14
	v_fma_f32 v0, -v5, v11, v0
	v_fmac_f32_e32 v1, v4, v11
	v_fma_f32 v2, -v5, v13, v2
	;; [unrolled: 2-line block ×3, first 2 shown]
	v_fmac_f32_e32 v9, v4, v15
	s_clause 0x1
	global_store_b128 v[6:7], v[0:3], off
	global_store_b64 v[6:7], v[8:9], off offset:16
	s_endpgm
	.section	.rodata,"a",@progbits
	.p2align	6, 0x0
	.amdhsa_kernel _ZN9rocsparseL18bsrxmvn_3x3_kernelILj256ELj64E21rocsparse_complex_numIfEliS2_S2_S2_EEvT3_20rocsparse_direction_NS_24const_host_device_scalarIT1_EES3_PKS3_PKT2_SC_S9_PKT4_PKT5_S7_PT6_21rocsparse_index_base_b
		.amdhsa_group_segment_fixed_size 0
		.amdhsa_private_segment_fixed_size 0
		.amdhsa_kernarg_size 96
		.amdhsa_user_sgpr_count 2
		.amdhsa_user_sgpr_dispatch_ptr 0
		.amdhsa_user_sgpr_queue_ptr 0
		.amdhsa_user_sgpr_kernarg_segment_ptr 1
		.amdhsa_user_sgpr_dispatch_id 0
		.amdhsa_user_sgpr_private_segment_size 0
		.amdhsa_wavefront_size32 1
		.amdhsa_uses_dynamic_stack 0
		.amdhsa_enable_private_segment 0
		.amdhsa_system_sgpr_workgroup_id_x 1
		.amdhsa_system_sgpr_workgroup_id_y 0
		.amdhsa_system_sgpr_workgroup_id_z 0
		.amdhsa_system_sgpr_workgroup_info 0
		.amdhsa_system_vgpr_workitem_id 0
		.amdhsa_next_free_vgpr 48
		.amdhsa_next_free_sgpr 14
		.amdhsa_reserve_vcc 1
		.amdhsa_float_round_mode_32 0
		.amdhsa_float_round_mode_16_64 0
		.amdhsa_float_denorm_mode_32 3
		.amdhsa_float_denorm_mode_16_64 3
		.amdhsa_fp16_overflow 0
		.amdhsa_workgroup_processor_mode 1
		.amdhsa_memory_ordered 1
		.amdhsa_forward_progress 1
		.amdhsa_inst_pref_size 23
		.amdhsa_round_robin_scheduling 0
		.amdhsa_exception_fp_ieee_invalid_op 0
		.amdhsa_exception_fp_denorm_src 0
		.amdhsa_exception_fp_ieee_div_zero 0
		.amdhsa_exception_fp_ieee_overflow 0
		.amdhsa_exception_fp_ieee_underflow 0
		.amdhsa_exception_fp_ieee_inexact 0
		.amdhsa_exception_int_div_zero 0
	.end_amdhsa_kernel
	.section	.text._ZN9rocsparseL18bsrxmvn_3x3_kernelILj256ELj64E21rocsparse_complex_numIfEliS2_S2_S2_EEvT3_20rocsparse_direction_NS_24const_host_device_scalarIT1_EES3_PKS3_PKT2_SC_S9_PKT4_PKT5_S7_PT6_21rocsparse_index_base_b,"axG",@progbits,_ZN9rocsparseL18bsrxmvn_3x3_kernelILj256ELj64E21rocsparse_complex_numIfEliS2_S2_S2_EEvT3_20rocsparse_direction_NS_24const_host_device_scalarIT1_EES3_PKS3_PKT2_SC_S9_PKT4_PKT5_S7_PT6_21rocsparse_index_base_b,comdat
.Lfunc_end34:
	.size	_ZN9rocsparseL18bsrxmvn_3x3_kernelILj256ELj64E21rocsparse_complex_numIfEliS2_S2_S2_EEvT3_20rocsparse_direction_NS_24const_host_device_scalarIT1_EES3_PKS3_PKT2_SC_S9_PKT4_PKT5_S7_PT6_21rocsparse_index_base_b, .Lfunc_end34-_ZN9rocsparseL18bsrxmvn_3x3_kernelILj256ELj64E21rocsparse_complex_numIfEliS2_S2_S2_EEvT3_20rocsparse_direction_NS_24const_host_device_scalarIT1_EES3_PKS3_PKT2_SC_S9_PKT4_PKT5_S7_PT6_21rocsparse_index_base_b
                                        ; -- End function
	.set _ZN9rocsparseL18bsrxmvn_3x3_kernelILj256ELj64E21rocsparse_complex_numIfEliS2_S2_S2_EEvT3_20rocsparse_direction_NS_24const_host_device_scalarIT1_EES3_PKS3_PKT2_SC_S9_PKT4_PKT5_S7_PT6_21rocsparse_index_base_b.num_vgpr, 48
	.set _ZN9rocsparseL18bsrxmvn_3x3_kernelILj256ELj64E21rocsparse_complex_numIfEliS2_S2_S2_EEvT3_20rocsparse_direction_NS_24const_host_device_scalarIT1_EES3_PKS3_PKT2_SC_S9_PKT4_PKT5_S7_PT6_21rocsparse_index_base_b.num_agpr, 0
	.set _ZN9rocsparseL18bsrxmvn_3x3_kernelILj256ELj64E21rocsparse_complex_numIfEliS2_S2_S2_EEvT3_20rocsparse_direction_NS_24const_host_device_scalarIT1_EES3_PKS3_PKT2_SC_S9_PKT4_PKT5_S7_PT6_21rocsparse_index_base_b.numbered_sgpr, 14
	.set _ZN9rocsparseL18bsrxmvn_3x3_kernelILj256ELj64E21rocsparse_complex_numIfEliS2_S2_S2_EEvT3_20rocsparse_direction_NS_24const_host_device_scalarIT1_EES3_PKS3_PKT2_SC_S9_PKT4_PKT5_S7_PT6_21rocsparse_index_base_b.num_named_barrier, 0
	.set _ZN9rocsparseL18bsrxmvn_3x3_kernelILj256ELj64E21rocsparse_complex_numIfEliS2_S2_S2_EEvT3_20rocsparse_direction_NS_24const_host_device_scalarIT1_EES3_PKS3_PKT2_SC_S9_PKT4_PKT5_S7_PT6_21rocsparse_index_base_b.private_seg_size, 0
	.set _ZN9rocsparseL18bsrxmvn_3x3_kernelILj256ELj64E21rocsparse_complex_numIfEliS2_S2_S2_EEvT3_20rocsparse_direction_NS_24const_host_device_scalarIT1_EES3_PKS3_PKT2_SC_S9_PKT4_PKT5_S7_PT6_21rocsparse_index_base_b.uses_vcc, 1
	.set _ZN9rocsparseL18bsrxmvn_3x3_kernelILj256ELj64E21rocsparse_complex_numIfEliS2_S2_S2_EEvT3_20rocsparse_direction_NS_24const_host_device_scalarIT1_EES3_PKS3_PKT2_SC_S9_PKT4_PKT5_S7_PT6_21rocsparse_index_base_b.uses_flat_scratch, 0
	.set _ZN9rocsparseL18bsrxmvn_3x3_kernelILj256ELj64E21rocsparse_complex_numIfEliS2_S2_S2_EEvT3_20rocsparse_direction_NS_24const_host_device_scalarIT1_EES3_PKS3_PKT2_SC_S9_PKT4_PKT5_S7_PT6_21rocsparse_index_base_b.has_dyn_sized_stack, 0
	.set _ZN9rocsparseL18bsrxmvn_3x3_kernelILj256ELj64E21rocsparse_complex_numIfEliS2_S2_S2_EEvT3_20rocsparse_direction_NS_24const_host_device_scalarIT1_EES3_PKS3_PKT2_SC_S9_PKT4_PKT5_S7_PT6_21rocsparse_index_base_b.has_recursion, 0
	.set _ZN9rocsparseL18bsrxmvn_3x3_kernelILj256ELj64E21rocsparse_complex_numIfEliS2_S2_S2_EEvT3_20rocsparse_direction_NS_24const_host_device_scalarIT1_EES3_PKS3_PKT2_SC_S9_PKT4_PKT5_S7_PT6_21rocsparse_index_base_b.has_indirect_call, 0
	.section	.AMDGPU.csdata,"",@progbits
; Kernel info:
; codeLenInByte = 2924
; TotalNumSgprs: 16
; NumVgprs: 48
; ScratchSize: 0
; MemoryBound: 0
; FloatMode: 240
; IeeeMode: 1
; LDSByteSize: 0 bytes/workgroup (compile time only)
; SGPRBlocks: 0
; VGPRBlocks: 5
; NumSGPRsForWavesPerEU: 16
; NumVGPRsForWavesPerEU: 48
; Occupancy: 16
; WaveLimiterHint : 1
; COMPUTE_PGM_RSRC2:SCRATCH_EN: 0
; COMPUTE_PGM_RSRC2:USER_SGPR: 2
; COMPUTE_PGM_RSRC2:TRAP_HANDLER: 0
; COMPUTE_PGM_RSRC2:TGID_X_EN: 1
; COMPUTE_PGM_RSRC2:TGID_Y_EN: 0
; COMPUTE_PGM_RSRC2:TGID_Z_EN: 0
; COMPUTE_PGM_RSRC2:TIDIG_COMP_CNT: 0
	.section	.text._ZN9rocsparseL18bsrxmvn_3x3_kernelILj256ELj4E21rocsparse_complex_numIdEliS2_S2_S2_EEvT3_20rocsparse_direction_NS_24const_host_device_scalarIT1_EES3_PKS3_PKT2_SC_S9_PKT4_PKT5_S7_PT6_21rocsparse_index_base_b,"axG",@progbits,_ZN9rocsparseL18bsrxmvn_3x3_kernelILj256ELj4E21rocsparse_complex_numIdEliS2_S2_S2_EEvT3_20rocsparse_direction_NS_24const_host_device_scalarIT1_EES3_PKS3_PKT2_SC_S9_PKT4_PKT5_S7_PT6_21rocsparse_index_base_b,comdat
	.globl	_ZN9rocsparseL18bsrxmvn_3x3_kernelILj256ELj4E21rocsparse_complex_numIdEliS2_S2_S2_EEvT3_20rocsparse_direction_NS_24const_host_device_scalarIT1_EES3_PKS3_PKT2_SC_S9_PKT4_PKT5_S7_PT6_21rocsparse_index_base_b ; -- Begin function _ZN9rocsparseL18bsrxmvn_3x3_kernelILj256ELj4E21rocsparse_complex_numIdEliS2_S2_S2_EEvT3_20rocsparse_direction_NS_24const_host_device_scalarIT1_EES3_PKS3_PKT2_SC_S9_PKT4_PKT5_S7_PT6_21rocsparse_index_base_b
	.p2align	8
	.type	_ZN9rocsparseL18bsrxmvn_3x3_kernelILj256ELj4E21rocsparse_complex_numIdEliS2_S2_S2_EEvT3_20rocsparse_direction_NS_24const_host_device_scalarIT1_EES3_PKS3_PKT2_SC_S9_PKT4_PKT5_S7_PT6_21rocsparse_index_base_b,@function
_ZN9rocsparseL18bsrxmvn_3x3_kernelILj256ELj4E21rocsparse_complex_numIdEliS2_S2_S2_EEvT3_20rocsparse_direction_NS_24const_host_device_scalarIT1_EES3_PKS3_PKT2_SC_S9_PKT4_PKT5_S7_PT6_21rocsparse_index_base_b: ; @_ZN9rocsparseL18bsrxmvn_3x3_kernelILj256ELj4E21rocsparse_complex_numIdEliS2_S2_S2_EEvT3_20rocsparse_direction_NS_24const_host_device_scalarIT1_EES3_PKS3_PKT2_SC_S9_PKT4_PKT5_S7_PT6_21rocsparse_index_base_b
; %bb.0:
	s_clause 0x1
	s_load_b64 s[12:13], s[0:1], 0x68
	s_load_b64 s[2:3], s[0:1], 0x8
	s_add_nc_u64 s[4:5], s[0:1], 8
	s_load_b64 s[6:7], s[0:1], 0x50
	s_wait_kmcnt 0x0
	s_bitcmp1_b32 s13, 0
	s_cselect_b32 s2, s4, s2
	s_cselect_b32 s3, s5, s3
	s_delay_alu instid0(SALU_CYCLE_1)
	v_dual_mov_b32 v1, s2 :: v_dual_mov_b32 v2, s3
	s_add_nc_u64 s[2:3], s[0:1], 0x50
	s_wait_alu 0xfffe
	s_cselect_b32 s2, s2, s6
	s_cselect_b32 s3, s3, s7
	flat_load_b128 v[5:8], v[1:2]
	s_wait_alu 0xfffe
	v_dual_mov_b32 v1, s2 :: v_dual_mov_b32 v2, s3
	flat_load_b128 v[1:4], v[1:2]
	s_wait_loadcnt_dscnt 0x101
	v_cmp_eq_f64_e32 vcc_lo, 0, v[5:6]
	v_cmp_eq_f64_e64 s2, 0, v[7:8]
	s_and_b32 s4, vcc_lo, s2
	s_mov_b32 s2, -1
	s_and_saveexec_b32 s3, s4
	s_cbranch_execz .LBB35_2
; %bb.1:
	s_wait_loadcnt_dscnt 0x0
	v_cmp_neq_f64_e32 vcc_lo, 1.0, v[1:2]
	v_cmp_neq_f64_e64 s2, 0, v[3:4]
	s_wait_alu 0xfffe
	s_or_b32 s2, vcc_lo, s2
	s_wait_alu 0xfffe
	s_or_not1_b32 s2, s2, exec_lo
.LBB35_2:
	s_wait_alu 0xfffe
	s_or_b32 exec_lo, exec_lo, s3
	s_and_saveexec_b32 s3, s2
	s_cbranch_execz .LBB35_8
; %bb.3:
	s_clause 0x1
	s_load_b64 s[4:5], s[0:1], 0x20
	s_load_b64 s[2:3], s[0:1], 0x0
	v_lshrrev_b32_e32 v9, 2, v0
	s_delay_alu instid0(VALU_DEP_1)
	v_lshl_or_b32 v17, ttmp9, 6, v9
	s_wait_kmcnt 0x0
	s_cmp_lg_u64 s[4:5], 0
	s_cbranch_scc0 .LBB35_9
; %bb.4:
	s_load_b32 s6, s[0:1], 0x18
	s_mov_b32 s7, 0
                                        ; implicit-def: $vgpr9
	s_wait_kmcnt 0x0
	v_cmp_gt_i32_e32 vcc_lo, s6, v17
	s_mov_b32 s6, 0
	s_and_saveexec_b32 s8, vcc_lo
	s_delay_alu instid0(SALU_CYCLE_1)
	s_xor_b32 s8, exec_lo, s8
	s_cbranch_execz .LBB35_6
; %bb.5:
	v_ashrrev_i32_e32 v18, 31, v17
	s_mov_b32 s6, exec_lo
	s_delay_alu instid0(VALU_DEP_1) | instskip(NEXT) | instid1(VALU_DEP_1)
	v_lshlrev_b64_e32 v[9:10], 2, v[17:18]
	v_add_co_u32 v9, vcc_lo, s4, v9
	s_delay_alu instid0(VALU_DEP_1)
	v_add_co_ci_u32_e64 v10, null, s5, v10, vcc_lo
	global_load_b32 v9, v[9:10], off
	s_wait_loadcnt 0x0
	v_subrev_nc_u32_e32 v9, s12, v9
.LBB35_6:
	s_or_b32 exec_lo, exec_lo, s8
	s_delay_alu instid0(SALU_CYCLE_1)
	s_and_b32 vcc_lo, exec_lo, s7
	s_wait_alu 0xfffe
	s_cbranch_vccz .LBB35_10
.LBB35_7:
	v_cmp_gt_i32_e32 vcc_lo, s2, v17
	s_and_not1_b32 s2, s6, exec_lo
	s_and_b32 s4, vcc_lo, exec_lo
	s_wait_alu 0xfffe
	s_or_b32 s6, s2, s4
	s_wait_alu 0xfffe
	s_and_b32 exec_lo, exec_lo, s6
	s_cbranch_execnz .LBB35_11
.LBB35_8:
	s_endpgm
.LBB35_9:
	s_mov_b32 s6, 0
                                        ; implicit-def: $vgpr9
	s_cbranch_execnz .LBB35_7
.LBB35_10:
	v_mov_b32_e32 v17, v9
	s_and_b32 exec_lo, exec_lo, s6
	s_cbranch_execz .LBB35_8
.LBB35_11:
	s_load_b256 s[4:11], s[0:1], 0x28
	s_delay_alu instid0(VALU_DEP_1) | instskip(SKIP_1) | instid1(VALU_DEP_2)
	v_ashrrev_i32_e32 v18, 31, v17
	v_and_b32_e32 v0, 3, v0
	v_lshlrev_b64_e32 v[9:10], 3, v[17:18]
	s_wait_kmcnt 0x0
	s_delay_alu instid0(VALU_DEP_1) | instskip(SKIP_1) | instid1(VALU_DEP_2)
	v_add_co_u32 v11, vcc_lo, s4, v9
	s_wait_alu 0xfffd
	v_add_co_ci_u32_e64 v12, null, s5, v10, vcc_lo
	v_add_co_u32 v9, vcc_lo, s6, v9
	s_wait_alu 0xfffd
	v_add_co_ci_u32_e64 v10, null, s7, v10, vcc_lo
	global_load_b64 v[13:14], v[11:12], off
	v_add_co_u32 v11, vcc_lo, v11, 8
	s_wait_alu 0xfffd
	v_add_co_ci_u32_e64 v12, null, 0, v12, vcc_lo
	s_cmp_eq_u64 s[6:7], 0
	s_load_b64 s[4:5], s[0:1], 0x48
	s_cselect_b32 vcc_lo, -1, 0
	s_cmp_eq_u32 s3, 1
	s_wait_alu 0xfffe
	v_dual_cndmask_b32 v10, v10, v12 :: v_dual_cndmask_b32 v9, v9, v11
	global_load_b64 v[15:16], v[9:10], off
	s_wait_loadcnt 0x1
	v_sub_co_u32 v9, vcc_lo, v13, s12
	s_wait_alu 0xfffd
	v_subrev_co_ci_u32_e64 v10, null, 0, v14, vcc_lo
	s_delay_alu instid0(VALU_DEP_2) | instskip(SKIP_1) | instid1(VALU_DEP_2)
	v_add_co_u32 v9, vcc_lo, v9, v0
	s_wait_alu 0xfffd
	v_add_co_ci_u32_e64 v10, null, 0, v10, vcc_lo
	s_delay_alu instid0(VALU_DEP_2) | instskip(NEXT) | instid1(VALU_DEP_1)
	v_mad_co_u64_u32 v[11:12], null, 0x90, v9, s[10:11]
	v_mad_co_u64_u32 v[12:13], null, 0x90, v10, v[12:13]
	s_wait_loadcnt 0x0
	v_sub_co_u32 v13, vcc_lo, v15, s12
	s_wait_alu 0xfffd
	v_subrev_co_ci_u32_e64 v14, null, 0, v16, vcc_lo
	s_delay_alu instid0(VALU_DEP_1)
	v_cmp_lt_i64_e64 s2, v[9:10], v[13:14]
	s_cbranch_scc1 .LBB35_17
; %bb.12:
	v_mov_b32_e32 v20, 0
	v_dual_mov_b32 v24, 0 :: v_dual_mov_b32 v15, 0
	v_dual_mov_b32 v18, 0 :: v_dual_mov_b32 v21, 0
	;; [unrolled: 1-line block ×3, first 2 shown]
	v_mov_b32_e32 v26, 0
	v_dual_mov_b32 v16, 0 :: v_dual_mov_b32 v19, 0
	v_mov_b32_e32 v23, 0
	v_mov_b32_e32 v27, 0
	s_and_saveexec_b32 s6, s2
	s_cbranch_execz .LBB35_16
; %bb.13:
	v_lshlrev_b64_e32 v[18:19], 2, v[9:10]
	v_dual_mov_b32 v15, 0 :: v_dual_mov_b32 v22, 0
	v_dual_mov_b32 v16, 0 :: v_dual_mov_b32 v29, v10
	;; [unrolled: 1-line block ×3, first 2 shown]
	s_delay_alu instid0(VALU_DEP_4)
	v_add_co_u32 v30, vcc_lo, s8, v18
	s_wait_alu 0xfffd
	v_add_co_ci_u32_e64 v31, null, s9, v19, vcc_lo
	v_mov_b32_e32 v18, 0
	v_dual_mov_b32 v19, 0 :: v_dual_mov_b32 v20, 0
	v_dual_mov_b32 v26, 0 :: v_dual_mov_b32 v33, v12
	v_dual_mov_b32 v28, v9 :: v_dual_mov_b32 v21, 0
	v_mov_b32_e32 v25, 0
	v_dual_mov_b32 v27, 0 :: v_dual_mov_b32 v32, v11
	s_mov_b32 s7, 0
.LBB35_14:                              ; =>This Inner Loop Header: Depth=1
	global_load_b32 v54, v[30:31], off
	s_clause 0x4
	global_load_b128 v[34:37], v[32:33], off offset:48
	global_load_b128 v[38:41], v[32:33], off offset:16
	global_load_b128 v[42:45], v[32:33], off
	global_load_b128 v[46:49], v[32:33], off offset:112
	global_load_b128 v[50:53], v[32:33], off offset:96
	v_add_co_u32 v30, s3, v30, 16
	s_wait_alu 0xf1ff
	v_add_co_ci_u32_e64 v31, null, 0, v31, s3
	s_wait_loadcnt 0x5
	v_subrev_nc_u32_e32 v54, s12, v54
	s_delay_alu instid0(VALU_DEP_1) | instskip(NEXT) | instid1(VALU_DEP_1)
	v_lshl_add_u32 v54, v54, 1, v54
	v_ashrrev_i32_e32 v55, 31, v54
	s_delay_alu instid0(VALU_DEP_1) | instskip(SKIP_1) | instid1(VALU_DEP_1)
	v_lshlrev_b64_e32 v[54:55], 4, v[54:55]
	s_wait_kmcnt 0x0
	v_add_co_u32 v78, vcc_lo, s4, v54
	s_wait_alu 0xfffd
	s_delay_alu instid0(VALU_DEP_2)
	v_add_co_ci_u32_e64 v79, null, s5, v55, vcc_lo
	v_add_co_u32 v28, vcc_lo, v28, 4
	s_wait_alu 0xfffd
	v_add_co_ci_u32_e64 v29, null, 0, v29, vcc_lo
	s_clause 0x1
	global_load_b128 v[54:57], v[78:79], off
	global_load_b128 v[58:61], v[78:79], off offset:16
	s_clause 0x3
	global_load_b128 v[62:65], v[32:33], off offset:64
	global_load_b128 v[66:69], v[32:33], off offset:80
	;; [unrolled: 1-line block ×5, first 2 shown]
	v_add_co_u32 v32, vcc_lo, 0x240, v32
	s_wait_alu 0xfffd
	v_add_co_ci_u32_e64 v33, null, 0, v33, vcc_lo
	v_cmp_ge_i64_e32 vcc_lo, v[28:29], v[13:14]
	s_wait_alu 0xfffe
	s_or_b32 s7, vcc_lo, s7
	s_wait_loadcnt 0x6
	v_fma_f64 v[18:19], v[42:43], v[54:55], v[18:19]
	v_fma_f64 v[15:16], v[44:45], v[54:55], v[15:16]
	;; [unrolled: 1-line block ×6, first 2 shown]
	v_fma_f64 v[18:19], -v[44:45], v[56:57], v[18:19]
	v_fma_f64 v[15:16], v[42:43], v[56:57], v[15:16]
	v_fma_f64 v[24:25], -v[36:37], v[56:57], v[24:25]
	v_fma_f64 v[26:27], v[34:35], v[56:57], v[26:27]
	;; [unrolled: 2-line block ×3, first 2 shown]
	s_wait_loadcnt 0x5
	v_fma_f64 v[18:19], v[38:39], v[58:59], v[18:19]
	v_fma_f64 v[15:16], v[40:41], v[58:59], v[15:16]
	s_wait_loadcnt 0x4
	v_fma_f64 v[24:25], v[62:63], v[58:59], v[24:25]
	v_fma_f64 v[26:27], v[64:65], v[58:59], v[26:27]
	v_fma_f64 v[20:21], v[46:47], v[58:59], v[20:21]
	v_fma_f64 v[22:23], v[48:49], v[58:59], v[22:23]
	v_fma_f64 v[18:19], -v[40:41], v[60:61], v[18:19]
	v_fma_f64 v[15:16], v[38:39], v[60:61], v[15:16]
	v_fma_f64 v[24:25], -v[64:65], v[60:61], v[24:25]
	v_fma_f64 v[26:27], v[62:63], v[60:61], v[26:27]
	;; [unrolled: 2-line block ×3, first 2 shown]
	s_wait_loadcnt 0x0
	v_fma_f64 v[18:19], v[70:71], v[78:79], v[18:19]
	v_fma_f64 v[15:16], v[72:73], v[78:79], v[15:16]
	;; [unrolled: 1-line block ×6, first 2 shown]
	v_fma_f64 v[18:19], -v[72:73], v[80:81], v[18:19]
	v_fma_f64 v[15:16], v[70:71], v[80:81], v[15:16]
	v_fma_f64 v[24:25], -v[68:69], v[80:81], v[24:25]
	v_fma_f64 v[26:27], v[66:67], v[80:81], v[26:27]
	;; [unrolled: 2-line block ×3, first 2 shown]
	s_wait_alu 0xfffe
	s_and_not1_b32 exec_lo, exec_lo, s7
	s_cbranch_execnz .LBB35_14
; %bb.15:
	s_or_b32 exec_lo, exec_lo, s7
.LBB35_16:
	s_wait_alu 0xfffe
	s_or_b32 exec_lo, exec_lo, s6
	s_cbranch_execz .LBB35_18
	s_branch .LBB35_23
.LBB35_17:
                                        ; implicit-def: $vgpr15_vgpr16
                                        ; implicit-def: $vgpr18_vgpr19
                                        ; implicit-def: $vgpr20_vgpr21
                                        ; implicit-def: $vgpr22_vgpr23
                                        ; implicit-def: $vgpr24_vgpr25
                                        ; implicit-def: $vgpr26_vgpr27
.LBB35_18:
	v_mov_b32_e32 v20, 0
	v_dual_mov_b32 v24, 0 :: v_dual_mov_b32 v15, 0
	v_dual_mov_b32 v18, 0 :: v_dual_mov_b32 v21, 0
	;; [unrolled: 1-line block ×3, first 2 shown]
	v_mov_b32_e32 v26, 0
	v_dual_mov_b32 v16, 0 :: v_dual_mov_b32 v19, 0
	v_mov_b32_e32 v23, 0
	v_mov_b32_e32 v27, 0
	s_and_saveexec_b32 s3, s2
	s_cbranch_execz .LBB35_22
; %bb.19:
	v_lshlrev_b64_e32 v[28:29], 2, v[9:10]
	v_mov_b32_e32 v20, 0
	v_dual_mov_b32 v24, 0 :: v_dual_mov_b32 v15, 0
	v_dual_mov_b32 v18, 0 :: v_dual_mov_b32 v21, 0
	v_mov_b32_e32 v22, 0
	v_add_co_u32 v28, vcc_lo, s8, v28
	v_dual_mov_b32 v25, 0 :: v_dual_mov_b32 v26, 0
	v_dual_mov_b32 v16, 0 :: v_dual_mov_b32 v19, 0
	v_mov_b32_e32 v23, 0
	v_mov_b32_e32 v27, 0
	s_wait_alu 0xfffd
	v_add_co_ci_u32_e64 v29, null, s9, v29, vcc_lo
	s_mov_b32 s6, 0
.LBB35_20:                              ; =>This Inner Loop Header: Depth=1
	global_load_b32 v46, v[28:29], off
	s_clause 0x3
	global_load_b128 v[30:33], v[11:12], off offset:48
	global_load_b128 v[34:37], v[11:12], off offset:32
	;; [unrolled: 1-line block ×3, first 2 shown]
	global_load_b128 v[42:45], v[11:12], off
	v_add_co_u32 v28, s2, v28, 16
	s_wait_alu 0xf1ff
	v_add_co_ci_u32_e64 v29, null, 0, v29, s2
	s_wait_loadcnt 0x4
	v_subrev_nc_u32_e32 v46, s12, v46
	s_delay_alu instid0(VALU_DEP_1) | instskip(NEXT) | instid1(VALU_DEP_1)
	v_lshl_add_u32 v46, v46, 1, v46
	v_ashrrev_i32_e32 v47, 31, v46
	s_delay_alu instid0(VALU_DEP_1) | instskip(SKIP_1) | instid1(VALU_DEP_1)
	v_lshlrev_b64_e32 v[46:47], 4, v[46:47]
	s_wait_kmcnt 0x0
	v_add_co_u32 v74, vcc_lo, s4, v46
	s_wait_alu 0xfffd
	s_delay_alu instid0(VALU_DEP_2)
	v_add_co_ci_u32_e64 v75, null, s5, v47, vcc_lo
	v_add_co_u32 v9, vcc_lo, v9, 4
	s_wait_alu 0xfffd
	v_add_co_ci_u32_e64 v10, null, 0, v10, vcc_lo
	s_clause 0x1
	global_load_b128 v[46:49], v[74:75], off
	global_load_b128 v[50:53], v[74:75], off offset:16
	s_clause 0x4
	global_load_b128 v[54:57], v[11:12], off offset:64
	global_load_b128 v[58:61], v[11:12], off offset:80
	;; [unrolled: 1-line block ×6, first 2 shown]
	v_add_co_u32 v11, vcc_lo, 0x240, v11
	s_wait_alu 0xfffd
	v_add_co_ci_u32_e64 v12, null, 0, v12, vcc_lo
	v_cmp_ge_i64_e32 vcc_lo, v[9:10], v[13:14]
	s_wait_alu 0xfffe
	s_or_b32 s6, vcc_lo, s6
	s_wait_loadcnt 0x7
	v_fma_f64 v[18:19], v[42:43], v[46:47], v[18:19]
	v_fma_f64 v[15:16], v[44:45], v[46:47], v[15:16]
	v_fma_f64 v[24:25], v[38:39], v[46:47], v[24:25]
	v_fma_f64 v[26:27], v[40:41], v[46:47], v[26:27]
	v_fma_f64 v[20:21], v[34:35], v[46:47], v[20:21]
	v_fma_f64 v[22:23], v[36:37], v[46:47], v[22:23]
	v_fma_f64 v[18:19], -v[44:45], v[48:49], v[18:19]
	v_fma_f64 v[15:16], v[42:43], v[48:49], v[15:16]
	v_fma_f64 v[24:25], -v[40:41], v[48:49], v[24:25]
	v_fma_f64 v[26:27], v[38:39], v[48:49], v[26:27]
	;; [unrolled: 2-line block ×3, first 2 shown]
	s_wait_loadcnt 0x6
	v_fma_f64 v[18:19], v[30:31], v[50:51], v[18:19]
	v_fma_f64 v[15:16], v[32:33], v[50:51], v[15:16]
	s_wait_loadcnt 0x5
	v_fma_f64 v[24:25], v[54:55], v[50:51], v[24:25]
	v_fma_f64 v[26:27], v[56:57], v[50:51], v[26:27]
	;; [unrolled: 3-line block ×3, first 2 shown]
	v_fma_f64 v[18:19], -v[32:33], v[52:53], v[18:19]
	v_fma_f64 v[15:16], v[30:31], v[52:53], v[15:16]
	v_fma_f64 v[24:25], -v[56:57], v[52:53], v[24:25]
	v_fma_f64 v[26:27], v[54:55], v[52:53], v[26:27]
	;; [unrolled: 2-line block ×3, first 2 shown]
	s_wait_loadcnt 0x0
	v_fma_f64 v[18:19], v[66:67], v[74:75], v[18:19]
	v_fma_f64 v[15:16], v[68:69], v[74:75], v[15:16]
	;; [unrolled: 1-line block ×6, first 2 shown]
	v_fma_f64 v[18:19], -v[68:69], v[76:77], v[18:19]
	v_fma_f64 v[15:16], v[66:67], v[76:77], v[15:16]
	v_fma_f64 v[24:25], -v[64:65], v[76:77], v[24:25]
	v_fma_f64 v[26:27], v[62:63], v[76:77], v[26:27]
	;; [unrolled: 2-line block ×3, first 2 shown]
	s_wait_alu 0xfffe
	s_and_not1_b32 exec_lo, exec_lo, s6
	s_cbranch_execnz .LBB35_20
; %bb.21:
	s_or_b32 exec_lo, exec_lo, s6
.LBB35_22:
	s_wait_alu 0xfffe
	s_or_b32 exec_lo, exec_lo, s3
.LBB35_23:
	v_mbcnt_lo_u32_b32 v36, -1, 0
	s_delay_alu instid0(VALU_DEP_1) | instskip(NEXT) | instid1(VALU_DEP_1)
	v_xor_b32_e32 v9, 2, v36
	v_cmp_gt_i32_e32 vcc_lo, 32, v9
	s_wait_alu 0xfffd
	v_cndmask_b32_e32 v9, v36, v9, vcc_lo
	s_delay_alu instid0(VALU_DEP_1)
	v_lshlrev_b32_e32 v28, 2, v9
	ds_bpermute_b32 v9, v28, v18
	ds_bpermute_b32 v10, v28, v19
	ds_bpermute_b32 v11, v28, v15
	ds_bpermute_b32 v12, v28, v16
	ds_bpermute_b32 v13, v28, v24
	ds_bpermute_b32 v14, v28, v25
	ds_bpermute_b32 v30, v28, v26
	ds_bpermute_b32 v31, v28, v27
	ds_bpermute_b32 v32, v28, v20
	ds_bpermute_b32 v33, v28, v21
	ds_bpermute_b32 v34, v28, v22
	ds_bpermute_b32 v35, v28, v23
	s_wait_dscnt 0xa
	v_add_f64_e32 v[9:10], v[18:19], v[9:10]
	s_wait_dscnt 0x8
	v_add_f64_e32 v[28:29], v[15:16], v[11:12]
	;; [unrolled: 2-line block ×5, first 2 shown]
	v_xor_b32_e32 v20, 1, v36
	s_wait_dscnt 0x0
	v_add_f64_e32 v[15:16], v[22:23], v[34:35]
	s_delay_alu instid0(VALU_DEP_2) | instskip(SKIP_3) | instid1(VALU_DEP_2)
	v_cmp_gt_i32_e32 vcc_lo, 32, v20
	s_wait_alu 0xfffd
	v_cndmask_b32_e32 v20, v36, v20, vcc_lo
	v_cmp_eq_u32_e32 vcc_lo, 3, v0
	v_lshlrev_b32_e32 v27, 2, v20
	ds_bpermute_b32 v20, v27, v9
	ds_bpermute_b32 v21, v27, v10
	;; [unrolled: 1-line block ×12, first 2 shown]
	s_and_b32 exec_lo, exec_lo, vcc_lo
	s_cbranch_execz .LBB35_8
; %bb.24:
	s_wait_dscnt 0x8
	v_add_f64_e32 v[28:29], v[28:29], v[32:33]
	s_wait_dscnt 0x4
	v_add_f64_e32 v[18:19], v[18:19], v[30:31]
	;; [unrolled: 2-line block ×3, first 2 shown]
	v_add_f64_e32 v[9:10], v[9:10], v[20:21]
	v_add_f64_e32 v[11:12], v[11:12], v[22:23]
	v_add_f64_e32 v[20:21], v[13:14], v[24:25]
	v_cmp_eq_f64_e32 vcc_lo, 0, v[1:2]
	v_cmp_eq_f64_e64 s2, 0, v[3:4]
	s_load_b64 s[0:1], s[0:1], 0x60
	v_lshl_add_u32 v17, v17, 1, v17
	v_mul_f64_e64 v[13:14], v[28:29], -v[7:8]
	v_mul_f64_e32 v[22:23], v[5:6], v[28:29]
	v_mul_f64_e64 v[24:25], v[18:19], -v[7:8]
	v_mul_f64_e32 v[18:19], v[5:6], v[18:19]
	;; [unrolled: 2-line block ×3, first 2 shown]
	s_and_b32 s2, vcc_lo, s2
	v_fma_f64 v[13:14], v[5:6], v[9:10], v[13:14]
	v_fma_f64 v[15:16], v[7:8], v[9:10], v[22:23]
	;; [unrolled: 1-line block ×6, first 2 shown]
	v_ashrrev_i32_e32 v18, 31, v17
	s_wait_alu 0xfffe
	s_and_saveexec_b32 s3, s2
	s_wait_alu 0xfffe
	s_xor_b32 s2, exec_lo, s3
	s_cbranch_execz .LBB35_26
; %bb.25:
	v_lshlrev_b64_e32 v[0:1], 4, v[17:18]
                                        ; implicit-def: $vgpr17
	s_wait_kmcnt 0x0
	s_delay_alu instid0(VALU_DEP_1) | instskip(SKIP_1) | instid1(VALU_DEP_2)
	v_add_co_u32 v0, vcc_lo, s0, v0
	s_wait_alu 0xfffd
	v_add_co_ci_u32_e64 v1, null, s1, v1, vcc_lo
	s_clause 0x2
	global_store_b128 v[0:1], v[13:16], off
	global_store_b128 v[0:1], v[9:12], off offset:16
	global_store_b128 v[0:1], v[5:8], off offset:32
                                        ; implicit-def: $vgpr3_vgpr4
                                        ; implicit-def: $vgpr13_vgpr14
                                        ; implicit-def: $vgpr9_vgpr10
                                        ; implicit-def: $vgpr5_vgpr6
.LBB35_26:
	s_wait_alu 0xfffe
	s_and_not1_saveexec_b32 s2, s2
	s_cbranch_execz .LBB35_8
; %bb.27:
	v_lshlrev_b64_e32 v[17:18], 4, v[17:18]
	s_wait_kmcnt 0x0
	s_delay_alu instid0(VALU_DEP_1) | instskip(SKIP_1) | instid1(VALU_DEP_2)
	v_add_co_u32 v29, vcc_lo, s0, v17
	s_wait_alu 0xfffd
	v_add_co_ci_u32_e64 v30, null, s1, v18, vcc_lo
	s_clause 0x2
	global_load_b128 v[17:20], v[29:30], off
	global_load_b128 v[21:24], v[29:30], off offset:16
	global_load_b128 v[25:28], v[29:30], off offset:32
	s_wait_loadcnt 0x2
	v_fma_f64 v[13:14], v[1:2], v[17:18], v[13:14]
	v_fma_f64 v[15:16], v[3:4], v[17:18], v[15:16]
	s_wait_loadcnt 0x1
	v_fma_f64 v[9:10], v[1:2], v[21:22], v[9:10]
	v_fma_f64 v[11:12], v[3:4], v[21:22], v[11:12]
	;; [unrolled: 3-line block ×3, first 2 shown]
	v_fma_f64 v[5:6], -v[3:4], v[19:20], v[13:14]
	v_fma_f64 v[7:8], v[1:2], v[19:20], v[15:16]
	v_fma_f64 v[9:10], -v[3:4], v[23:24], v[9:10]
	v_fma_f64 v[11:12], v[1:2], v[23:24], v[11:12]
	;; [unrolled: 2-line block ×3, first 2 shown]
	s_clause 0x2
	global_store_b128 v[29:30], v[5:8], off
	global_store_b128 v[29:30], v[9:12], off offset:16
	global_store_b128 v[29:30], v[13:16], off offset:32
	s_endpgm
	.section	.rodata,"a",@progbits
	.p2align	6, 0x0
	.amdhsa_kernel _ZN9rocsparseL18bsrxmvn_3x3_kernelILj256ELj4E21rocsparse_complex_numIdEliS2_S2_S2_EEvT3_20rocsparse_direction_NS_24const_host_device_scalarIT1_EES3_PKS3_PKT2_SC_S9_PKT4_PKT5_S7_PT6_21rocsparse_index_base_b
		.amdhsa_group_segment_fixed_size 0
		.amdhsa_private_segment_fixed_size 0
		.amdhsa_kernarg_size 112
		.amdhsa_user_sgpr_count 2
		.amdhsa_user_sgpr_dispatch_ptr 0
		.amdhsa_user_sgpr_queue_ptr 0
		.amdhsa_user_sgpr_kernarg_segment_ptr 1
		.amdhsa_user_sgpr_dispatch_id 0
		.amdhsa_user_sgpr_private_segment_size 0
		.amdhsa_wavefront_size32 1
		.amdhsa_uses_dynamic_stack 0
		.amdhsa_enable_private_segment 0
		.amdhsa_system_sgpr_workgroup_id_x 1
		.amdhsa_system_sgpr_workgroup_id_y 0
		.amdhsa_system_sgpr_workgroup_id_z 0
		.amdhsa_system_sgpr_workgroup_info 0
		.amdhsa_system_vgpr_workitem_id 0
		.amdhsa_next_free_vgpr 82
		.amdhsa_next_free_sgpr 14
		.amdhsa_reserve_vcc 1
		.amdhsa_float_round_mode_32 0
		.amdhsa_float_round_mode_16_64 0
		.amdhsa_float_denorm_mode_32 3
		.amdhsa_float_denorm_mode_16_64 3
		.amdhsa_fp16_overflow 0
		.amdhsa_workgroup_processor_mode 1
		.amdhsa_memory_ordered 1
		.amdhsa_forward_progress 1
		.amdhsa_inst_pref_size 24
		.amdhsa_round_robin_scheduling 0
		.amdhsa_exception_fp_ieee_invalid_op 0
		.amdhsa_exception_fp_denorm_src 0
		.amdhsa_exception_fp_ieee_div_zero 0
		.amdhsa_exception_fp_ieee_overflow 0
		.amdhsa_exception_fp_ieee_underflow 0
		.amdhsa_exception_fp_ieee_inexact 0
		.amdhsa_exception_int_div_zero 0
	.end_amdhsa_kernel
	.section	.text._ZN9rocsparseL18bsrxmvn_3x3_kernelILj256ELj4E21rocsparse_complex_numIdEliS2_S2_S2_EEvT3_20rocsparse_direction_NS_24const_host_device_scalarIT1_EES3_PKS3_PKT2_SC_S9_PKT4_PKT5_S7_PT6_21rocsparse_index_base_b,"axG",@progbits,_ZN9rocsparseL18bsrxmvn_3x3_kernelILj256ELj4E21rocsparse_complex_numIdEliS2_S2_S2_EEvT3_20rocsparse_direction_NS_24const_host_device_scalarIT1_EES3_PKS3_PKT2_SC_S9_PKT4_PKT5_S7_PT6_21rocsparse_index_base_b,comdat
.Lfunc_end35:
	.size	_ZN9rocsparseL18bsrxmvn_3x3_kernelILj256ELj4E21rocsparse_complex_numIdEliS2_S2_S2_EEvT3_20rocsparse_direction_NS_24const_host_device_scalarIT1_EES3_PKS3_PKT2_SC_S9_PKT4_PKT5_S7_PT6_21rocsparse_index_base_b, .Lfunc_end35-_ZN9rocsparseL18bsrxmvn_3x3_kernelILj256ELj4E21rocsparse_complex_numIdEliS2_S2_S2_EEvT3_20rocsparse_direction_NS_24const_host_device_scalarIT1_EES3_PKS3_PKT2_SC_S9_PKT4_PKT5_S7_PT6_21rocsparse_index_base_b
                                        ; -- End function
	.set _ZN9rocsparseL18bsrxmvn_3x3_kernelILj256ELj4E21rocsparse_complex_numIdEliS2_S2_S2_EEvT3_20rocsparse_direction_NS_24const_host_device_scalarIT1_EES3_PKS3_PKT2_SC_S9_PKT4_PKT5_S7_PT6_21rocsparse_index_base_b.num_vgpr, 82
	.set _ZN9rocsparseL18bsrxmvn_3x3_kernelILj256ELj4E21rocsparse_complex_numIdEliS2_S2_S2_EEvT3_20rocsparse_direction_NS_24const_host_device_scalarIT1_EES3_PKS3_PKT2_SC_S9_PKT4_PKT5_S7_PT6_21rocsparse_index_base_b.num_agpr, 0
	.set _ZN9rocsparseL18bsrxmvn_3x3_kernelILj256ELj4E21rocsparse_complex_numIdEliS2_S2_S2_EEvT3_20rocsparse_direction_NS_24const_host_device_scalarIT1_EES3_PKS3_PKT2_SC_S9_PKT4_PKT5_S7_PT6_21rocsparse_index_base_b.numbered_sgpr, 14
	.set _ZN9rocsparseL18bsrxmvn_3x3_kernelILj256ELj4E21rocsparse_complex_numIdEliS2_S2_S2_EEvT3_20rocsparse_direction_NS_24const_host_device_scalarIT1_EES3_PKS3_PKT2_SC_S9_PKT4_PKT5_S7_PT6_21rocsparse_index_base_b.num_named_barrier, 0
	.set _ZN9rocsparseL18bsrxmvn_3x3_kernelILj256ELj4E21rocsparse_complex_numIdEliS2_S2_S2_EEvT3_20rocsparse_direction_NS_24const_host_device_scalarIT1_EES3_PKS3_PKT2_SC_S9_PKT4_PKT5_S7_PT6_21rocsparse_index_base_b.private_seg_size, 0
	.set _ZN9rocsparseL18bsrxmvn_3x3_kernelILj256ELj4E21rocsparse_complex_numIdEliS2_S2_S2_EEvT3_20rocsparse_direction_NS_24const_host_device_scalarIT1_EES3_PKS3_PKT2_SC_S9_PKT4_PKT5_S7_PT6_21rocsparse_index_base_b.uses_vcc, 1
	.set _ZN9rocsparseL18bsrxmvn_3x3_kernelILj256ELj4E21rocsparse_complex_numIdEliS2_S2_S2_EEvT3_20rocsparse_direction_NS_24const_host_device_scalarIT1_EES3_PKS3_PKT2_SC_S9_PKT4_PKT5_S7_PT6_21rocsparse_index_base_b.uses_flat_scratch, 0
	.set _ZN9rocsparseL18bsrxmvn_3x3_kernelILj256ELj4E21rocsparse_complex_numIdEliS2_S2_S2_EEvT3_20rocsparse_direction_NS_24const_host_device_scalarIT1_EES3_PKS3_PKT2_SC_S9_PKT4_PKT5_S7_PT6_21rocsparse_index_base_b.has_dyn_sized_stack, 0
	.set _ZN9rocsparseL18bsrxmvn_3x3_kernelILj256ELj4E21rocsparse_complex_numIdEliS2_S2_S2_EEvT3_20rocsparse_direction_NS_24const_host_device_scalarIT1_EES3_PKS3_PKT2_SC_S9_PKT4_PKT5_S7_PT6_21rocsparse_index_base_b.has_recursion, 0
	.set _ZN9rocsparseL18bsrxmvn_3x3_kernelILj256ELj4E21rocsparse_complex_numIdEliS2_S2_S2_EEvT3_20rocsparse_direction_NS_24const_host_device_scalarIT1_EES3_PKS3_PKT2_SC_S9_PKT4_PKT5_S7_PT6_21rocsparse_index_base_b.has_indirect_call, 0
	.section	.AMDGPU.csdata,"",@progbits
; Kernel info:
; codeLenInByte = 3036
; TotalNumSgprs: 16
; NumVgprs: 82
; ScratchSize: 0
; MemoryBound: 0
; FloatMode: 240
; IeeeMode: 1
; LDSByteSize: 0 bytes/workgroup (compile time only)
; SGPRBlocks: 0
; VGPRBlocks: 10
; NumSGPRsForWavesPerEU: 16
; NumVGPRsForWavesPerEU: 82
; Occupancy: 16
; WaveLimiterHint : 1
; COMPUTE_PGM_RSRC2:SCRATCH_EN: 0
; COMPUTE_PGM_RSRC2:USER_SGPR: 2
; COMPUTE_PGM_RSRC2:TRAP_HANDLER: 0
; COMPUTE_PGM_RSRC2:TGID_X_EN: 1
; COMPUTE_PGM_RSRC2:TGID_Y_EN: 0
; COMPUTE_PGM_RSRC2:TGID_Z_EN: 0
; COMPUTE_PGM_RSRC2:TIDIG_COMP_CNT: 0
	.section	.text._ZN9rocsparseL18bsrxmvn_3x3_kernelILj256ELj8E21rocsparse_complex_numIdEliS2_S2_S2_EEvT3_20rocsparse_direction_NS_24const_host_device_scalarIT1_EES3_PKS3_PKT2_SC_S9_PKT4_PKT5_S7_PT6_21rocsparse_index_base_b,"axG",@progbits,_ZN9rocsparseL18bsrxmvn_3x3_kernelILj256ELj8E21rocsparse_complex_numIdEliS2_S2_S2_EEvT3_20rocsparse_direction_NS_24const_host_device_scalarIT1_EES3_PKS3_PKT2_SC_S9_PKT4_PKT5_S7_PT6_21rocsparse_index_base_b,comdat
	.globl	_ZN9rocsparseL18bsrxmvn_3x3_kernelILj256ELj8E21rocsparse_complex_numIdEliS2_S2_S2_EEvT3_20rocsparse_direction_NS_24const_host_device_scalarIT1_EES3_PKS3_PKT2_SC_S9_PKT4_PKT5_S7_PT6_21rocsparse_index_base_b ; -- Begin function _ZN9rocsparseL18bsrxmvn_3x3_kernelILj256ELj8E21rocsparse_complex_numIdEliS2_S2_S2_EEvT3_20rocsparse_direction_NS_24const_host_device_scalarIT1_EES3_PKS3_PKT2_SC_S9_PKT4_PKT5_S7_PT6_21rocsparse_index_base_b
	.p2align	8
	.type	_ZN9rocsparseL18bsrxmvn_3x3_kernelILj256ELj8E21rocsparse_complex_numIdEliS2_S2_S2_EEvT3_20rocsparse_direction_NS_24const_host_device_scalarIT1_EES3_PKS3_PKT2_SC_S9_PKT4_PKT5_S7_PT6_21rocsparse_index_base_b,@function
_ZN9rocsparseL18bsrxmvn_3x3_kernelILj256ELj8E21rocsparse_complex_numIdEliS2_S2_S2_EEvT3_20rocsparse_direction_NS_24const_host_device_scalarIT1_EES3_PKS3_PKT2_SC_S9_PKT4_PKT5_S7_PT6_21rocsparse_index_base_b: ; @_ZN9rocsparseL18bsrxmvn_3x3_kernelILj256ELj8E21rocsparse_complex_numIdEliS2_S2_S2_EEvT3_20rocsparse_direction_NS_24const_host_device_scalarIT1_EES3_PKS3_PKT2_SC_S9_PKT4_PKT5_S7_PT6_21rocsparse_index_base_b
; %bb.0:
	s_clause 0x1
	s_load_b64 s[12:13], s[0:1], 0x68
	s_load_b64 s[2:3], s[0:1], 0x8
	s_add_nc_u64 s[4:5], s[0:1], 8
	s_load_b64 s[6:7], s[0:1], 0x50
	s_wait_kmcnt 0x0
	s_bitcmp1_b32 s13, 0
	s_cselect_b32 s2, s4, s2
	s_cselect_b32 s3, s5, s3
	s_delay_alu instid0(SALU_CYCLE_1)
	v_dual_mov_b32 v1, s2 :: v_dual_mov_b32 v2, s3
	s_add_nc_u64 s[2:3], s[0:1], 0x50
	s_wait_alu 0xfffe
	s_cselect_b32 s2, s2, s6
	s_cselect_b32 s3, s3, s7
	flat_load_b128 v[5:8], v[1:2]
	s_wait_alu 0xfffe
	v_dual_mov_b32 v1, s2 :: v_dual_mov_b32 v2, s3
	flat_load_b128 v[1:4], v[1:2]
	s_wait_loadcnt_dscnt 0x101
	v_cmp_eq_f64_e32 vcc_lo, 0, v[5:6]
	v_cmp_eq_f64_e64 s2, 0, v[7:8]
	s_and_b32 s4, vcc_lo, s2
	s_mov_b32 s2, -1
	s_and_saveexec_b32 s3, s4
	s_cbranch_execz .LBB36_2
; %bb.1:
	s_wait_loadcnt_dscnt 0x0
	v_cmp_neq_f64_e32 vcc_lo, 1.0, v[1:2]
	v_cmp_neq_f64_e64 s2, 0, v[3:4]
	s_wait_alu 0xfffe
	s_or_b32 s2, vcc_lo, s2
	s_wait_alu 0xfffe
	s_or_not1_b32 s2, s2, exec_lo
.LBB36_2:
	s_wait_alu 0xfffe
	s_or_b32 exec_lo, exec_lo, s3
	s_and_saveexec_b32 s3, s2
	s_cbranch_execz .LBB36_8
; %bb.3:
	s_clause 0x1
	s_load_b64 s[4:5], s[0:1], 0x20
	s_load_b64 s[2:3], s[0:1], 0x0
	v_lshrrev_b32_e32 v9, 3, v0
	s_delay_alu instid0(VALU_DEP_1)
	v_lshl_or_b32 v17, ttmp9, 5, v9
	s_wait_kmcnt 0x0
	s_cmp_lg_u64 s[4:5], 0
	s_cbranch_scc0 .LBB36_9
; %bb.4:
	s_load_b32 s6, s[0:1], 0x18
	s_mov_b32 s7, 0
                                        ; implicit-def: $vgpr9
	s_wait_kmcnt 0x0
	v_cmp_gt_i32_e32 vcc_lo, s6, v17
	s_mov_b32 s6, 0
	s_and_saveexec_b32 s8, vcc_lo
	s_delay_alu instid0(SALU_CYCLE_1)
	s_xor_b32 s8, exec_lo, s8
	s_cbranch_execz .LBB36_6
; %bb.5:
	v_ashrrev_i32_e32 v18, 31, v17
	s_mov_b32 s6, exec_lo
	s_delay_alu instid0(VALU_DEP_1) | instskip(NEXT) | instid1(VALU_DEP_1)
	v_lshlrev_b64_e32 v[9:10], 2, v[17:18]
	v_add_co_u32 v9, vcc_lo, s4, v9
	s_delay_alu instid0(VALU_DEP_1)
	v_add_co_ci_u32_e64 v10, null, s5, v10, vcc_lo
	global_load_b32 v9, v[9:10], off
	s_wait_loadcnt 0x0
	v_subrev_nc_u32_e32 v9, s12, v9
.LBB36_6:
	s_or_b32 exec_lo, exec_lo, s8
	s_delay_alu instid0(SALU_CYCLE_1)
	s_and_b32 vcc_lo, exec_lo, s7
	s_wait_alu 0xfffe
	s_cbranch_vccz .LBB36_10
.LBB36_7:
	v_cmp_gt_i32_e32 vcc_lo, s2, v17
	s_and_not1_b32 s2, s6, exec_lo
	s_and_b32 s4, vcc_lo, exec_lo
	s_wait_alu 0xfffe
	s_or_b32 s6, s2, s4
	s_wait_alu 0xfffe
	s_and_b32 exec_lo, exec_lo, s6
	s_cbranch_execnz .LBB36_11
.LBB36_8:
	s_endpgm
.LBB36_9:
	s_mov_b32 s6, 0
                                        ; implicit-def: $vgpr9
	s_cbranch_execnz .LBB36_7
.LBB36_10:
	v_mov_b32_e32 v17, v9
	s_and_b32 exec_lo, exec_lo, s6
	s_cbranch_execz .LBB36_8
.LBB36_11:
	s_load_b256 s[4:11], s[0:1], 0x28
	s_delay_alu instid0(VALU_DEP_1) | instskip(SKIP_1) | instid1(VALU_DEP_2)
	v_ashrrev_i32_e32 v18, 31, v17
	v_and_b32_e32 v0, 7, v0
	v_lshlrev_b64_e32 v[9:10], 3, v[17:18]
	s_wait_kmcnt 0x0
	s_delay_alu instid0(VALU_DEP_1) | instskip(SKIP_1) | instid1(VALU_DEP_2)
	v_add_co_u32 v11, vcc_lo, s4, v9
	s_wait_alu 0xfffd
	v_add_co_ci_u32_e64 v12, null, s5, v10, vcc_lo
	v_add_co_u32 v9, vcc_lo, s6, v9
	s_wait_alu 0xfffd
	v_add_co_ci_u32_e64 v10, null, s7, v10, vcc_lo
	global_load_b64 v[13:14], v[11:12], off
	v_add_co_u32 v11, vcc_lo, v11, 8
	s_wait_alu 0xfffd
	v_add_co_ci_u32_e64 v12, null, 0, v12, vcc_lo
	s_cmp_eq_u64 s[6:7], 0
	s_load_b64 s[4:5], s[0:1], 0x48
	s_cselect_b32 vcc_lo, -1, 0
	s_cmp_eq_u32 s3, 1
	s_wait_alu 0xfffe
	v_dual_cndmask_b32 v10, v10, v12 :: v_dual_cndmask_b32 v9, v9, v11
	global_load_b64 v[9:10], v[9:10], off
	s_wait_loadcnt 0x1
	v_sub_co_u32 v11, vcc_lo, v13, s12
	s_wait_alu 0xfffd
	v_subrev_co_ci_u32_e64 v12, null, 0, v14, vcc_lo
	s_delay_alu instid0(VALU_DEP_2) | instskip(SKIP_1) | instid1(VALU_DEP_2)
	v_add_co_u32 v11, vcc_lo, v11, v0
	s_wait_alu 0xfffd
	v_add_co_ci_u32_e64 v12, null, 0, v12, vcc_lo
	s_delay_alu instid0(VALU_DEP_2) | instskip(NEXT) | instid1(VALU_DEP_1)
	v_mad_co_u64_u32 v[13:14], null, 0x90, v11, s[10:11]
	v_mad_co_u64_u32 v[14:15], null, 0x90, v12, v[14:15]
	s_wait_loadcnt 0x0
	v_sub_co_u32 v15, vcc_lo, v9, s12
	s_wait_alu 0xfffd
	v_subrev_co_ci_u32_e64 v16, null, 0, v10, vcc_lo
	s_delay_alu instid0(VALU_DEP_1)
	v_cmp_lt_i64_e64 s2, v[11:12], v[15:16]
	s_cbranch_scc1 .LBB36_17
; %bb.12:
	v_mov_b32_e32 v20, 0
	v_dual_mov_b32 v24, 0 :: v_dual_mov_b32 v9, 0
	v_dual_mov_b32 v18, 0 :: v_dual_mov_b32 v21, 0
	;; [unrolled: 1-line block ×3, first 2 shown]
	v_mov_b32_e32 v26, 0
	v_dual_mov_b32 v10, 0 :: v_dual_mov_b32 v19, 0
	v_mov_b32_e32 v23, 0
	v_mov_b32_e32 v27, 0
	s_and_saveexec_b32 s6, s2
	s_cbranch_execz .LBB36_16
; %bb.13:
	v_lshlrev_b64_e32 v[18:19], 2, v[11:12]
	v_dual_mov_b32 v9, 0 :: v_dual_mov_b32 v22, 0
	v_dual_mov_b32 v10, 0 :: v_dual_mov_b32 v29, v12
	;; [unrolled: 1-line block ×3, first 2 shown]
	s_delay_alu instid0(VALU_DEP_4)
	v_add_co_u32 v30, vcc_lo, s8, v18
	s_wait_alu 0xfffd
	v_add_co_ci_u32_e64 v31, null, s9, v19, vcc_lo
	v_mov_b32_e32 v18, 0
	v_dual_mov_b32 v19, 0 :: v_dual_mov_b32 v20, 0
	v_dual_mov_b32 v26, 0 :: v_dual_mov_b32 v33, v14
	v_dual_mov_b32 v28, v11 :: v_dual_mov_b32 v21, 0
	v_mov_b32_e32 v25, 0
	v_dual_mov_b32 v27, 0 :: v_dual_mov_b32 v32, v13
	s_mov_b32 s7, 0
.LBB36_14:                              ; =>This Inner Loop Header: Depth=1
	global_load_b32 v54, v[30:31], off
	s_clause 0x4
	global_load_b128 v[34:37], v[32:33], off offset:48
	global_load_b128 v[38:41], v[32:33], off offset:16
	global_load_b128 v[42:45], v[32:33], off
	global_load_b128 v[46:49], v[32:33], off offset:112
	global_load_b128 v[50:53], v[32:33], off offset:96
	v_add_co_u32 v30, s3, v30, 32
	s_wait_alu 0xf1ff
	v_add_co_ci_u32_e64 v31, null, 0, v31, s3
	s_wait_loadcnt 0x5
	v_subrev_nc_u32_e32 v54, s12, v54
	s_delay_alu instid0(VALU_DEP_1) | instskip(NEXT) | instid1(VALU_DEP_1)
	v_lshl_add_u32 v54, v54, 1, v54
	v_ashrrev_i32_e32 v55, 31, v54
	s_delay_alu instid0(VALU_DEP_1) | instskip(SKIP_1) | instid1(VALU_DEP_1)
	v_lshlrev_b64_e32 v[54:55], 4, v[54:55]
	s_wait_kmcnt 0x0
	v_add_co_u32 v78, vcc_lo, s4, v54
	s_wait_alu 0xfffd
	s_delay_alu instid0(VALU_DEP_2)
	v_add_co_ci_u32_e64 v79, null, s5, v55, vcc_lo
	v_add_co_u32 v28, vcc_lo, v28, 8
	s_wait_alu 0xfffd
	v_add_co_ci_u32_e64 v29, null, 0, v29, vcc_lo
	s_clause 0x1
	global_load_b128 v[54:57], v[78:79], off
	global_load_b128 v[58:61], v[78:79], off offset:16
	s_clause 0x3
	global_load_b128 v[62:65], v[32:33], off offset:64
	global_load_b128 v[66:69], v[32:33], off offset:80
	global_load_b128 v[70:73], v[32:33], off offset:32
	global_load_b128 v[74:77], v[32:33], off offset:128
	global_load_b128 v[78:81], v[78:79], off offset:32
	v_add_co_u32 v32, vcc_lo, 0x480, v32
	s_wait_alu 0xfffd
	v_add_co_ci_u32_e64 v33, null, 0, v33, vcc_lo
	v_cmp_ge_i64_e32 vcc_lo, v[28:29], v[15:16]
	s_wait_alu 0xfffe
	s_or_b32 s7, vcc_lo, s7
	s_wait_loadcnt 0x6
	v_fma_f64 v[18:19], v[42:43], v[54:55], v[18:19]
	v_fma_f64 v[9:10], v[44:45], v[54:55], v[9:10]
	;; [unrolled: 1-line block ×6, first 2 shown]
	v_fma_f64 v[18:19], -v[44:45], v[56:57], v[18:19]
	v_fma_f64 v[9:10], v[42:43], v[56:57], v[9:10]
	v_fma_f64 v[24:25], -v[36:37], v[56:57], v[24:25]
	v_fma_f64 v[26:27], v[34:35], v[56:57], v[26:27]
	;; [unrolled: 2-line block ×3, first 2 shown]
	s_wait_loadcnt 0x5
	v_fma_f64 v[18:19], v[38:39], v[58:59], v[18:19]
	v_fma_f64 v[9:10], v[40:41], v[58:59], v[9:10]
	s_wait_loadcnt 0x4
	v_fma_f64 v[24:25], v[62:63], v[58:59], v[24:25]
	v_fma_f64 v[26:27], v[64:65], v[58:59], v[26:27]
	;; [unrolled: 1-line block ×4, first 2 shown]
	v_fma_f64 v[18:19], -v[40:41], v[60:61], v[18:19]
	v_fma_f64 v[9:10], v[38:39], v[60:61], v[9:10]
	v_fma_f64 v[24:25], -v[64:65], v[60:61], v[24:25]
	v_fma_f64 v[26:27], v[62:63], v[60:61], v[26:27]
	;; [unrolled: 2-line block ×3, first 2 shown]
	s_wait_loadcnt 0x0
	v_fma_f64 v[18:19], v[70:71], v[78:79], v[18:19]
	v_fma_f64 v[9:10], v[72:73], v[78:79], v[9:10]
	;; [unrolled: 1-line block ×6, first 2 shown]
	v_fma_f64 v[18:19], -v[72:73], v[80:81], v[18:19]
	v_fma_f64 v[9:10], v[70:71], v[80:81], v[9:10]
	v_fma_f64 v[24:25], -v[68:69], v[80:81], v[24:25]
	v_fma_f64 v[26:27], v[66:67], v[80:81], v[26:27]
	;; [unrolled: 2-line block ×3, first 2 shown]
	s_wait_alu 0xfffe
	s_and_not1_b32 exec_lo, exec_lo, s7
	s_cbranch_execnz .LBB36_14
; %bb.15:
	s_or_b32 exec_lo, exec_lo, s7
.LBB36_16:
	s_wait_alu 0xfffe
	s_or_b32 exec_lo, exec_lo, s6
	s_cbranch_execz .LBB36_18
	s_branch .LBB36_23
.LBB36_17:
                                        ; implicit-def: $vgpr9_vgpr10
                                        ; implicit-def: $vgpr18_vgpr19
                                        ; implicit-def: $vgpr20_vgpr21
                                        ; implicit-def: $vgpr22_vgpr23
                                        ; implicit-def: $vgpr24_vgpr25
                                        ; implicit-def: $vgpr26_vgpr27
.LBB36_18:
	v_mov_b32_e32 v20, 0
	v_dual_mov_b32 v24, 0 :: v_dual_mov_b32 v9, 0
	v_dual_mov_b32 v18, 0 :: v_dual_mov_b32 v21, 0
	;; [unrolled: 1-line block ×3, first 2 shown]
	v_mov_b32_e32 v26, 0
	v_dual_mov_b32 v10, 0 :: v_dual_mov_b32 v19, 0
	v_mov_b32_e32 v23, 0
	v_mov_b32_e32 v27, 0
	s_and_saveexec_b32 s3, s2
	s_cbranch_execz .LBB36_22
; %bb.19:
	v_lshlrev_b64_e32 v[28:29], 2, v[11:12]
	v_mov_b32_e32 v20, 0
	v_dual_mov_b32 v24, 0 :: v_dual_mov_b32 v9, 0
	v_dual_mov_b32 v18, 0 :: v_dual_mov_b32 v21, 0
	v_mov_b32_e32 v22, 0
	v_add_co_u32 v28, vcc_lo, s8, v28
	v_dual_mov_b32 v25, 0 :: v_dual_mov_b32 v26, 0
	v_dual_mov_b32 v10, 0 :: v_dual_mov_b32 v19, 0
	v_mov_b32_e32 v23, 0
	v_mov_b32_e32 v27, 0
	s_wait_alu 0xfffd
	v_add_co_ci_u32_e64 v29, null, s9, v29, vcc_lo
	s_mov_b32 s6, 0
.LBB36_20:                              ; =>This Inner Loop Header: Depth=1
	global_load_b32 v46, v[28:29], off
	s_clause 0x3
	global_load_b128 v[30:33], v[13:14], off offset:48
	global_load_b128 v[34:37], v[13:14], off offset:32
	;; [unrolled: 1-line block ×3, first 2 shown]
	global_load_b128 v[42:45], v[13:14], off
	v_add_co_u32 v28, s2, v28, 32
	s_wait_alu 0xf1ff
	v_add_co_ci_u32_e64 v29, null, 0, v29, s2
	s_wait_loadcnt 0x4
	v_subrev_nc_u32_e32 v46, s12, v46
	s_delay_alu instid0(VALU_DEP_1) | instskip(NEXT) | instid1(VALU_DEP_1)
	v_lshl_add_u32 v46, v46, 1, v46
	v_ashrrev_i32_e32 v47, 31, v46
	s_delay_alu instid0(VALU_DEP_1) | instskip(SKIP_1) | instid1(VALU_DEP_1)
	v_lshlrev_b64_e32 v[46:47], 4, v[46:47]
	s_wait_kmcnt 0x0
	v_add_co_u32 v74, vcc_lo, s4, v46
	s_wait_alu 0xfffd
	s_delay_alu instid0(VALU_DEP_2)
	v_add_co_ci_u32_e64 v75, null, s5, v47, vcc_lo
	v_add_co_u32 v11, vcc_lo, v11, 8
	s_wait_alu 0xfffd
	v_add_co_ci_u32_e64 v12, null, 0, v12, vcc_lo
	s_clause 0x1
	global_load_b128 v[46:49], v[74:75], off
	global_load_b128 v[50:53], v[74:75], off offset:16
	s_clause 0x4
	global_load_b128 v[54:57], v[13:14], off offset:64
	global_load_b128 v[58:61], v[13:14], off offset:80
	;; [unrolled: 1-line block ×6, first 2 shown]
	v_add_co_u32 v13, vcc_lo, 0x480, v13
	s_wait_alu 0xfffd
	v_add_co_ci_u32_e64 v14, null, 0, v14, vcc_lo
	v_cmp_ge_i64_e32 vcc_lo, v[11:12], v[15:16]
	s_wait_alu 0xfffe
	s_or_b32 s6, vcc_lo, s6
	s_wait_loadcnt 0x7
	v_fma_f64 v[18:19], v[42:43], v[46:47], v[18:19]
	v_fma_f64 v[9:10], v[44:45], v[46:47], v[9:10]
	;; [unrolled: 1-line block ×6, first 2 shown]
	v_fma_f64 v[18:19], -v[44:45], v[48:49], v[18:19]
	v_fma_f64 v[9:10], v[42:43], v[48:49], v[9:10]
	v_fma_f64 v[24:25], -v[40:41], v[48:49], v[24:25]
	v_fma_f64 v[26:27], v[38:39], v[48:49], v[26:27]
	;; [unrolled: 2-line block ×3, first 2 shown]
	s_wait_loadcnt 0x6
	v_fma_f64 v[18:19], v[30:31], v[50:51], v[18:19]
	v_fma_f64 v[9:10], v[32:33], v[50:51], v[9:10]
	s_wait_loadcnt 0x5
	v_fma_f64 v[24:25], v[54:55], v[50:51], v[24:25]
	v_fma_f64 v[26:27], v[56:57], v[50:51], v[26:27]
	;; [unrolled: 3-line block ×3, first 2 shown]
	v_fma_f64 v[18:19], -v[32:33], v[52:53], v[18:19]
	v_fma_f64 v[9:10], v[30:31], v[52:53], v[9:10]
	v_fma_f64 v[24:25], -v[56:57], v[52:53], v[24:25]
	v_fma_f64 v[26:27], v[54:55], v[52:53], v[26:27]
	;; [unrolled: 2-line block ×3, first 2 shown]
	s_wait_loadcnt 0x0
	v_fma_f64 v[18:19], v[66:67], v[74:75], v[18:19]
	v_fma_f64 v[9:10], v[68:69], v[74:75], v[9:10]
	;; [unrolled: 1-line block ×6, first 2 shown]
	v_fma_f64 v[18:19], -v[68:69], v[76:77], v[18:19]
	v_fma_f64 v[9:10], v[66:67], v[76:77], v[9:10]
	v_fma_f64 v[24:25], -v[64:65], v[76:77], v[24:25]
	v_fma_f64 v[26:27], v[62:63], v[76:77], v[26:27]
	;; [unrolled: 2-line block ×3, first 2 shown]
	s_wait_alu 0xfffe
	s_and_not1_b32 exec_lo, exec_lo, s6
	s_cbranch_execnz .LBB36_20
; %bb.21:
	s_or_b32 exec_lo, exec_lo, s6
.LBB36_22:
	s_wait_alu 0xfffe
	s_or_b32 exec_lo, exec_lo, s3
.LBB36_23:
	v_mbcnt_lo_u32_b32 v34, -1, 0
	s_delay_alu instid0(VALU_DEP_1) | instskip(NEXT) | instid1(VALU_DEP_1)
	v_xor_b32_e32 v11, 4, v34
	v_cmp_gt_i32_e32 vcc_lo, 32, v11
	s_wait_alu 0xfffd
	v_cndmask_b32_e32 v11, v34, v11, vcc_lo
	s_delay_alu instid0(VALU_DEP_1)
	v_lshlrev_b32_e32 v33, 2, v11
	ds_bpermute_b32 v11, v33, v18
	ds_bpermute_b32 v12, v33, v19
	ds_bpermute_b32 v13, v33, v9
	ds_bpermute_b32 v14, v33, v10
	ds_bpermute_b32 v15, v33, v24
	ds_bpermute_b32 v16, v33, v25
	ds_bpermute_b32 v28, v33, v26
	ds_bpermute_b32 v29, v33, v27
	ds_bpermute_b32 v30, v33, v20
	ds_bpermute_b32 v31, v33, v21
	ds_bpermute_b32 v32, v33, v22
	ds_bpermute_b32 v33, v33, v23
	s_wait_dscnt 0xa
	v_add_f64_e32 v[11:12], v[18:19], v[11:12]
	s_wait_dscnt 0x8
	v_add_f64_e32 v[13:14], v[9:10], v[13:14]
	v_xor_b32_e32 v9, 2, v34
	s_wait_dscnt 0x6
	v_add_f64_e32 v[15:16], v[24:25], v[15:16]
	s_wait_dscnt 0x4
	v_add_f64_e32 v[18:19], v[26:27], v[28:29]
	;; [unrolled: 2-line block ×3, first 2 shown]
	v_cmp_gt_i32_e32 vcc_lo, 32, v9
	s_wait_dscnt 0x0
	v_add_f64_e32 v[24:25], v[22:23], v[32:33]
	s_wait_alu 0xfffd
	v_cndmask_b32_e32 v9, v34, v9, vcc_lo
	s_delay_alu instid0(VALU_DEP_1)
	v_lshlrev_b32_e32 v33, 2, v9
	ds_bpermute_b32 v9, v33, v11
	ds_bpermute_b32 v10, v33, v12
	;; [unrolled: 1-line block ×12, first 2 shown]
	s_wait_dscnt 0xa
	v_add_f64_e32 v[9:10], v[11:12], v[9:10]
	s_wait_dscnt 0x8
	v_add_f64_e32 v[22:23], v[13:14], v[22:23]
	;; [unrolled: 2-line block ×5, first 2 shown]
	v_xor_b32_e32 v20, 1, v34
	s_wait_dscnt 0x0
	v_add_f64_e32 v[15:16], v[24:25], v[32:33]
	s_delay_alu instid0(VALU_DEP_2) | instskip(SKIP_3) | instid1(VALU_DEP_2)
	v_cmp_gt_i32_e32 vcc_lo, 32, v20
	s_wait_alu 0xfffd
	v_cndmask_b32_e32 v20, v34, v20, vcc_lo
	v_cmp_eq_u32_e32 vcc_lo, 7, v0
	v_lshlrev_b32_e32 v29, 2, v20
	ds_bpermute_b32 v20, v29, v9
	ds_bpermute_b32 v21, v29, v10
	;; [unrolled: 1-line block ×12, first 2 shown]
	s_and_b32 exec_lo, exec_lo, vcc_lo
	s_cbranch_execz .LBB36_8
; %bb.24:
	s_wait_dscnt 0x8
	v_add_f64_e32 v[22:23], v[22:23], v[32:33]
	s_wait_dscnt 0x4
	v_add_f64_e32 v[18:19], v[18:19], v[30:31]
	;; [unrolled: 2-line block ×3, first 2 shown]
	v_add_f64_e32 v[9:10], v[9:10], v[20:21]
	v_add_f64_e32 v[11:12], v[11:12], v[24:25]
	;; [unrolled: 1-line block ×3, first 2 shown]
	v_cmp_eq_f64_e32 vcc_lo, 0, v[1:2]
	v_cmp_eq_f64_e64 s2, 0, v[3:4]
	s_load_b64 s[0:1], s[0:1], 0x60
	v_lshl_add_u32 v17, v17, 1, v17
	v_mul_f64_e64 v[13:14], v[22:23], -v[7:8]
	v_mul_f64_e32 v[22:23], v[5:6], v[22:23]
	v_mul_f64_e64 v[24:25], v[18:19], -v[7:8]
	v_mul_f64_e32 v[18:19], v[5:6], v[18:19]
	v_mul_f64_e64 v[26:27], v[15:16], -v[7:8]
	v_mul_f64_e32 v[28:29], v[5:6], v[15:16]
	s_and_b32 s2, vcc_lo, s2
	v_fma_f64 v[13:14], v[5:6], v[9:10], v[13:14]
	v_fma_f64 v[15:16], v[7:8], v[9:10], v[22:23]
	;; [unrolled: 1-line block ×6, first 2 shown]
	v_ashrrev_i32_e32 v18, 31, v17
	s_wait_alu 0xfffe
	s_and_saveexec_b32 s3, s2
	s_wait_alu 0xfffe
	s_xor_b32 s2, exec_lo, s3
	s_cbranch_execz .LBB36_26
; %bb.25:
	v_lshlrev_b64_e32 v[0:1], 4, v[17:18]
                                        ; implicit-def: $vgpr17
	s_wait_kmcnt 0x0
	s_delay_alu instid0(VALU_DEP_1) | instskip(SKIP_1) | instid1(VALU_DEP_2)
	v_add_co_u32 v0, vcc_lo, s0, v0
	s_wait_alu 0xfffd
	v_add_co_ci_u32_e64 v1, null, s1, v1, vcc_lo
	s_clause 0x2
	global_store_b128 v[0:1], v[13:16], off
	global_store_b128 v[0:1], v[9:12], off offset:16
	global_store_b128 v[0:1], v[5:8], off offset:32
                                        ; implicit-def: $vgpr3_vgpr4
                                        ; implicit-def: $vgpr13_vgpr14
                                        ; implicit-def: $vgpr9_vgpr10
                                        ; implicit-def: $vgpr5_vgpr6
.LBB36_26:
	s_wait_alu 0xfffe
	s_and_not1_saveexec_b32 s2, s2
	s_cbranch_execz .LBB36_8
; %bb.27:
	v_lshlrev_b64_e32 v[17:18], 4, v[17:18]
	s_wait_kmcnt 0x0
	s_delay_alu instid0(VALU_DEP_1) | instskip(SKIP_1) | instid1(VALU_DEP_2)
	v_add_co_u32 v29, vcc_lo, s0, v17
	s_wait_alu 0xfffd
	v_add_co_ci_u32_e64 v30, null, s1, v18, vcc_lo
	s_clause 0x2
	global_load_b128 v[17:20], v[29:30], off
	global_load_b128 v[21:24], v[29:30], off offset:16
	global_load_b128 v[25:28], v[29:30], off offset:32
	s_wait_loadcnt 0x2
	v_fma_f64 v[13:14], v[1:2], v[17:18], v[13:14]
	v_fma_f64 v[15:16], v[3:4], v[17:18], v[15:16]
	s_wait_loadcnt 0x1
	v_fma_f64 v[9:10], v[1:2], v[21:22], v[9:10]
	v_fma_f64 v[11:12], v[3:4], v[21:22], v[11:12]
	;; [unrolled: 3-line block ×3, first 2 shown]
	v_fma_f64 v[5:6], -v[3:4], v[19:20], v[13:14]
	v_fma_f64 v[7:8], v[1:2], v[19:20], v[15:16]
	v_fma_f64 v[9:10], -v[3:4], v[23:24], v[9:10]
	v_fma_f64 v[11:12], v[1:2], v[23:24], v[11:12]
	;; [unrolled: 2-line block ×3, first 2 shown]
	s_clause 0x2
	global_store_b128 v[29:30], v[5:8], off
	global_store_b128 v[29:30], v[9:12], off offset:16
	global_store_b128 v[29:30], v[13:16], off offset:32
	s_endpgm
	.section	.rodata,"a",@progbits
	.p2align	6, 0x0
	.amdhsa_kernel _ZN9rocsparseL18bsrxmvn_3x3_kernelILj256ELj8E21rocsparse_complex_numIdEliS2_S2_S2_EEvT3_20rocsparse_direction_NS_24const_host_device_scalarIT1_EES3_PKS3_PKT2_SC_S9_PKT4_PKT5_S7_PT6_21rocsparse_index_base_b
		.amdhsa_group_segment_fixed_size 0
		.amdhsa_private_segment_fixed_size 0
		.amdhsa_kernarg_size 112
		.amdhsa_user_sgpr_count 2
		.amdhsa_user_sgpr_dispatch_ptr 0
		.amdhsa_user_sgpr_queue_ptr 0
		.amdhsa_user_sgpr_kernarg_segment_ptr 1
		.amdhsa_user_sgpr_dispatch_id 0
		.amdhsa_user_sgpr_private_segment_size 0
		.amdhsa_wavefront_size32 1
		.amdhsa_uses_dynamic_stack 0
		.amdhsa_enable_private_segment 0
		.amdhsa_system_sgpr_workgroup_id_x 1
		.amdhsa_system_sgpr_workgroup_id_y 0
		.amdhsa_system_sgpr_workgroup_id_z 0
		.amdhsa_system_sgpr_workgroup_info 0
		.amdhsa_system_vgpr_workitem_id 0
		.amdhsa_next_free_vgpr 82
		.amdhsa_next_free_sgpr 14
		.amdhsa_reserve_vcc 1
		.amdhsa_float_round_mode_32 0
		.amdhsa_float_round_mode_16_64 0
		.amdhsa_float_denorm_mode_32 3
		.amdhsa_float_denorm_mode_16_64 3
		.amdhsa_fp16_overflow 0
		.amdhsa_workgroup_processor_mode 1
		.amdhsa_memory_ordered 1
		.amdhsa_forward_progress 1
		.amdhsa_inst_pref_size 26
		.amdhsa_round_robin_scheduling 0
		.amdhsa_exception_fp_ieee_invalid_op 0
		.amdhsa_exception_fp_denorm_src 0
		.amdhsa_exception_fp_ieee_div_zero 0
		.amdhsa_exception_fp_ieee_overflow 0
		.amdhsa_exception_fp_ieee_underflow 0
		.amdhsa_exception_fp_ieee_inexact 0
		.amdhsa_exception_int_div_zero 0
	.end_amdhsa_kernel
	.section	.text._ZN9rocsparseL18bsrxmvn_3x3_kernelILj256ELj8E21rocsparse_complex_numIdEliS2_S2_S2_EEvT3_20rocsparse_direction_NS_24const_host_device_scalarIT1_EES3_PKS3_PKT2_SC_S9_PKT4_PKT5_S7_PT6_21rocsparse_index_base_b,"axG",@progbits,_ZN9rocsparseL18bsrxmvn_3x3_kernelILj256ELj8E21rocsparse_complex_numIdEliS2_S2_S2_EEvT3_20rocsparse_direction_NS_24const_host_device_scalarIT1_EES3_PKS3_PKT2_SC_S9_PKT4_PKT5_S7_PT6_21rocsparse_index_base_b,comdat
.Lfunc_end36:
	.size	_ZN9rocsparseL18bsrxmvn_3x3_kernelILj256ELj8E21rocsparse_complex_numIdEliS2_S2_S2_EEvT3_20rocsparse_direction_NS_24const_host_device_scalarIT1_EES3_PKS3_PKT2_SC_S9_PKT4_PKT5_S7_PT6_21rocsparse_index_base_b, .Lfunc_end36-_ZN9rocsparseL18bsrxmvn_3x3_kernelILj256ELj8E21rocsparse_complex_numIdEliS2_S2_S2_EEvT3_20rocsparse_direction_NS_24const_host_device_scalarIT1_EES3_PKS3_PKT2_SC_S9_PKT4_PKT5_S7_PT6_21rocsparse_index_base_b
                                        ; -- End function
	.set _ZN9rocsparseL18bsrxmvn_3x3_kernelILj256ELj8E21rocsparse_complex_numIdEliS2_S2_S2_EEvT3_20rocsparse_direction_NS_24const_host_device_scalarIT1_EES3_PKS3_PKT2_SC_S9_PKT4_PKT5_S7_PT6_21rocsparse_index_base_b.num_vgpr, 82
	.set _ZN9rocsparseL18bsrxmvn_3x3_kernelILj256ELj8E21rocsparse_complex_numIdEliS2_S2_S2_EEvT3_20rocsparse_direction_NS_24const_host_device_scalarIT1_EES3_PKS3_PKT2_SC_S9_PKT4_PKT5_S7_PT6_21rocsparse_index_base_b.num_agpr, 0
	.set _ZN9rocsparseL18bsrxmvn_3x3_kernelILj256ELj8E21rocsparse_complex_numIdEliS2_S2_S2_EEvT3_20rocsparse_direction_NS_24const_host_device_scalarIT1_EES3_PKS3_PKT2_SC_S9_PKT4_PKT5_S7_PT6_21rocsparse_index_base_b.numbered_sgpr, 14
	.set _ZN9rocsparseL18bsrxmvn_3x3_kernelILj256ELj8E21rocsparse_complex_numIdEliS2_S2_S2_EEvT3_20rocsparse_direction_NS_24const_host_device_scalarIT1_EES3_PKS3_PKT2_SC_S9_PKT4_PKT5_S7_PT6_21rocsparse_index_base_b.num_named_barrier, 0
	.set _ZN9rocsparseL18bsrxmvn_3x3_kernelILj256ELj8E21rocsparse_complex_numIdEliS2_S2_S2_EEvT3_20rocsparse_direction_NS_24const_host_device_scalarIT1_EES3_PKS3_PKT2_SC_S9_PKT4_PKT5_S7_PT6_21rocsparse_index_base_b.private_seg_size, 0
	.set _ZN9rocsparseL18bsrxmvn_3x3_kernelILj256ELj8E21rocsparse_complex_numIdEliS2_S2_S2_EEvT3_20rocsparse_direction_NS_24const_host_device_scalarIT1_EES3_PKS3_PKT2_SC_S9_PKT4_PKT5_S7_PT6_21rocsparse_index_base_b.uses_vcc, 1
	.set _ZN9rocsparseL18bsrxmvn_3x3_kernelILj256ELj8E21rocsparse_complex_numIdEliS2_S2_S2_EEvT3_20rocsparse_direction_NS_24const_host_device_scalarIT1_EES3_PKS3_PKT2_SC_S9_PKT4_PKT5_S7_PT6_21rocsparse_index_base_b.uses_flat_scratch, 0
	.set _ZN9rocsparseL18bsrxmvn_3x3_kernelILj256ELj8E21rocsparse_complex_numIdEliS2_S2_S2_EEvT3_20rocsparse_direction_NS_24const_host_device_scalarIT1_EES3_PKS3_PKT2_SC_S9_PKT4_PKT5_S7_PT6_21rocsparse_index_base_b.has_dyn_sized_stack, 0
	.set _ZN9rocsparseL18bsrxmvn_3x3_kernelILj256ELj8E21rocsparse_complex_numIdEliS2_S2_S2_EEvT3_20rocsparse_direction_NS_24const_host_device_scalarIT1_EES3_PKS3_PKT2_SC_S9_PKT4_PKT5_S7_PT6_21rocsparse_index_base_b.has_recursion, 0
	.set _ZN9rocsparseL18bsrxmvn_3x3_kernelILj256ELj8E21rocsparse_complex_numIdEliS2_S2_S2_EEvT3_20rocsparse_direction_NS_24const_host_device_scalarIT1_EES3_PKS3_PKT2_SC_S9_PKT4_PKT5_S7_PT6_21rocsparse_index_base_b.has_indirect_call, 0
	.section	.AMDGPU.csdata,"",@progbits
; Kernel info:
; codeLenInByte = 3204
; TotalNumSgprs: 16
; NumVgprs: 82
; ScratchSize: 0
; MemoryBound: 0
; FloatMode: 240
; IeeeMode: 1
; LDSByteSize: 0 bytes/workgroup (compile time only)
; SGPRBlocks: 0
; VGPRBlocks: 10
; NumSGPRsForWavesPerEU: 16
; NumVGPRsForWavesPerEU: 82
; Occupancy: 16
; WaveLimiterHint : 1
; COMPUTE_PGM_RSRC2:SCRATCH_EN: 0
; COMPUTE_PGM_RSRC2:USER_SGPR: 2
; COMPUTE_PGM_RSRC2:TRAP_HANDLER: 0
; COMPUTE_PGM_RSRC2:TGID_X_EN: 1
; COMPUTE_PGM_RSRC2:TGID_Y_EN: 0
; COMPUTE_PGM_RSRC2:TGID_Z_EN: 0
; COMPUTE_PGM_RSRC2:TIDIG_COMP_CNT: 0
	.section	.text._ZN9rocsparseL18bsrxmvn_3x3_kernelILj256ELj16E21rocsparse_complex_numIdEliS2_S2_S2_EEvT3_20rocsparse_direction_NS_24const_host_device_scalarIT1_EES3_PKS3_PKT2_SC_S9_PKT4_PKT5_S7_PT6_21rocsparse_index_base_b,"axG",@progbits,_ZN9rocsparseL18bsrxmvn_3x3_kernelILj256ELj16E21rocsparse_complex_numIdEliS2_S2_S2_EEvT3_20rocsparse_direction_NS_24const_host_device_scalarIT1_EES3_PKS3_PKT2_SC_S9_PKT4_PKT5_S7_PT6_21rocsparse_index_base_b,comdat
	.globl	_ZN9rocsparseL18bsrxmvn_3x3_kernelILj256ELj16E21rocsparse_complex_numIdEliS2_S2_S2_EEvT3_20rocsparse_direction_NS_24const_host_device_scalarIT1_EES3_PKS3_PKT2_SC_S9_PKT4_PKT5_S7_PT6_21rocsparse_index_base_b ; -- Begin function _ZN9rocsparseL18bsrxmvn_3x3_kernelILj256ELj16E21rocsparse_complex_numIdEliS2_S2_S2_EEvT3_20rocsparse_direction_NS_24const_host_device_scalarIT1_EES3_PKS3_PKT2_SC_S9_PKT4_PKT5_S7_PT6_21rocsparse_index_base_b
	.p2align	8
	.type	_ZN9rocsparseL18bsrxmvn_3x3_kernelILj256ELj16E21rocsparse_complex_numIdEliS2_S2_S2_EEvT3_20rocsparse_direction_NS_24const_host_device_scalarIT1_EES3_PKS3_PKT2_SC_S9_PKT4_PKT5_S7_PT6_21rocsparse_index_base_b,@function
_ZN9rocsparseL18bsrxmvn_3x3_kernelILj256ELj16E21rocsparse_complex_numIdEliS2_S2_S2_EEvT3_20rocsparse_direction_NS_24const_host_device_scalarIT1_EES3_PKS3_PKT2_SC_S9_PKT4_PKT5_S7_PT6_21rocsparse_index_base_b: ; @_ZN9rocsparseL18bsrxmvn_3x3_kernelILj256ELj16E21rocsparse_complex_numIdEliS2_S2_S2_EEvT3_20rocsparse_direction_NS_24const_host_device_scalarIT1_EES3_PKS3_PKT2_SC_S9_PKT4_PKT5_S7_PT6_21rocsparse_index_base_b
; %bb.0:
	s_clause 0x1
	s_load_b64 s[12:13], s[0:1], 0x68
	s_load_b64 s[2:3], s[0:1], 0x8
	s_add_nc_u64 s[4:5], s[0:1], 8
	s_load_b64 s[6:7], s[0:1], 0x50
	s_wait_kmcnt 0x0
	s_bitcmp1_b32 s13, 0
	s_cselect_b32 s2, s4, s2
	s_cselect_b32 s3, s5, s3
	s_delay_alu instid0(SALU_CYCLE_1)
	v_dual_mov_b32 v1, s2 :: v_dual_mov_b32 v2, s3
	s_add_nc_u64 s[2:3], s[0:1], 0x50
	s_wait_alu 0xfffe
	s_cselect_b32 s2, s2, s6
	s_cselect_b32 s3, s3, s7
	flat_load_b128 v[5:8], v[1:2]
	s_wait_alu 0xfffe
	v_dual_mov_b32 v1, s2 :: v_dual_mov_b32 v2, s3
	flat_load_b128 v[1:4], v[1:2]
	s_wait_loadcnt_dscnt 0x101
	v_cmp_eq_f64_e32 vcc_lo, 0, v[5:6]
	v_cmp_eq_f64_e64 s2, 0, v[7:8]
	s_and_b32 s4, vcc_lo, s2
	s_mov_b32 s2, -1
	s_and_saveexec_b32 s3, s4
	s_cbranch_execz .LBB37_2
; %bb.1:
	s_wait_loadcnt_dscnt 0x0
	v_cmp_neq_f64_e32 vcc_lo, 1.0, v[1:2]
	v_cmp_neq_f64_e64 s2, 0, v[3:4]
	s_wait_alu 0xfffe
	s_or_b32 s2, vcc_lo, s2
	s_wait_alu 0xfffe
	s_or_not1_b32 s2, s2, exec_lo
.LBB37_2:
	s_wait_alu 0xfffe
	s_or_b32 exec_lo, exec_lo, s3
	s_and_saveexec_b32 s3, s2
	s_cbranch_execz .LBB37_8
; %bb.3:
	s_clause 0x1
	s_load_b64 s[4:5], s[0:1], 0x20
	s_load_b64 s[2:3], s[0:1], 0x0
	v_lshrrev_b32_e32 v9, 4, v0
	s_delay_alu instid0(VALU_DEP_1)
	v_lshl_or_b32 v17, ttmp9, 4, v9
	s_wait_kmcnt 0x0
	s_cmp_lg_u64 s[4:5], 0
	s_cbranch_scc0 .LBB37_9
; %bb.4:
	s_load_b32 s6, s[0:1], 0x18
	s_mov_b32 s7, 0
                                        ; implicit-def: $vgpr9
	s_wait_kmcnt 0x0
	v_cmp_gt_i32_e32 vcc_lo, s6, v17
	s_mov_b32 s6, 0
	s_and_saveexec_b32 s8, vcc_lo
	s_delay_alu instid0(SALU_CYCLE_1)
	s_xor_b32 s8, exec_lo, s8
	s_cbranch_execz .LBB37_6
; %bb.5:
	v_ashrrev_i32_e32 v18, 31, v17
	s_mov_b32 s6, exec_lo
	s_delay_alu instid0(VALU_DEP_1) | instskip(NEXT) | instid1(VALU_DEP_1)
	v_lshlrev_b64_e32 v[9:10], 2, v[17:18]
	v_add_co_u32 v9, vcc_lo, s4, v9
	s_delay_alu instid0(VALU_DEP_1)
	v_add_co_ci_u32_e64 v10, null, s5, v10, vcc_lo
	global_load_b32 v9, v[9:10], off
	s_wait_loadcnt 0x0
	v_subrev_nc_u32_e32 v9, s12, v9
.LBB37_6:
	s_or_b32 exec_lo, exec_lo, s8
	s_delay_alu instid0(SALU_CYCLE_1)
	s_and_b32 vcc_lo, exec_lo, s7
	s_wait_alu 0xfffe
	s_cbranch_vccz .LBB37_10
.LBB37_7:
	v_cmp_gt_i32_e32 vcc_lo, s2, v17
	s_and_not1_b32 s2, s6, exec_lo
	s_and_b32 s4, vcc_lo, exec_lo
	s_wait_alu 0xfffe
	s_or_b32 s6, s2, s4
	s_wait_alu 0xfffe
	s_and_b32 exec_lo, exec_lo, s6
	s_cbranch_execnz .LBB37_11
.LBB37_8:
	s_endpgm
.LBB37_9:
	s_mov_b32 s6, 0
                                        ; implicit-def: $vgpr9
	s_cbranch_execnz .LBB37_7
.LBB37_10:
	v_mov_b32_e32 v17, v9
	s_and_b32 exec_lo, exec_lo, s6
	s_cbranch_execz .LBB37_8
.LBB37_11:
	s_load_b256 s[4:11], s[0:1], 0x28
	s_delay_alu instid0(VALU_DEP_1) | instskip(SKIP_1) | instid1(VALU_DEP_2)
	v_ashrrev_i32_e32 v18, 31, v17
	v_and_b32_e32 v0, 15, v0
	v_lshlrev_b64_e32 v[9:10], 3, v[17:18]
	s_wait_kmcnt 0x0
	s_delay_alu instid0(VALU_DEP_1) | instskip(SKIP_1) | instid1(VALU_DEP_2)
	v_add_co_u32 v11, vcc_lo, s4, v9
	s_wait_alu 0xfffd
	v_add_co_ci_u32_e64 v12, null, s5, v10, vcc_lo
	v_add_co_u32 v9, vcc_lo, s6, v9
	s_wait_alu 0xfffd
	v_add_co_ci_u32_e64 v10, null, s7, v10, vcc_lo
	global_load_b64 v[13:14], v[11:12], off
	v_add_co_u32 v11, vcc_lo, v11, 8
	s_wait_alu 0xfffd
	v_add_co_ci_u32_e64 v12, null, 0, v12, vcc_lo
	s_cmp_eq_u64 s[6:7], 0
	s_load_b64 s[4:5], s[0:1], 0x48
	s_cselect_b32 vcc_lo, -1, 0
	s_cmp_eq_u32 s3, 1
	s_wait_alu 0xfffe
	v_dual_cndmask_b32 v10, v10, v12 :: v_dual_cndmask_b32 v9, v9, v11
	global_load_b64 v[9:10], v[9:10], off
	s_wait_loadcnt 0x1
	v_sub_co_u32 v11, vcc_lo, v13, s12
	s_wait_alu 0xfffd
	v_subrev_co_ci_u32_e64 v12, null, 0, v14, vcc_lo
	s_delay_alu instid0(VALU_DEP_2) | instskip(SKIP_1) | instid1(VALU_DEP_2)
	v_add_co_u32 v18, vcc_lo, v11, v0
	s_wait_alu 0xfffd
	v_add_co_ci_u32_e64 v19, null, 0, v12, vcc_lo
	s_delay_alu instid0(VALU_DEP_2) | instskip(SKIP_4) | instid1(VALU_DEP_3)
	v_mad_co_u64_u32 v[22:23], null, 0x90, v18, s[10:11]
	s_wait_loadcnt 0x0
	v_sub_co_u32 v26, vcc_lo, v9, s12
	s_wait_alu 0xfffd
	v_subrev_co_ci_u32_e64 v27, null, 0, v10, vcc_lo
	v_mov_b32_e32 v11, v23
	s_delay_alu instid0(VALU_DEP_2) | instskip(NEXT) | instid1(VALU_DEP_2)
	v_cmp_lt_i64_e64 s2, v[18:19], v[26:27]
	v_mad_co_u64_u32 v[11:12], null, 0x90, v19, v[11:12]
	s_delay_alu instid0(VALU_DEP_1)
	v_mov_b32_e32 v23, v11
	s_cbranch_scc1 .LBB37_17
; %bb.12:
	v_mov_b32_e32 v9, 0
	v_dual_mov_b32 v13, 0 :: v_dual_mov_b32 v20, 0
	v_dual_mov_b32 v10, 0 :: v_dual_mov_b32 v11, 0
	;; [unrolled: 1-line block ×4, first 2 shown]
	v_mov_b32_e32 v12, 0
	v_dual_mov_b32 v16, 0 :: v_dual_mov_b32 v25, 0
	s_and_saveexec_b32 s6, s2
	s_cbranch_execz .LBB37_16
; %bb.13:
	v_lshlrev_b64_e32 v[11:12], 2, v[18:19]
	v_mov_b32_e32 v9, 0
	v_dual_mov_b32 v10, 0 :: v_dual_mov_b32 v29, v19
	v_dual_mov_b32 v15, 0 :: v_dual_mov_b32 v20, 0
	s_delay_alu instid0(VALU_DEP_4)
	v_add_co_u32 v30, vcc_lo, s8, v11
	s_wait_alu 0xfffd
	v_add_co_ci_u32_e64 v31, null, s9, v12, vcc_lo
	v_mov_b32_e32 v11, 0
	v_dual_mov_b32 v12, 0 :: v_dual_mov_b32 v13, 0
	v_dual_mov_b32 v24, 0 :: v_dual_mov_b32 v33, v23
	v_mov_b32_e32 v28, v18
	v_mov_b32_e32 v14, 0
	v_dual_mov_b32 v16, 0 :: v_dual_mov_b32 v21, 0
	v_dual_mov_b32 v25, 0 :: v_dual_mov_b32 v32, v22
	s_mov_b32 s7, 0
.LBB37_14:                              ; =>This Inner Loop Header: Depth=1
	global_load_b32 v54, v[30:31], off
	s_clause 0x4
	global_load_b128 v[34:37], v[32:33], off offset:48
	global_load_b128 v[38:41], v[32:33], off offset:16
	global_load_b128 v[42:45], v[32:33], off
	global_load_b128 v[46:49], v[32:33], off offset:112
	global_load_b128 v[50:53], v[32:33], off offset:96
	v_add_co_u32 v30, s3, v30, 64
	s_wait_alu 0xf1ff
	v_add_co_ci_u32_e64 v31, null, 0, v31, s3
	s_wait_loadcnt 0x5
	v_subrev_nc_u32_e32 v54, s12, v54
	s_delay_alu instid0(VALU_DEP_1) | instskip(NEXT) | instid1(VALU_DEP_1)
	v_lshl_add_u32 v54, v54, 1, v54
	v_ashrrev_i32_e32 v55, 31, v54
	s_delay_alu instid0(VALU_DEP_1) | instskip(SKIP_1) | instid1(VALU_DEP_1)
	v_lshlrev_b64_e32 v[54:55], 4, v[54:55]
	s_wait_kmcnt 0x0
	v_add_co_u32 v78, vcc_lo, s4, v54
	s_wait_alu 0xfffd
	s_delay_alu instid0(VALU_DEP_2)
	v_add_co_ci_u32_e64 v79, null, s5, v55, vcc_lo
	v_add_co_u32 v28, vcc_lo, v28, 16
	s_wait_alu 0xfffd
	v_add_co_ci_u32_e64 v29, null, 0, v29, vcc_lo
	s_clause 0x1
	global_load_b128 v[54:57], v[78:79], off
	global_load_b128 v[58:61], v[78:79], off offset:16
	s_clause 0x3
	global_load_b128 v[62:65], v[32:33], off offset:64
	global_load_b128 v[66:69], v[32:33], off offset:80
	;; [unrolled: 1-line block ×5, first 2 shown]
	v_add_co_u32 v32, vcc_lo, 0x900, v32
	s_wait_alu 0xfffd
	v_add_co_ci_u32_e64 v33, null, 0, v33, vcc_lo
	v_cmp_ge_i64_e32 vcc_lo, v[28:29], v[26:27]
	s_wait_alu 0xfffe
	s_or_b32 s7, vcc_lo, s7
	s_wait_loadcnt 0x6
	v_fma_f64 v[11:12], v[42:43], v[54:55], v[11:12]
	v_fma_f64 v[9:10], v[44:45], v[54:55], v[9:10]
	;; [unrolled: 1-line block ×6, first 2 shown]
	v_fma_f64 v[11:12], -v[44:45], v[56:57], v[11:12]
	v_fma_f64 v[9:10], v[42:43], v[56:57], v[9:10]
	v_fma_f64 v[20:21], -v[36:37], v[56:57], v[20:21]
	v_fma_f64 v[24:25], v[34:35], v[56:57], v[24:25]
	;; [unrolled: 2-line block ×3, first 2 shown]
	s_wait_loadcnt 0x5
	v_fma_f64 v[11:12], v[38:39], v[58:59], v[11:12]
	v_fma_f64 v[9:10], v[40:41], v[58:59], v[9:10]
	s_wait_loadcnt 0x4
	v_fma_f64 v[20:21], v[62:63], v[58:59], v[20:21]
	v_fma_f64 v[24:25], v[64:65], v[58:59], v[24:25]
	;; [unrolled: 1-line block ×4, first 2 shown]
	v_fma_f64 v[11:12], -v[40:41], v[60:61], v[11:12]
	v_fma_f64 v[9:10], v[38:39], v[60:61], v[9:10]
	v_fma_f64 v[20:21], -v[64:65], v[60:61], v[20:21]
	v_fma_f64 v[24:25], v[62:63], v[60:61], v[24:25]
	;; [unrolled: 2-line block ×3, first 2 shown]
	s_wait_loadcnt 0x0
	v_fma_f64 v[11:12], v[70:71], v[78:79], v[11:12]
	v_fma_f64 v[9:10], v[72:73], v[78:79], v[9:10]
	v_fma_f64 v[20:21], v[66:67], v[78:79], v[20:21]
	v_fma_f64 v[24:25], v[68:69], v[78:79], v[24:25]
	v_fma_f64 v[13:14], v[74:75], v[78:79], v[13:14]
	v_fma_f64 v[15:16], v[76:77], v[78:79], v[15:16]
	v_fma_f64 v[11:12], -v[72:73], v[80:81], v[11:12]
	v_fma_f64 v[9:10], v[70:71], v[80:81], v[9:10]
	v_fma_f64 v[20:21], -v[68:69], v[80:81], v[20:21]
	v_fma_f64 v[24:25], v[66:67], v[80:81], v[24:25]
	;; [unrolled: 2-line block ×3, first 2 shown]
	s_wait_alu 0xfffe
	s_and_not1_b32 exec_lo, exec_lo, s7
	s_cbranch_execnz .LBB37_14
; %bb.15:
	s_or_b32 exec_lo, exec_lo, s7
.LBB37_16:
	s_wait_alu 0xfffe
	s_or_b32 exec_lo, exec_lo, s6
	s_cbranch_execz .LBB37_18
	s_branch .LBB37_23
.LBB37_17:
                                        ; implicit-def: $vgpr9_vgpr10
                                        ; implicit-def: $vgpr11_vgpr12
                                        ; implicit-def: $vgpr13_vgpr14
                                        ; implicit-def: $vgpr15_vgpr16
                                        ; implicit-def: $vgpr20_vgpr21
                                        ; implicit-def: $vgpr24_vgpr25
.LBB37_18:
	v_mov_b32_e32 v9, 0
	v_dual_mov_b32 v13, 0 :: v_dual_mov_b32 v20, 0
	v_dual_mov_b32 v10, 0 :: v_dual_mov_b32 v11, 0
	;; [unrolled: 1-line block ×4, first 2 shown]
	v_mov_b32_e32 v12, 0
	v_dual_mov_b32 v16, 0 :: v_dual_mov_b32 v25, 0
	s_and_saveexec_b32 s3, s2
	s_cbranch_execz .LBB37_22
; %bb.19:
	v_lshlrev_b64_e32 v[28:29], 2, v[18:19]
	v_mov_b32_e32 v9, 0
	v_dual_mov_b32 v13, 0 :: v_dual_mov_b32 v20, 0
	v_dual_mov_b32 v10, 0 :: v_dual_mov_b32 v11, 0
	s_delay_alu instid0(VALU_DEP_4)
	v_add_co_u32 v28, vcc_lo, s8, v28
	v_dual_mov_b32 v14, 0 :: v_dual_mov_b32 v15, 0
	v_dual_mov_b32 v21, 0 :: v_dual_mov_b32 v24, 0
	v_mov_b32_e32 v12, 0
	v_dual_mov_b32 v16, 0 :: v_dual_mov_b32 v25, 0
	s_wait_alu 0xfffd
	v_add_co_ci_u32_e64 v29, null, s9, v29, vcc_lo
	s_mov_b32 s6, 0
.LBB37_20:                              ; =>This Inner Loop Header: Depth=1
	global_load_b32 v46, v[28:29], off
	s_clause 0x3
	global_load_b128 v[30:33], v[22:23], off offset:48
	global_load_b128 v[34:37], v[22:23], off offset:32
	;; [unrolled: 1-line block ×3, first 2 shown]
	global_load_b128 v[42:45], v[22:23], off
	v_add_co_u32 v28, s2, v28, 64
	s_wait_alu 0xf1ff
	v_add_co_ci_u32_e64 v29, null, 0, v29, s2
	s_wait_loadcnt 0x4
	v_subrev_nc_u32_e32 v46, s12, v46
	s_delay_alu instid0(VALU_DEP_1) | instskip(NEXT) | instid1(VALU_DEP_1)
	v_lshl_add_u32 v46, v46, 1, v46
	v_ashrrev_i32_e32 v47, 31, v46
	s_delay_alu instid0(VALU_DEP_1) | instskip(SKIP_1) | instid1(VALU_DEP_1)
	v_lshlrev_b64_e32 v[46:47], 4, v[46:47]
	s_wait_kmcnt 0x0
	v_add_co_u32 v74, vcc_lo, s4, v46
	s_wait_alu 0xfffd
	s_delay_alu instid0(VALU_DEP_2)
	v_add_co_ci_u32_e64 v75, null, s5, v47, vcc_lo
	v_add_co_u32 v18, vcc_lo, v18, 16
	s_wait_alu 0xfffd
	v_add_co_ci_u32_e64 v19, null, 0, v19, vcc_lo
	s_clause 0x1
	global_load_b128 v[46:49], v[74:75], off
	global_load_b128 v[50:53], v[74:75], off offset:16
	s_clause 0x4
	global_load_b128 v[54:57], v[22:23], off offset:64
	global_load_b128 v[58:61], v[22:23], off offset:80
	;; [unrolled: 1-line block ×6, first 2 shown]
	v_add_co_u32 v22, vcc_lo, 0x900, v22
	s_wait_alu 0xfffd
	v_add_co_ci_u32_e64 v23, null, 0, v23, vcc_lo
	v_cmp_ge_i64_e32 vcc_lo, v[18:19], v[26:27]
	s_wait_alu 0xfffe
	s_or_b32 s6, vcc_lo, s6
	s_wait_loadcnt 0x7
	v_fma_f64 v[11:12], v[42:43], v[46:47], v[11:12]
	v_fma_f64 v[9:10], v[44:45], v[46:47], v[9:10]
	;; [unrolled: 1-line block ×6, first 2 shown]
	v_fma_f64 v[11:12], -v[44:45], v[48:49], v[11:12]
	v_fma_f64 v[9:10], v[42:43], v[48:49], v[9:10]
	v_fma_f64 v[20:21], -v[40:41], v[48:49], v[20:21]
	v_fma_f64 v[24:25], v[38:39], v[48:49], v[24:25]
	;; [unrolled: 2-line block ×3, first 2 shown]
	s_wait_loadcnt 0x6
	v_fma_f64 v[11:12], v[30:31], v[50:51], v[11:12]
	v_fma_f64 v[9:10], v[32:33], v[50:51], v[9:10]
	s_wait_loadcnt 0x5
	v_fma_f64 v[20:21], v[54:55], v[50:51], v[20:21]
	v_fma_f64 v[24:25], v[56:57], v[50:51], v[24:25]
	;; [unrolled: 3-line block ×3, first 2 shown]
	v_fma_f64 v[11:12], -v[32:33], v[52:53], v[11:12]
	v_fma_f64 v[9:10], v[30:31], v[52:53], v[9:10]
	v_fma_f64 v[20:21], -v[56:57], v[52:53], v[20:21]
	v_fma_f64 v[24:25], v[54:55], v[52:53], v[24:25]
	;; [unrolled: 2-line block ×3, first 2 shown]
	s_wait_loadcnt 0x0
	v_fma_f64 v[11:12], v[66:67], v[74:75], v[11:12]
	v_fma_f64 v[9:10], v[68:69], v[74:75], v[9:10]
	;; [unrolled: 1-line block ×6, first 2 shown]
	v_fma_f64 v[11:12], -v[68:69], v[76:77], v[11:12]
	v_fma_f64 v[9:10], v[66:67], v[76:77], v[9:10]
	v_fma_f64 v[20:21], -v[64:65], v[76:77], v[20:21]
	v_fma_f64 v[24:25], v[62:63], v[76:77], v[24:25]
	;; [unrolled: 2-line block ×3, first 2 shown]
	s_wait_alu 0xfffe
	s_and_not1_b32 exec_lo, exec_lo, s6
	s_cbranch_execnz .LBB37_20
; %bb.21:
	s_or_b32 exec_lo, exec_lo, s6
.LBB37_22:
	s_wait_alu 0xfffe
	s_or_b32 exec_lo, exec_lo, s3
.LBB37_23:
	v_mbcnt_lo_u32_b32 v34, -1, 0
	s_delay_alu instid0(VALU_DEP_1) | instskip(NEXT) | instid1(VALU_DEP_1)
	v_xor_b32_e32 v18, 8, v34
	v_cmp_gt_i32_e32 vcc_lo, 32, v18
	s_wait_alu 0xfffd
	v_cndmask_b32_e32 v18, v34, v18, vcc_lo
	s_delay_alu instid0(VALU_DEP_1)
	v_lshlrev_b32_e32 v33, 2, v18
	ds_bpermute_b32 v18, v33, v11
	ds_bpermute_b32 v19, v33, v12
	;; [unrolled: 1-line block ×12, first 2 shown]
	s_wait_dscnt 0xa
	v_add_f64_e32 v[11:12], v[11:12], v[18:19]
	s_wait_dscnt 0x8
	v_add_f64_e32 v[9:10], v[9:10], v[22:23]
	v_xor_b32_e32 v22, 4, v34
	s_wait_dscnt 0x6
	v_add_f64_e32 v[18:19], v[20:21], v[26:27]
	s_wait_dscnt 0x4
	v_add_f64_e32 v[20:21], v[24:25], v[28:29]
	;; [unrolled: 2-line block ×3, first 2 shown]
	v_cmp_gt_i32_e32 vcc_lo, 32, v22
	s_wait_dscnt 0x0
	v_add_f64_e32 v[15:16], v[15:16], v[32:33]
	s_wait_alu 0xfffd
	v_cndmask_b32_e32 v22, v34, v22, vcc_lo
	s_delay_alu instid0(VALU_DEP_1)
	v_lshlrev_b32_e32 v33, 2, v22
	ds_bpermute_b32 v22, v33, v11
	ds_bpermute_b32 v23, v33, v12
	;; [unrolled: 1-line block ×12, first 2 shown]
	s_wait_dscnt 0xa
	v_add_f64_e32 v[11:12], v[11:12], v[22:23]
	s_wait_dscnt 0x8
	v_add_f64_e32 v[22:23], v[9:10], v[24:25]
	v_xor_b32_e32 v9, 2, v34
	s_wait_dscnt 0x6
	v_add_f64_e32 v[18:19], v[18:19], v[26:27]
	s_wait_dscnt 0x4
	v_add_f64_e32 v[20:21], v[20:21], v[28:29]
	;; [unrolled: 2-line block ×3, first 2 shown]
	v_cmp_gt_i32_e32 vcc_lo, 32, v9
	s_wait_dscnt 0x0
	v_add_f64_e32 v[15:16], v[15:16], v[32:33]
	s_wait_alu 0xfffd
	v_cndmask_b32_e32 v9, v34, v9, vcc_lo
	s_delay_alu instid0(VALU_DEP_1)
	v_lshlrev_b32_e32 v33, 2, v9
	ds_bpermute_b32 v9, v33, v11
	ds_bpermute_b32 v10, v33, v12
	;; [unrolled: 1-line block ×12, first 2 shown]
	s_wait_dscnt 0xa
	v_add_f64_e32 v[9:10], v[11:12], v[9:10]
	s_wait_dscnt 0x8
	v_add_f64_e32 v[22:23], v[22:23], v[24:25]
	;; [unrolled: 2-line block ×4, first 2 shown]
	v_xor_b32_e32 v20, 1, v34
	s_wait_dscnt 0x2
	v_add_f64_e32 v[13:14], v[13:14], v[30:31]
	s_wait_dscnt 0x0
	v_add_f64_e32 v[15:16], v[15:16], v[32:33]
	v_cmp_gt_i32_e32 vcc_lo, 32, v20
	s_wait_alu 0xfffd
	v_cndmask_b32_e32 v20, v34, v20, vcc_lo
	v_cmp_eq_u32_e32 vcc_lo, 15, v0
	s_delay_alu instid0(VALU_DEP_2)
	v_lshlrev_b32_e32 v29, 2, v20
	ds_bpermute_b32 v20, v29, v9
	ds_bpermute_b32 v21, v29, v10
	;; [unrolled: 1-line block ×12, first 2 shown]
	s_and_b32 exec_lo, exec_lo, vcc_lo
	s_cbranch_execz .LBB37_8
; %bb.24:
	s_wait_dscnt 0x8
	v_add_f64_e32 v[22:23], v[22:23], v[32:33]
	s_wait_dscnt 0x4
	v_add_f64_e32 v[18:19], v[18:19], v[30:31]
	;; [unrolled: 2-line block ×3, first 2 shown]
	v_add_f64_e32 v[9:10], v[9:10], v[20:21]
	v_add_f64_e32 v[11:12], v[11:12], v[24:25]
	;; [unrolled: 1-line block ×3, first 2 shown]
	v_cmp_eq_f64_e32 vcc_lo, 0, v[1:2]
	v_cmp_eq_f64_e64 s2, 0, v[3:4]
	s_load_b64 s[0:1], s[0:1], 0x60
	v_lshl_add_u32 v17, v17, 1, v17
	v_mul_f64_e64 v[13:14], v[22:23], -v[7:8]
	v_mul_f64_e32 v[22:23], v[5:6], v[22:23]
	v_mul_f64_e64 v[24:25], v[18:19], -v[7:8]
	v_mul_f64_e32 v[18:19], v[5:6], v[18:19]
	;; [unrolled: 2-line block ×3, first 2 shown]
	s_and_b32 s2, vcc_lo, s2
	v_fma_f64 v[13:14], v[5:6], v[9:10], v[13:14]
	v_fma_f64 v[15:16], v[7:8], v[9:10], v[22:23]
	v_fma_f64 v[9:10], v[5:6], v[11:12], v[24:25]
	v_fma_f64 v[11:12], v[7:8], v[11:12], v[18:19]
	v_fma_f64 v[5:6], v[5:6], v[20:21], v[26:27]
	v_fma_f64 v[7:8], v[7:8], v[20:21], v[28:29]
	v_ashrrev_i32_e32 v18, 31, v17
	s_wait_alu 0xfffe
	s_and_saveexec_b32 s3, s2
	s_wait_alu 0xfffe
	s_xor_b32 s2, exec_lo, s3
	s_cbranch_execz .LBB37_26
; %bb.25:
	v_lshlrev_b64_e32 v[0:1], 4, v[17:18]
                                        ; implicit-def: $vgpr17
	s_wait_kmcnt 0x0
	s_delay_alu instid0(VALU_DEP_1) | instskip(SKIP_1) | instid1(VALU_DEP_2)
	v_add_co_u32 v0, vcc_lo, s0, v0
	s_wait_alu 0xfffd
	v_add_co_ci_u32_e64 v1, null, s1, v1, vcc_lo
	s_clause 0x2
	global_store_b128 v[0:1], v[13:16], off
	global_store_b128 v[0:1], v[9:12], off offset:16
	global_store_b128 v[0:1], v[5:8], off offset:32
                                        ; implicit-def: $vgpr3_vgpr4
                                        ; implicit-def: $vgpr13_vgpr14
                                        ; implicit-def: $vgpr9_vgpr10
                                        ; implicit-def: $vgpr5_vgpr6
.LBB37_26:
	s_wait_alu 0xfffe
	s_and_not1_saveexec_b32 s2, s2
	s_cbranch_execz .LBB37_8
; %bb.27:
	v_lshlrev_b64_e32 v[17:18], 4, v[17:18]
	s_wait_kmcnt 0x0
	s_delay_alu instid0(VALU_DEP_1) | instskip(SKIP_1) | instid1(VALU_DEP_2)
	v_add_co_u32 v29, vcc_lo, s0, v17
	s_wait_alu 0xfffd
	v_add_co_ci_u32_e64 v30, null, s1, v18, vcc_lo
	s_clause 0x2
	global_load_b128 v[17:20], v[29:30], off
	global_load_b128 v[21:24], v[29:30], off offset:16
	global_load_b128 v[25:28], v[29:30], off offset:32
	s_wait_loadcnt 0x2
	v_fma_f64 v[13:14], v[1:2], v[17:18], v[13:14]
	v_fma_f64 v[15:16], v[3:4], v[17:18], v[15:16]
	s_wait_loadcnt 0x1
	v_fma_f64 v[9:10], v[1:2], v[21:22], v[9:10]
	v_fma_f64 v[11:12], v[3:4], v[21:22], v[11:12]
	;; [unrolled: 3-line block ×3, first 2 shown]
	v_fma_f64 v[5:6], -v[3:4], v[19:20], v[13:14]
	v_fma_f64 v[7:8], v[1:2], v[19:20], v[15:16]
	v_fma_f64 v[9:10], -v[3:4], v[23:24], v[9:10]
	v_fma_f64 v[11:12], v[1:2], v[23:24], v[11:12]
	;; [unrolled: 2-line block ×3, first 2 shown]
	s_clause 0x2
	global_store_b128 v[29:30], v[5:8], off
	global_store_b128 v[29:30], v[9:12], off offset:16
	global_store_b128 v[29:30], v[13:16], off offset:32
	s_endpgm
	.section	.rodata,"a",@progbits
	.p2align	6, 0x0
	.amdhsa_kernel _ZN9rocsparseL18bsrxmvn_3x3_kernelILj256ELj16E21rocsparse_complex_numIdEliS2_S2_S2_EEvT3_20rocsparse_direction_NS_24const_host_device_scalarIT1_EES3_PKS3_PKT2_SC_S9_PKT4_PKT5_S7_PT6_21rocsparse_index_base_b
		.amdhsa_group_segment_fixed_size 0
		.amdhsa_private_segment_fixed_size 0
		.amdhsa_kernarg_size 112
		.amdhsa_user_sgpr_count 2
		.amdhsa_user_sgpr_dispatch_ptr 0
		.amdhsa_user_sgpr_queue_ptr 0
		.amdhsa_user_sgpr_kernarg_segment_ptr 1
		.amdhsa_user_sgpr_dispatch_id 0
		.amdhsa_user_sgpr_private_segment_size 0
		.amdhsa_wavefront_size32 1
		.amdhsa_uses_dynamic_stack 0
		.amdhsa_enable_private_segment 0
		.amdhsa_system_sgpr_workgroup_id_x 1
		.amdhsa_system_sgpr_workgroup_id_y 0
		.amdhsa_system_sgpr_workgroup_id_z 0
		.amdhsa_system_sgpr_workgroup_info 0
		.amdhsa_system_vgpr_workitem_id 0
		.amdhsa_next_free_vgpr 82
		.amdhsa_next_free_sgpr 14
		.amdhsa_reserve_vcc 1
		.amdhsa_float_round_mode_32 0
		.amdhsa_float_round_mode_16_64 0
		.amdhsa_float_denorm_mode_32 3
		.amdhsa_float_denorm_mode_16_64 3
		.amdhsa_fp16_overflow 0
		.amdhsa_workgroup_processor_mode 1
		.amdhsa_memory_ordered 1
		.amdhsa_forward_progress 1
		.amdhsa_inst_pref_size 27
		.amdhsa_round_robin_scheduling 0
		.amdhsa_exception_fp_ieee_invalid_op 0
		.amdhsa_exception_fp_denorm_src 0
		.amdhsa_exception_fp_ieee_div_zero 0
		.amdhsa_exception_fp_ieee_overflow 0
		.amdhsa_exception_fp_ieee_underflow 0
		.amdhsa_exception_fp_ieee_inexact 0
		.amdhsa_exception_int_div_zero 0
	.end_amdhsa_kernel
	.section	.text._ZN9rocsparseL18bsrxmvn_3x3_kernelILj256ELj16E21rocsparse_complex_numIdEliS2_S2_S2_EEvT3_20rocsparse_direction_NS_24const_host_device_scalarIT1_EES3_PKS3_PKT2_SC_S9_PKT4_PKT5_S7_PT6_21rocsparse_index_base_b,"axG",@progbits,_ZN9rocsparseL18bsrxmvn_3x3_kernelILj256ELj16E21rocsparse_complex_numIdEliS2_S2_S2_EEvT3_20rocsparse_direction_NS_24const_host_device_scalarIT1_EES3_PKS3_PKT2_SC_S9_PKT4_PKT5_S7_PT6_21rocsparse_index_base_b,comdat
.Lfunc_end37:
	.size	_ZN9rocsparseL18bsrxmvn_3x3_kernelILj256ELj16E21rocsparse_complex_numIdEliS2_S2_S2_EEvT3_20rocsparse_direction_NS_24const_host_device_scalarIT1_EES3_PKS3_PKT2_SC_S9_PKT4_PKT5_S7_PT6_21rocsparse_index_base_b, .Lfunc_end37-_ZN9rocsparseL18bsrxmvn_3x3_kernelILj256ELj16E21rocsparse_complex_numIdEliS2_S2_S2_EEvT3_20rocsparse_direction_NS_24const_host_device_scalarIT1_EES3_PKS3_PKT2_SC_S9_PKT4_PKT5_S7_PT6_21rocsparse_index_base_b
                                        ; -- End function
	.set _ZN9rocsparseL18bsrxmvn_3x3_kernelILj256ELj16E21rocsparse_complex_numIdEliS2_S2_S2_EEvT3_20rocsparse_direction_NS_24const_host_device_scalarIT1_EES3_PKS3_PKT2_SC_S9_PKT4_PKT5_S7_PT6_21rocsparse_index_base_b.num_vgpr, 82
	.set _ZN9rocsparseL18bsrxmvn_3x3_kernelILj256ELj16E21rocsparse_complex_numIdEliS2_S2_S2_EEvT3_20rocsparse_direction_NS_24const_host_device_scalarIT1_EES3_PKS3_PKT2_SC_S9_PKT4_PKT5_S7_PT6_21rocsparse_index_base_b.num_agpr, 0
	.set _ZN9rocsparseL18bsrxmvn_3x3_kernelILj256ELj16E21rocsparse_complex_numIdEliS2_S2_S2_EEvT3_20rocsparse_direction_NS_24const_host_device_scalarIT1_EES3_PKS3_PKT2_SC_S9_PKT4_PKT5_S7_PT6_21rocsparse_index_base_b.numbered_sgpr, 14
	.set _ZN9rocsparseL18bsrxmvn_3x3_kernelILj256ELj16E21rocsparse_complex_numIdEliS2_S2_S2_EEvT3_20rocsparse_direction_NS_24const_host_device_scalarIT1_EES3_PKS3_PKT2_SC_S9_PKT4_PKT5_S7_PT6_21rocsparse_index_base_b.num_named_barrier, 0
	.set _ZN9rocsparseL18bsrxmvn_3x3_kernelILj256ELj16E21rocsparse_complex_numIdEliS2_S2_S2_EEvT3_20rocsparse_direction_NS_24const_host_device_scalarIT1_EES3_PKS3_PKT2_SC_S9_PKT4_PKT5_S7_PT6_21rocsparse_index_base_b.private_seg_size, 0
	.set _ZN9rocsparseL18bsrxmvn_3x3_kernelILj256ELj16E21rocsparse_complex_numIdEliS2_S2_S2_EEvT3_20rocsparse_direction_NS_24const_host_device_scalarIT1_EES3_PKS3_PKT2_SC_S9_PKT4_PKT5_S7_PT6_21rocsparse_index_base_b.uses_vcc, 1
	.set _ZN9rocsparseL18bsrxmvn_3x3_kernelILj256ELj16E21rocsparse_complex_numIdEliS2_S2_S2_EEvT3_20rocsparse_direction_NS_24const_host_device_scalarIT1_EES3_PKS3_PKT2_SC_S9_PKT4_PKT5_S7_PT6_21rocsparse_index_base_b.uses_flat_scratch, 0
	.set _ZN9rocsparseL18bsrxmvn_3x3_kernelILj256ELj16E21rocsparse_complex_numIdEliS2_S2_S2_EEvT3_20rocsparse_direction_NS_24const_host_device_scalarIT1_EES3_PKS3_PKT2_SC_S9_PKT4_PKT5_S7_PT6_21rocsparse_index_base_b.has_dyn_sized_stack, 0
	.set _ZN9rocsparseL18bsrxmvn_3x3_kernelILj256ELj16E21rocsparse_complex_numIdEliS2_S2_S2_EEvT3_20rocsparse_direction_NS_24const_host_device_scalarIT1_EES3_PKS3_PKT2_SC_S9_PKT4_PKT5_S7_PT6_21rocsparse_index_base_b.has_recursion, 0
	.set _ZN9rocsparseL18bsrxmvn_3x3_kernelILj256ELj16E21rocsparse_complex_numIdEliS2_S2_S2_EEvT3_20rocsparse_direction_NS_24const_host_device_scalarIT1_EES3_PKS3_PKT2_SC_S9_PKT4_PKT5_S7_PT6_21rocsparse_index_base_b.has_indirect_call, 0
	.section	.AMDGPU.csdata,"",@progbits
; Kernel info:
; codeLenInByte = 3388
; TotalNumSgprs: 16
; NumVgprs: 82
; ScratchSize: 0
; MemoryBound: 0
; FloatMode: 240
; IeeeMode: 1
; LDSByteSize: 0 bytes/workgroup (compile time only)
; SGPRBlocks: 0
; VGPRBlocks: 10
; NumSGPRsForWavesPerEU: 16
; NumVGPRsForWavesPerEU: 82
; Occupancy: 16
; WaveLimiterHint : 1
; COMPUTE_PGM_RSRC2:SCRATCH_EN: 0
; COMPUTE_PGM_RSRC2:USER_SGPR: 2
; COMPUTE_PGM_RSRC2:TRAP_HANDLER: 0
; COMPUTE_PGM_RSRC2:TGID_X_EN: 1
; COMPUTE_PGM_RSRC2:TGID_Y_EN: 0
; COMPUTE_PGM_RSRC2:TGID_Z_EN: 0
; COMPUTE_PGM_RSRC2:TIDIG_COMP_CNT: 0
	.section	.text._ZN9rocsparseL18bsrxmvn_3x3_kernelILj256ELj32E21rocsparse_complex_numIdEliS2_S2_S2_EEvT3_20rocsparse_direction_NS_24const_host_device_scalarIT1_EES3_PKS3_PKT2_SC_S9_PKT4_PKT5_S7_PT6_21rocsparse_index_base_b,"axG",@progbits,_ZN9rocsparseL18bsrxmvn_3x3_kernelILj256ELj32E21rocsparse_complex_numIdEliS2_S2_S2_EEvT3_20rocsparse_direction_NS_24const_host_device_scalarIT1_EES3_PKS3_PKT2_SC_S9_PKT4_PKT5_S7_PT6_21rocsparse_index_base_b,comdat
	.globl	_ZN9rocsparseL18bsrxmvn_3x3_kernelILj256ELj32E21rocsparse_complex_numIdEliS2_S2_S2_EEvT3_20rocsparse_direction_NS_24const_host_device_scalarIT1_EES3_PKS3_PKT2_SC_S9_PKT4_PKT5_S7_PT6_21rocsparse_index_base_b ; -- Begin function _ZN9rocsparseL18bsrxmvn_3x3_kernelILj256ELj32E21rocsparse_complex_numIdEliS2_S2_S2_EEvT3_20rocsparse_direction_NS_24const_host_device_scalarIT1_EES3_PKS3_PKT2_SC_S9_PKT4_PKT5_S7_PT6_21rocsparse_index_base_b
	.p2align	8
	.type	_ZN9rocsparseL18bsrxmvn_3x3_kernelILj256ELj32E21rocsparse_complex_numIdEliS2_S2_S2_EEvT3_20rocsparse_direction_NS_24const_host_device_scalarIT1_EES3_PKS3_PKT2_SC_S9_PKT4_PKT5_S7_PT6_21rocsparse_index_base_b,@function
_ZN9rocsparseL18bsrxmvn_3x3_kernelILj256ELj32E21rocsparse_complex_numIdEliS2_S2_S2_EEvT3_20rocsparse_direction_NS_24const_host_device_scalarIT1_EES3_PKS3_PKT2_SC_S9_PKT4_PKT5_S7_PT6_21rocsparse_index_base_b: ; @_ZN9rocsparseL18bsrxmvn_3x3_kernelILj256ELj32E21rocsparse_complex_numIdEliS2_S2_S2_EEvT3_20rocsparse_direction_NS_24const_host_device_scalarIT1_EES3_PKS3_PKT2_SC_S9_PKT4_PKT5_S7_PT6_21rocsparse_index_base_b
; %bb.0:
	s_clause 0x1
	s_load_b64 s[12:13], s[0:1], 0x68
	s_load_b64 s[2:3], s[0:1], 0x8
	s_add_nc_u64 s[4:5], s[0:1], 8
	s_load_b64 s[6:7], s[0:1], 0x50
	s_wait_kmcnt 0x0
	s_bitcmp1_b32 s13, 0
	s_cselect_b32 s2, s4, s2
	s_cselect_b32 s3, s5, s3
	s_delay_alu instid0(SALU_CYCLE_1)
	v_dual_mov_b32 v1, s2 :: v_dual_mov_b32 v2, s3
	s_add_nc_u64 s[2:3], s[0:1], 0x50
	s_wait_alu 0xfffe
	s_cselect_b32 s2, s2, s6
	s_cselect_b32 s3, s3, s7
	flat_load_b128 v[5:8], v[1:2]
	s_wait_alu 0xfffe
	v_dual_mov_b32 v1, s2 :: v_dual_mov_b32 v2, s3
	flat_load_b128 v[1:4], v[1:2]
	s_wait_loadcnt_dscnt 0x101
	v_cmp_eq_f64_e32 vcc_lo, 0, v[5:6]
	v_cmp_eq_f64_e64 s2, 0, v[7:8]
	s_and_b32 s4, vcc_lo, s2
	s_mov_b32 s2, -1
	s_and_saveexec_b32 s3, s4
	s_cbranch_execz .LBB38_2
; %bb.1:
	s_wait_loadcnt_dscnt 0x0
	v_cmp_neq_f64_e32 vcc_lo, 1.0, v[1:2]
	v_cmp_neq_f64_e64 s2, 0, v[3:4]
	s_wait_alu 0xfffe
	s_or_b32 s2, vcc_lo, s2
	s_wait_alu 0xfffe
	s_or_not1_b32 s2, s2, exec_lo
.LBB38_2:
	s_wait_alu 0xfffe
	s_or_b32 exec_lo, exec_lo, s3
	s_and_saveexec_b32 s3, s2
	s_cbranch_execz .LBB38_8
; %bb.3:
	s_clause 0x1
	s_load_b64 s[4:5], s[0:1], 0x20
	s_load_b64 s[2:3], s[0:1], 0x0
	v_lshrrev_b32_e32 v9, 5, v0
	s_delay_alu instid0(VALU_DEP_1)
	v_lshl_or_b32 v17, ttmp9, 3, v9
	s_wait_kmcnt 0x0
	s_cmp_lg_u64 s[4:5], 0
	s_cbranch_scc0 .LBB38_9
; %bb.4:
	s_load_b32 s6, s[0:1], 0x18
	s_mov_b32 s7, 0
                                        ; implicit-def: $vgpr9
	s_wait_kmcnt 0x0
	v_cmp_gt_i32_e32 vcc_lo, s6, v17
	s_mov_b32 s6, 0
	s_and_saveexec_b32 s8, vcc_lo
	s_delay_alu instid0(SALU_CYCLE_1)
	s_xor_b32 s8, exec_lo, s8
	s_cbranch_execz .LBB38_6
; %bb.5:
	v_ashrrev_i32_e32 v18, 31, v17
	s_mov_b32 s6, exec_lo
	s_delay_alu instid0(VALU_DEP_1) | instskip(NEXT) | instid1(VALU_DEP_1)
	v_lshlrev_b64_e32 v[9:10], 2, v[17:18]
	v_add_co_u32 v9, vcc_lo, s4, v9
	s_delay_alu instid0(VALU_DEP_1)
	v_add_co_ci_u32_e64 v10, null, s5, v10, vcc_lo
	global_load_b32 v9, v[9:10], off
	s_wait_loadcnt 0x0
	v_subrev_nc_u32_e32 v9, s12, v9
.LBB38_6:
	s_or_b32 exec_lo, exec_lo, s8
	s_delay_alu instid0(SALU_CYCLE_1)
	s_and_b32 vcc_lo, exec_lo, s7
	s_wait_alu 0xfffe
	s_cbranch_vccz .LBB38_10
.LBB38_7:
	v_cmp_gt_i32_e32 vcc_lo, s2, v17
	s_and_not1_b32 s2, s6, exec_lo
	s_and_b32 s4, vcc_lo, exec_lo
	s_wait_alu 0xfffe
	s_or_b32 s6, s2, s4
	s_wait_alu 0xfffe
	s_and_b32 exec_lo, exec_lo, s6
	s_cbranch_execnz .LBB38_11
.LBB38_8:
	s_endpgm
.LBB38_9:
	s_mov_b32 s6, 0
                                        ; implicit-def: $vgpr9
	s_cbranch_execnz .LBB38_7
.LBB38_10:
	v_mov_b32_e32 v17, v9
	s_and_b32 exec_lo, exec_lo, s6
	s_cbranch_execz .LBB38_8
.LBB38_11:
	s_load_b256 s[4:11], s[0:1], 0x28
	s_delay_alu instid0(VALU_DEP_1) | instskip(SKIP_1) | instid1(VALU_DEP_2)
	v_ashrrev_i32_e32 v18, 31, v17
	v_and_b32_e32 v0, 31, v0
	v_lshlrev_b64_e32 v[9:10], 3, v[17:18]
	s_wait_kmcnt 0x0
	s_delay_alu instid0(VALU_DEP_1) | instskip(SKIP_1) | instid1(VALU_DEP_2)
	v_add_co_u32 v11, vcc_lo, s4, v9
	s_wait_alu 0xfffd
	v_add_co_ci_u32_e64 v12, null, s5, v10, vcc_lo
	v_add_co_u32 v9, vcc_lo, s6, v9
	s_wait_alu 0xfffd
	v_add_co_ci_u32_e64 v10, null, s7, v10, vcc_lo
	global_load_b64 v[13:14], v[11:12], off
	v_add_co_u32 v11, vcc_lo, v11, 8
	s_wait_alu 0xfffd
	v_add_co_ci_u32_e64 v12, null, 0, v12, vcc_lo
	s_cmp_eq_u64 s[6:7], 0
	s_load_b64 s[4:5], s[0:1], 0x48
	s_cselect_b32 vcc_lo, -1, 0
	s_cmp_eq_u32 s3, 1
	s_wait_alu 0xfffe
	v_dual_cndmask_b32 v10, v10, v12 :: v_dual_cndmask_b32 v9, v9, v11
	global_load_b64 v[9:10], v[9:10], off
	s_wait_loadcnt 0x1
	v_sub_co_u32 v11, vcc_lo, v13, s12
	s_wait_alu 0xfffd
	v_subrev_co_ci_u32_e64 v12, null, 0, v14, vcc_lo
	s_delay_alu instid0(VALU_DEP_2) | instskip(SKIP_1) | instid1(VALU_DEP_2)
	v_add_co_u32 v22, vcc_lo, v11, v0
	s_wait_alu 0xfffd
	v_add_co_ci_u32_e64 v23, null, 0, v12, vcc_lo
	s_delay_alu instid0(VALU_DEP_2) | instskip(SKIP_4) | instid1(VALU_DEP_3)
	v_mad_co_u64_u32 v[24:25], null, 0x90, v22, s[10:11]
	s_wait_loadcnt 0x0
	v_sub_co_u32 v26, vcc_lo, v9, s12
	s_wait_alu 0xfffd
	v_subrev_co_ci_u32_e64 v27, null, 0, v10, vcc_lo
	v_mov_b32_e32 v11, v25
	s_delay_alu instid0(VALU_DEP_2) | instskip(NEXT) | instid1(VALU_DEP_2)
	v_cmp_lt_i64_e64 s2, v[22:23], v[26:27]
	v_mad_co_u64_u32 v[11:12], null, 0x90, v23, v[11:12]
	s_delay_alu instid0(VALU_DEP_1)
	v_mov_b32_e32 v25, v11
	s_cbranch_scc1 .LBB38_17
; %bb.12:
	v_mov_b32_e32 v9, 0
	v_dual_mov_b32 v13, 0 :: v_dual_mov_b32 v18, 0
	v_dual_mov_b32 v10, 0 :: v_dual_mov_b32 v11, 0
	;; [unrolled: 1-line block ×4, first 2 shown]
	v_mov_b32_e32 v12, 0
	v_dual_mov_b32 v16, 0 :: v_dual_mov_b32 v21, 0
	s_and_saveexec_b32 s6, s2
	s_cbranch_execz .LBB38_16
; %bb.13:
	v_lshlrev_b64_e32 v[11:12], 2, v[22:23]
	v_mov_b32_e32 v9, 0
	v_dual_mov_b32 v10, 0 :: v_dual_mov_b32 v29, v23
	v_dual_mov_b32 v15, 0 :: v_dual_mov_b32 v18, 0
	s_delay_alu instid0(VALU_DEP_4)
	v_add_co_u32 v30, vcc_lo, s8, v11
	s_wait_alu 0xfffd
	v_add_co_ci_u32_e64 v31, null, s9, v12, vcc_lo
	v_mov_b32_e32 v11, 0
	v_dual_mov_b32 v12, 0 :: v_dual_mov_b32 v13, 0
	v_dual_mov_b32 v20, 0 :: v_dual_mov_b32 v33, v25
	v_mov_b32_e32 v28, v22
	v_mov_b32_e32 v14, 0
	v_dual_mov_b32 v16, 0 :: v_dual_mov_b32 v19, 0
	v_dual_mov_b32 v21, 0 :: v_dual_mov_b32 v32, v24
	s_mov_b32 s7, 0
.LBB38_14:                              ; =>This Inner Loop Header: Depth=1
	global_load_b32 v54, v[30:31], off
	s_clause 0x4
	global_load_b128 v[34:37], v[32:33], off offset:48
	global_load_b128 v[38:41], v[32:33], off offset:16
	global_load_b128 v[42:45], v[32:33], off
	global_load_b128 v[46:49], v[32:33], off offset:112
	global_load_b128 v[50:53], v[32:33], off offset:96
	v_add_co_u32 v30, s3, 0x80, v30
	s_wait_alu 0xf1ff
	v_add_co_ci_u32_e64 v31, null, 0, v31, s3
	s_wait_loadcnt 0x5
	v_subrev_nc_u32_e32 v54, s12, v54
	s_delay_alu instid0(VALU_DEP_1) | instskip(NEXT) | instid1(VALU_DEP_1)
	v_lshl_add_u32 v54, v54, 1, v54
	v_ashrrev_i32_e32 v55, 31, v54
	s_delay_alu instid0(VALU_DEP_1) | instskip(SKIP_1) | instid1(VALU_DEP_1)
	v_lshlrev_b64_e32 v[54:55], 4, v[54:55]
	s_wait_kmcnt 0x0
	v_add_co_u32 v78, vcc_lo, s4, v54
	s_wait_alu 0xfffd
	s_delay_alu instid0(VALU_DEP_2)
	v_add_co_ci_u32_e64 v79, null, s5, v55, vcc_lo
	v_add_co_u32 v28, vcc_lo, v28, 32
	s_wait_alu 0xfffd
	v_add_co_ci_u32_e64 v29, null, 0, v29, vcc_lo
	s_clause 0x1
	global_load_b128 v[54:57], v[78:79], off
	global_load_b128 v[58:61], v[78:79], off offset:16
	s_clause 0x3
	global_load_b128 v[62:65], v[32:33], off offset:64
	global_load_b128 v[66:69], v[32:33], off offset:80
	;; [unrolled: 1-line block ×5, first 2 shown]
	v_add_co_u32 v32, vcc_lo, 0x1200, v32
	s_wait_alu 0xfffd
	v_add_co_ci_u32_e64 v33, null, 0, v33, vcc_lo
	v_cmp_ge_i64_e32 vcc_lo, v[28:29], v[26:27]
	s_wait_alu 0xfffe
	s_or_b32 s7, vcc_lo, s7
	s_wait_loadcnt 0x6
	v_fma_f64 v[11:12], v[42:43], v[54:55], v[11:12]
	v_fma_f64 v[9:10], v[44:45], v[54:55], v[9:10]
	;; [unrolled: 1-line block ×6, first 2 shown]
	v_fma_f64 v[11:12], -v[44:45], v[56:57], v[11:12]
	v_fma_f64 v[9:10], v[42:43], v[56:57], v[9:10]
	v_fma_f64 v[18:19], -v[36:37], v[56:57], v[18:19]
	v_fma_f64 v[20:21], v[34:35], v[56:57], v[20:21]
	;; [unrolled: 2-line block ×3, first 2 shown]
	s_wait_loadcnt 0x5
	v_fma_f64 v[11:12], v[38:39], v[58:59], v[11:12]
	v_fma_f64 v[9:10], v[40:41], v[58:59], v[9:10]
	s_wait_loadcnt 0x4
	v_fma_f64 v[18:19], v[62:63], v[58:59], v[18:19]
	v_fma_f64 v[20:21], v[64:65], v[58:59], v[20:21]
	;; [unrolled: 1-line block ×4, first 2 shown]
	v_fma_f64 v[11:12], -v[40:41], v[60:61], v[11:12]
	v_fma_f64 v[9:10], v[38:39], v[60:61], v[9:10]
	v_fma_f64 v[18:19], -v[64:65], v[60:61], v[18:19]
	v_fma_f64 v[20:21], v[62:63], v[60:61], v[20:21]
	v_fma_f64 v[13:14], -v[48:49], v[60:61], v[13:14]
	v_fma_f64 v[15:16], v[46:47], v[60:61], v[15:16]
	s_wait_loadcnt 0x0
	v_fma_f64 v[11:12], v[70:71], v[78:79], v[11:12]
	v_fma_f64 v[9:10], v[72:73], v[78:79], v[9:10]
	;; [unrolled: 1-line block ×6, first 2 shown]
	v_fma_f64 v[11:12], -v[72:73], v[80:81], v[11:12]
	v_fma_f64 v[9:10], v[70:71], v[80:81], v[9:10]
	v_fma_f64 v[18:19], -v[68:69], v[80:81], v[18:19]
	v_fma_f64 v[20:21], v[66:67], v[80:81], v[20:21]
	;; [unrolled: 2-line block ×3, first 2 shown]
	s_wait_alu 0xfffe
	s_and_not1_b32 exec_lo, exec_lo, s7
	s_cbranch_execnz .LBB38_14
; %bb.15:
	s_or_b32 exec_lo, exec_lo, s7
.LBB38_16:
	s_wait_alu 0xfffe
	s_or_b32 exec_lo, exec_lo, s6
	s_cbranch_execz .LBB38_18
	s_branch .LBB38_23
.LBB38_17:
                                        ; implicit-def: $vgpr9_vgpr10
                                        ; implicit-def: $vgpr11_vgpr12
                                        ; implicit-def: $vgpr13_vgpr14
                                        ; implicit-def: $vgpr15_vgpr16
                                        ; implicit-def: $vgpr18_vgpr19
                                        ; implicit-def: $vgpr20_vgpr21
.LBB38_18:
	v_mov_b32_e32 v9, 0
	v_dual_mov_b32 v13, 0 :: v_dual_mov_b32 v18, 0
	v_dual_mov_b32 v10, 0 :: v_dual_mov_b32 v11, 0
	;; [unrolled: 1-line block ×4, first 2 shown]
	v_mov_b32_e32 v12, 0
	v_dual_mov_b32 v16, 0 :: v_dual_mov_b32 v21, 0
	s_and_saveexec_b32 s3, s2
	s_cbranch_execz .LBB38_22
; %bb.19:
	v_lshlrev_b64_e32 v[28:29], 2, v[22:23]
	v_mov_b32_e32 v9, 0
	v_dual_mov_b32 v13, 0 :: v_dual_mov_b32 v18, 0
	v_dual_mov_b32 v10, 0 :: v_dual_mov_b32 v11, 0
	s_delay_alu instid0(VALU_DEP_4)
	v_add_co_u32 v28, vcc_lo, s8, v28
	v_dual_mov_b32 v14, 0 :: v_dual_mov_b32 v15, 0
	v_dual_mov_b32 v19, 0 :: v_dual_mov_b32 v20, 0
	v_mov_b32_e32 v12, 0
	v_dual_mov_b32 v16, 0 :: v_dual_mov_b32 v21, 0
	s_wait_alu 0xfffd
	v_add_co_ci_u32_e64 v29, null, s9, v29, vcc_lo
	s_mov_b32 s6, 0
.LBB38_20:                              ; =>This Inner Loop Header: Depth=1
	global_load_b32 v46, v[28:29], off
	s_clause 0x3
	global_load_b128 v[30:33], v[24:25], off offset:48
	global_load_b128 v[34:37], v[24:25], off offset:32
	;; [unrolled: 1-line block ×3, first 2 shown]
	global_load_b128 v[42:45], v[24:25], off
	v_add_co_u32 v28, s2, 0x80, v28
	s_wait_alu 0xf1ff
	v_add_co_ci_u32_e64 v29, null, 0, v29, s2
	s_wait_loadcnt 0x4
	v_subrev_nc_u32_e32 v46, s12, v46
	s_delay_alu instid0(VALU_DEP_1) | instskip(NEXT) | instid1(VALU_DEP_1)
	v_lshl_add_u32 v46, v46, 1, v46
	v_ashrrev_i32_e32 v47, 31, v46
	s_delay_alu instid0(VALU_DEP_1) | instskip(SKIP_1) | instid1(VALU_DEP_1)
	v_lshlrev_b64_e32 v[46:47], 4, v[46:47]
	s_wait_kmcnt 0x0
	v_add_co_u32 v74, vcc_lo, s4, v46
	s_wait_alu 0xfffd
	s_delay_alu instid0(VALU_DEP_2)
	v_add_co_ci_u32_e64 v75, null, s5, v47, vcc_lo
	v_add_co_u32 v22, vcc_lo, v22, 32
	s_wait_alu 0xfffd
	v_add_co_ci_u32_e64 v23, null, 0, v23, vcc_lo
	s_clause 0x1
	global_load_b128 v[46:49], v[74:75], off
	global_load_b128 v[50:53], v[74:75], off offset:16
	s_clause 0x4
	global_load_b128 v[54:57], v[24:25], off offset:64
	global_load_b128 v[58:61], v[24:25], off offset:80
	;; [unrolled: 1-line block ×6, first 2 shown]
	v_add_co_u32 v24, vcc_lo, 0x1200, v24
	s_wait_alu 0xfffd
	v_add_co_ci_u32_e64 v25, null, 0, v25, vcc_lo
	v_cmp_ge_i64_e32 vcc_lo, v[22:23], v[26:27]
	s_wait_alu 0xfffe
	s_or_b32 s6, vcc_lo, s6
	s_wait_loadcnt 0x7
	v_fma_f64 v[11:12], v[42:43], v[46:47], v[11:12]
	v_fma_f64 v[9:10], v[44:45], v[46:47], v[9:10]
	v_fma_f64 v[18:19], v[38:39], v[46:47], v[18:19]
	v_fma_f64 v[20:21], v[40:41], v[46:47], v[20:21]
	v_fma_f64 v[13:14], v[34:35], v[46:47], v[13:14]
	v_fma_f64 v[15:16], v[36:37], v[46:47], v[15:16]
	v_fma_f64 v[11:12], -v[44:45], v[48:49], v[11:12]
	v_fma_f64 v[9:10], v[42:43], v[48:49], v[9:10]
	v_fma_f64 v[18:19], -v[40:41], v[48:49], v[18:19]
	v_fma_f64 v[20:21], v[38:39], v[48:49], v[20:21]
	;; [unrolled: 2-line block ×3, first 2 shown]
	s_wait_loadcnt 0x6
	v_fma_f64 v[11:12], v[30:31], v[50:51], v[11:12]
	v_fma_f64 v[9:10], v[32:33], v[50:51], v[9:10]
	s_wait_loadcnt 0x5
	v_fma_f64 v[18:19], v[54:55], v[50:51], v[18:19]
	v_fma_f64 v[20:21], v[56:57], v[50:51], v[20:21]
	s_wait_loadcnt 0x4
	v_fma_f64 v[13:14], v[58:59], v[50:51], v[13:14]
	v_fma_f64 v[15:16], v[60:61], v[50:51], v[15:16]
	v_fma_f64 v[11:12], -v[32:33], v[52:53], v[11:12]
	v_fma_f64 v[9:10], v[30:31], v[52:53], v[9:10]
	v_fma_f64 v[18:19], -v[56:57], v[52:53], v[18:19]
	v_fma_f64 v[20:21], v[54:55], v[52:53], v[20:21]
	;; [unrolled: 2-line block ×3, first 2 shown]
	s_wait_loadcnt 0x0
	v_fma_f64 v[11:12], v[66:67], v[74:75], v[11:12]
	v_fma_f64 v[9:10], v[68:69], v[74:75], v[9:10]
	;; [unrolled: 1-line block ×6, first 2 shown]
	v_fma_f64 v[11:12], -v[68:69], v[76:77], v[11:12]
	v_fma_f64 v[9:10], v[66:67], v[76:77], v[9:10]
	v_fma_f64 v[18:19], -v[64:65], v[76:77], v[18:19]
	v_fma_f64 v[20:21], v[62:63], v[76:77], v[20:21]
	v_fma_f64 v[13:14], -v[72:73], v[76:77], v[13:14]
	v_fma_f64 v[15:16], v[70:71], v[76:77], v[15:16]
	s_wait_alu 0xfffe
	s_and_not1_b32 exec_lo, exec_lo, s6
	s_cbranch_execnz .LBB38_20
; %bb.21:
	s_or_b32 exec_lo, exec_lo, s6
.LBB38_22:
	s_wait_alu 0xfffe
	s_or_b32 exec_lo, exec_lo, s3
.LBB38_23:
	v_mbcnt_lo_u32_b32 v34, -1, 0
	s_delay_alu instid0(VALU_DEP_1) | instskip(NEXT) | instid1(VALU_DEP_1)
	v_xor_b32_e32 v22, 16, v34
	v_cmp_gt_i32_e32 vcc_lo, 32, v22
	s_wait_alu 0xfffd
	v_cndmask_b32_e32 v22, v34, v22, vcc_lo
	s_delay_alu instid0(VALU_DEP_1)
	v_lshlrev_b32_e32 v33, 2, v22
	ds_bpermute_b32 v22, v33, v11
	ds_bpermute_b32 v23, v33, v12
	;; [unrolled: 1-line block ×12, first 2 shown]
	s_wait_dscnt 0xa
	v_add_f64_e32 v[11:12], v[11:12], v[22:23]
	v_xor_b32_e32 v22, 8, v34
	s_wait_dscnt 0x8
	v_add_f64_e32 v[9:10], v[9:10], v[24:25]
	s_wait_dscnt 0x6
	v_add_f64_e32 v[18:19], v[18:19], v[26:27]
	;; [unrolled: 2-line block ×3, first 2 shown]
	v_cmp_gt_i32_e32 vcc_lo, 32, v22
	s_wait_dscnt 0x2
	v_add_f64_e32 v[13:14], v[13:14], v[30:31]
	s_wait_dscnt 0x0
	v_add_f64_e32 v[15:16], v[15:16], v[32:33]
	s_wait_alu 0xfffd
	v_cndmask_b32_e32 v22, v34, v22, vcc_lo
	s_delay_alu instid0(VALU_DEP_1)
	v_lshlrev_b32_e32 v33, 2, v22
	ds_bpermute_b32 v22, v33, v11
	ds_bpermute_b32 v23, v33, v12
	;; [unrolled: 1-line block ×12, first 2 shown]
	s_wait_dscnt 0xa
	v_add_f64_e32 v[11:12], v[11:12], v[22:23]
	v_xor_b32_e32 v22, 4, v34
	s_wait_dscnt 0x8
	v_add_f64_e32 v[9:10], v[9:10], v[24:25]
	s_wait_dscnt 0x6
	v_add_f64_e32 v[18:19], v[18:19], v[26:27]
	;; [unrolled: 2-line block ×3, first 2 shown]
	v_cmp_gt_i32_e32 vcc_lo, 32, v22
	s_wait_dscnt 0x2
	v_add_f64_e32 v[13:14], v[13:14], v[30:31]
	s_wait_dscnt 0x0
	v_add_f64_e32 v[15:16], v[15:16], v[32:33]
	s_wait_alu 0xfffd
	v_cndmask_b32_e32 v22, v34, v22, vcc_lo
	s_delay_alu instid0(VALU_DEP_1)
	v_lshlrev_b32_e32 v33, 2, v22
	ds_bpermute_b32 v22, v33, v11
	ds_bpermute_b32 v23, v33, v12
	;; [unrolled: 1-line block ×12, first 2 shown]
	s_wait_dscnt 0xa
	v_add_f64_e32 v[11:12], v[11:12], v[22:23]
	s_wait_dscnt 0x8
	v_add_f64_e32 v[22:23], v[9:10], v[24:25]
	v_xor_b32_e32 v9, 2, v34
	s_wait_dscnt 0x6
	v_add_f64_e32 v[18:19], v[18:19], v[26:27]
	s_wait_dscnt 0x4
	v_add_f64_e32 v[20:21], v[20:21], v[28:29]
	;; [unrolled: 2-line block ×3, first 2 shown]
	v_cmp_gt_i32_e32 vcc_lo, 32, v9
	s_wait_dscnt 0x0
	v_add_f64_e32 v[15:16], v[15:16], v[32:33]
	s_wait_alu 0xfffd
	v_cndmask_b32_e32 v9, v34, v9, vcc_lo
	s_delay_alu instid0(VALU_DEP_1)
	v_lshlrev_b32_e32 v33, 2, v9
	ds_bpermute_b32 v9, v33, v11
	ds_bpermute_b32 v10, v33, v12
	ds_bpermute_b32 v24, v33, v22
	ds_bpermute_b32 v25, v33, v23
	ds_bpermute_b32 v26, v33, v18
	ds_bpermute_b32 v27, v33, v19
	ds_bpermute_b32 v28, v33, v20
	ds_bpermute_b32 v29, v33, v21
	ds_bpermute_b32 v30, v33, v13
	ds_bpermute_b32 v31, v33, v14
	ds_bpermute_b32 v32, v33, v15
	ds_bpermute_b32 v33, v33, v16
	s_wait_dscnt 0xa
	v_add_f64_e32 v[9:10], v[11:12], v[9:10]
	s_wait_dscnt 0x8
	v_add_f64_e32 v[22:23], v[22:23], v[24:25]
	;; [unrolled: 2-line block ×4, first 2 shown]
	v_xor_b32_e32 v20, 1, v34
	s_wait_dscnt 0x2
	v_add_f64_e32 v[13:14], v[13:14], v[30:31]
	s_wait_dscnt 0x0
	v_add_f64_e32 v[15:16], v[15:16], v[32:33]
	v_cmp_gt_i32_e32 vcc_lo, 32, v20
	s_wait_alu 0xfffd
	v_cndmask_b32_e32 v20, v34, v20, vcc_lo
	v_cmp_eq_u32_e32 vcc_lo, 31, v0
	s_delay_alu instid0(VALU_DEP_2)
	v_lshlrev_b32_e32 v29, 2, v20
	ds_bpermute_b32 v20, v29, v9
	ds_bpermute_b32 v21, v29, v10
	;; [unrolled: 1-line block ×12, first 2 shown]
	s_and_b32 exec_lo, exec_lo, vcc_lo
	s_cbranch_execz .LBB38_8
; %bb.24:
	s_wait_dscnt 0x8
	v_add_f64_e32 v[22:23], v[22:23], v[32:33]
	s_wait_dscnt 0x4
	v_add_f64_e32 v[18:19], v[18:19], v[30:31]
	;; [unrolled: 2-line block ×3, first 2 shown]
	v_add_f64_e32 v[9:10], v[9:10], v[20:21]
	v_add_f64_e32 v[11:12], v[11:12], v[24:25]
	v_add_f64_e32 v[20:21], v[13:14], v[26:27]
	v_cmp_eq_f64_e32 vcc_lo, 0, v[1:2]
	v_cmp_eq_f64_e64 s2, 0, v[3:4]
	s_load_b64 s[0:1], s[0:1], 0x60
	v_lshl_add_u32 v17, v17, 1, v17
	v_mul_f64_e64 v[13:14], v[22:23], -v[7:8]
	v_mul_f64_e32 v[22:23], v[5:6], v[22:23]
	v_mul_f64_e64 v[24:25], v[18:19], -v[7:8]
	v_mul_f64_e32 v[18:19], v[5:6], v[18:19]
	;; [unrolled: 2-line block ×3, first 2 shown]
	s_and_b32 s2, vcc_lo, s2
	v_fma_f64 v[13:14], v[5:6], v[9:10], v[13:14]
	v_fma_f64 v[15:16], v[7:8], v[9:10], v[22:23]
	;; [unrolled: 1-line block ×6, first 2 shown]
	v_ashrrev_i32_e32 v18, 31, v17
	s_wait_alu 0xfffe
	s_and_saveexec_b32 s3, s2
	s_wait_alu 0xfffe
	s_xor_b32 s2, exec_lo, s3
	s_cbranch_execz .LBB38_26
; %bb.25:
	v_lshlrev_b64_e32 v[0:1], 4, v[17:18]
                                        ; implicit-def: $vgpr17
	s_wait_kmcnt 0x0
	s_delay_alu instid0(VALU_DEP_1) | instskip(SKIP_1) | instid1(VALU_DEP_2)
	v_add_co_u32 v0, vcc_lo, s0, v0
	s_wait_alu 0xfffd
	v_add_co_ci_u32_e64 v1, null, s1, v1, vcc_lo
	s_clause 0x2
	global_store_b128 v[0:1], v[13:16], off
	global_store_b128 v[0:1], v[9:12], off offset:16
	global_store_b128 v[0:1], v[5:8], off offset:32
                                        ; implicit-def: $vgpr3_vgpr4
                                        ; implicit-def: $vgpr13_vgpr14
                                        ; implicit-def: $vgpr9_vgpr10
                                        ; implicit-def: $vgpr5_vgpr6
.LBB38_26:
	s_wait_alu 0xfffe
	s_and_not1_saveexec_b32 s2, s2
	s_cbranch_execz .LBB38_8
; %bb.27:
	v_lshlrev_b64_e32 v[17:18], 4, v[17:18]
	s_wait_kmcnt 0x0
	s_delay_alu instid0(VALU_DEP_1) | instskip(SKIP_1) | instid1(VALU_DEP_2)
	v_add_co_u32 v29, vcc_lo, s0, v17
	s_wait_alu 0xfffd
	v_add_co_ci_u32_e64 v30, null, s1, v18, vcc_lo
	s_clause 0x2
	global_load_b128 v[17:20], v[29:30], off
	global_load_b128 v[21:24], v[29:30], off offset:16
	global_load_b128 v[25:28], v[29:30], off offset:32
	s_wait_loadcnt 0x2
	v_fma_f64 v[13:14], v[1:2], v[17:18], v[13:14]
	v_fma_f64 v[15:16], v[3:4], v[17:18], v[15:16]
	s_wait_loadcnt 0x1
	v_fma_f64 v[9:10], v[1:2], v[21:22], v[9:10]
	v_fma_f64 v[11:12], v[3:4], v[21:22], v[11:12]
	;; [unrolled: 3-line block ×3, first 2 shown]
	v_fma_f64 v[5:6], -v[3:4], v[19:20], v[13:14]
	v_fma_f64 v[7:8], v[1:2], v[19:20], v[15:16]
	v_fma_f64 v[9:10], -v[3:4], v[23:24], v[9:10]
	v_fma_f64 v[11:12], v[1:2], v[23:24], v[11:12]
	;; [unrolled: 2-line block ×3, first 2 shown]
	s_clause 0x2
	global_store_b128 v[29:30], v[5:8], off
	global_store_b128 v[29:30], v[9:12], off offset:16
	global_store_b128 v[29:30], v[13:16], off offset:32
	s_endpgm
	.section	.rodata,"a",@progbits
	.p2align	6, 0x0
	.amdhsa_kernel _ZN9rocsparseL18bsrxmvn_3x3_kernelILj256ELj32E21rocsparse_complex_numIdEliS2_S2_S2_EEvT3_20rocsparse_direction_NS_24const_host_device_scalarIT1_EES3_PKS3_PKT2_SC_S9_PKT4_PKT5_S7_PT6_21rocsparse_index_base_b
		.amdhsa_group_segment_fixed_size 0
		.amdhsa_private_segment_fixed_size 0
		.amdhsa_kernarg_size 112
		.amdhsa_user_sgpr_count 2
		.amdhsa_user_sgpr_dispatch_ptr 0
		.amdhsa_user_sgpr_queue_ptr 0
		.amdhsa_user_sgpr_kernarg_segment_ptr 1
		.amdhsa_user_sgpr_dispatch_id 0
		.amdhsa_user_sgpr_private_segment_size 0
		.amdhsa_wavefront_size32 1
		.amdhsa_uses_dynamic_stack 0
		.amdhsa_enable_private_segment 0
		.amdhsa_system_sgpr_workgroup_id_x 1
		.amdhsa_system_sgpr_workgroup_id_y 0
		.amdhsa_system_sgpr_workgroup_id_z 0
		.amdhsa_system_sgpr_workgroup_info 0
		.amdhsa_system_vgpr_workitem_id 0
		.amdhsa_next_free_vgpr 82
		.amdhsa_next_free_sgpr 14
		.amdhsa_reserve_vcc 1
		.amdhsa_float_round_mode_32 0
		.amdhsa_float_round_mode_16_64 0
		.amdhsa_float_denorm_mode_32 3
		.amdhsa_float_denorm_mode_16_64 3
		.amdhsa_fp16_overflow 0
		.amdhsa_workgroup_processor_mode 1
		.amdhsa_memory_ordered 1
		.amdhsa_forward_progress 1
		.amdhsa_inst_pref_size 28
		.amdhsa_round_robin_scheduling 0
		.amdhsa_exception_fp_ieee_invalid_op 0
		.amdhsa_exception_fp_denorm_src 0
		.amdhsa_exception_fp_ieee_div_zero 0
		.amdhsa_exception_fp_ieee_overflow 0
		.amdhsa_exception_fp_ieee_underflow 0
		.amdhsa_exception_fp_ieee_inexact 0
		.amdhsa_exception_int_div_zero 0
	.end_amdhsa_kernel
	.section	.text._ZN9rocsparseL18bsrxmvn_3x3_kernelILj256ELj32E21rocsparse_complex_numIdEliS2_S2_S2_EEvT3_20rocsparse_direction_NS_24const_host_device_scalarIT1_EES3_PKS3_PKT2_SC_S9_PKT4_PKT5_S7_PT6_21rocsparse_index_base_b,"axG",@progbits,_ZN9rocsparseL18bsrxmvn_3x3_kernelILj256ELj32E21rocsparse_complex_numIdEliS2_S2_S2_EEvT3_20rocsparse_direction_NS_24const_host_device_scalarIT1_EES3_PKS3_PKT2_SC_S9_PKT4_PKT5_S7_PT6_21rocsparse_index_base_b,comdat
.Lfunc_end38:
	.size	_ZN9rocsparseL18bsrxmvn_3x3_kernelILj256ELj32E21rocsparse_complex_numIdEliS2_S2_S2_EEvT3_20rocsparse_direction_NS_24const_host_device_scalarIT1_EES3_PKS3_PKT2_SC_S9_PKT4_PKT5_S7_PT6_21rocsparse_index_base_b, .Lfunc_end38-_ZN9rocsparseL18bsrxmvn_3x3_kernelILj256ELj32E21rocsparse_complex_numIdEliS2_S2_S2_EEvT3_20rocsparse_direction_NS_24const_host_device_scalarIT1_EES3_PKS3_PKT2_SC_S9_PKT4_PKT5_S7_PT6_21rocsparse_index_base_b
                                        ; -- End function
	.set _ZN9rocsparseL18bsrxmvn_3x3_kernelILj256ELj32E21rocsparse_complex_numIdEliS2_S2_S2_EEvT3_20rocsparse_direction_NS_24const_host_device_scalarIT1_EES3_PKS3_PKT2_SC_S9_PKT4_PKT5_S7_PT6_21rocsparse_index_base_b.num_vgpr, 82
	.set _ZN9rocsparseL18bsrxmvn_3x3_kernelILj256ELj32E21rocsparse_complex_numIdEliS2_S2_S2_EEvT3_20rocsparse_direction_NS_24const_host_device_scalarIT1_EES3_PKS3_PKT2_SC_S9_PKT4_PKT5_S7_PT6_21rocsparse_index_base_b.num_agpr, 0
	.set _ZN9rocsparseL18bsrxmvn_3x3_kernelILj256ELj32E21rocsparse_complex_numIdEliS2_S2_S2_EEvT3_20rocsparse_direction_NS_24const_host_device_scalarIT1_EES3_PKS3_PKT2_SC_S9_PKT4_PKT5_S7_PT6_21rocsparse_index_base_b.numbered_sgpr, 14
	.set _ZN9rocsparseL18bsrxmvn_3x3_kernelILj256ELj32E21rocsparse_complex_numIdEliS2_S2_S2_EEvT3_20rocsparse_direction_NS_24const_host_device_scalarIT1_EES3_PKS3_PKT2_SC_S9_PKT4_PKT5_S7_PT6_21rocsparse_index_base_b.num_named_barrier, 0
	.set _ZN9rocsparseL18bsrxmvn_3x3_kernelILj256ELj32E21rocsparse_complex_numIdEliS2_S2_S2_EEvT3_20rocsparse_direction_NS_24const_host_device_scalarIT1_EES3_PKS3_PKT2_SC_S9_PKT4_PKT5_S7_PT6_21rocsparse_index_base_b.private_seg_size, 0
	.set _ZN9rocsparseL18bsrxmvn_3x3_kernelILj256ELj32E21rocsparse_complex_numIdEliS2_S2_S2_EEvT3_20rocsparse_direction_NS_24const_host_device_scalarIT1_EES3_PKS3_PKT2_SC_S9_PKT4_PKT5_S7_PT6_21rocsparse_index_base_b.uses_vcc, 1
	.set _ZN9rocsparseL18bsrxmvn_3x3_kernelILj256ELj32E21rocsparse_complex_numIdEliS2_S2_S2_EEvT3_20rocsparse_direction_NS_24const_host_device_scalarIT1_EES3_PKS3_PKT2_SC_S9_PKT4_PKT5_S7_PT6_21rocsparse_index_base_b.uses_flat_scratch, 0
	.set _ZN9rocsparseL18bsrxmvn_3x3_kernelILj256ELj32E21rocsparse_complex_numIdEliS2_S2_S2_EEvT3_20rocsparse_direction_NS_24const_host_device_scalarIT1_EES3_PKS3_PKT2_SC_S9_PKT4_PKT5_S7_PT6_21rocsparse_index_base_b.has_dyn_sized_stack, 0
	.set _ZN9rocsparseL18bsrxmvn_3x3_kernelILj256ELj32E21rocsparse_complex_numIdEliS2_S2_S2_EEvT3_20rocsparse_direction_NS_24const_host_device_scalarIT1_EES3_PKS3_PKT2_SC_S9_PKT4_PKT5_S7_PT6_21rocsparse_index_base_b.has_recursion, 0
	.set _ZN9rocsparseL18bsrxmvn_3x3_kernelILj256ELj32E21rocsparse_complex_numIdEliS2_S2_S2_EEvT3_20rocsparse_direction_NS_24const_host_device_scalarIT1_EES3_PKS3_PKT2_SC_S9_PKT4_PKT5_S7_PT6_21rocsparse_index_base_b.has_indirect_call, 0
	.section	.AMDGPU.csdata,"",@progbits
; Kernel info:
; codeLenInByte = 3564
; TotalNumSgprs: 16
; NumVgprs: 82
; ScratchSize: 0
; MemoryBound: 0
; FloatMode: 240
; IeeeMode: 1
; LDSByteSize: 0 bytes/workgroup (compile time only)
; SGPRBlocks: 0
; VGPRBlocks: 10
; NumSGPRsForWavesPerEU: 16
; NumVGPRsForWavesPerEU: 82
; Occupancy: 16
; WaveLimiterHint : 1
; COMPUTE_PGM_RSRC2:SCRATCH_EN: 0
; COMPUTE_PGM_RSRC2:USER_SGPR: 2
; COMPUTE_PGM_RSRC2:TRAP_HANDLER: 0
; COMPUTE_PGM_RSRC2:TGID_X_EN: 1
; COMPUTE_PGM_RSRC2:TGID_Y_EN: 0
; COMPUTE_PGM_RSRC2:TGID_Z_EN: 0
; COMPUTE_PGM_RSRC2:TIDIG_COMP_CNT: 0
	.section	.text._ZN9rocsparseL18bsrxmvn_3x3_kernelILj256ELj64E21rocsparse_complex_numIdEliS2_S2_S2_EEvT3_20rocsparse_direction_NS_24const_host_device_scalarIT1_EES3_PKS3_PKT2_SC_S9_PKT4_PKT5_S7_PT6_21rocsparse_index_base_b,"axG",@progbits,_ZN9rocsparseL18bsrxmvn_3x3_kernelILj256ELj64E21rocsparse_complex_numIdEliS2_S2_S2_EEvT3_20rocsparse_direction_NS_24const_host_device_scalarIT1_EES3_PKS3_PKT2_SC_S9_PKT4_PKT5_S7_PT6_21rocsparse_index_base_b,comdat
	.globl	_ZN9rocsparseL18bsrxmvn_3x3_kernelILj256ELj64E21rocsparse_complex_numIdEliS2_S2_S2_EEvT3_20rocsparse_direction_NS_24const_host_device_scalarIT1_EES3_PKS3_PKT2_SC_S9_PKT4_PKT5_S7_PT6_21rocsparse_index_base_b ; -- Begin function _ZN9rocsparseL18bsrxmvn_3x3_kernelILj256ELj64E21rocsparse_complex_numIdEliS2_S2_S2_EEvT3_20rocsparse_direction_NS_24const_host_device_scalarIT1_EES3_PKS3_PKT2_SC_S9_PKT4_PKT5_S7_PT6_21rocsparse_index_base_b
	.p2align	8
	.type	_ZN9rocsparseL18bsrxmvn_3x3_kernelILj256ELj64E21rocsparse_complex_numIdEliS2_S2_S2_EEvT3_20rocsparse_direction_NS_24const_host_device_scalarIT1_EES3_PKS3_PKT2_SC_S9_PKT4_PKT5_S7_PT6_21rocsparse_index_base_b,@function
_ZN9rocsparseL18bsrxmvn_3x3_kernelILj256ELj64E21rocsparse_complex_numIdEliS2_S2_S2_EEvT3_20rocsparse_direction_NS_24const_host_device_scalarIT1_EES3_PKS3_PKT2_SC_S9_PKT4_PKT5_S7_PT6_21rocsparse_index_base_b: ; @_ZN9rocsparseL18bsrxmvn_3x3_kernelILj256ELj64E21rocsparse_complex_numIdEliS2_S2_S2_EEvT3_20rocsparse_direction_NS_24const_host_device_scalarIT1_EES3_PKS3_PKT2_SC_S9_PKT4_PKT5_S7_PT6_21rocsparse_index_base_b
; %bb.0:
	s_clause 0x1
	s_load_b64 s[12:13], s[0:1], 0x68
	s_load_b64 s[2:3], s[0:1], 0x8
	s_add_nc_u64 s[4:5], s[0:1], 8
	s_load_b64 s[6:7], s[0:1], 0x50
	s_wait_kmcnt 0x0
	s_bitcmp1_b32 s13, 0
	s_cselect_b32 s2, s4, s2
	s_cselect_b32 s3, s5, s3
	s_delay_alu instid0(SALU_CYCLE_1)
	v_dual_mov_b32 v1, s2 :: v_dual_mov_b32 v2, s3
	s_add_nc_u64 s[2:3], s[0:1], 0x50
	s_wait_alu 0xfffe
	s_cselect_b32 s2, s2, s6
	s_cselect_b32 s3, s3, s7
	flat_load_b128 v[5:8], v[1:2]
	s_wait_alu 0xfffe
	v_dual_mov_b32 v1, s2 :: v_dual_mov_b32 v2, s3
	flat_load_b128 v[1:4], v[1:2]
	s_wait_loadcnt_dscnt 0x101
	v_cmp_eq_f64_e32 vcc_lo, 0, v[5:6]
	v_cmp_eq_f64_e64 s2, 0, v[7:8]
	s_and_b32 s4, vcc_lo, s2
	s_mov_b32 s2, -1
	s_and_saveexec_b32 s3, s4
	s_cbranch_execz .LBB39_2
; %bb.1:
	s_wait_loadcnt_dscnt 0x0
	v_cmp_neq_f64_e32 vcc_lo, 1.0, v[1:2]
	v_cmp_neq_f64_e64 s2, 0, v[3:4]
	s_wait_alu 0xfffe
	s_or_b32 s2, vcc_lo, s2
	s_wait_alu 0xfffe
	s_or_not1_b32 s2, s2, exec_lo
.LBB39_2:
	s_wait_alu 0xfffe
	s_or_b32 exec_lo, exec_lo, s3
	s_and_saveexec_b32 s3, s2
	s_cbranch_execz .LBB39_8
; %bb.3:
	s_clause 0x1
	s_load_b64 s[4:5], s[0:1], 0x20
	s_load_b64 s[2:3], s[0:1], 0x0
	v_lshrrev_b32_e32 v9, 6, v0
	s_delay_alu instid0(VALU_DEP_1)
	v_lshl_or_b32 v17, ttmp9, 2, v9
	s_wait_kmcnt 0x0
	s_cmp_lg_u64 s[4:5], 0
	s_cbranch_scc0 .LBB39_9
; %bb.4:
	s_load_b32 s6, s[0:1], 0x18
	s_mov_b32 s7, 0
                                        ; implicit-def: $vgpr9
	s_wait_kmcnt 0x0
	v_cmp_gt_i32_e32 vcc_lo, s6, v17
	s_mov_b32 s6, 0
	s_and_saveexec_b32 s8, vcc_lo
	s_delay_alu instid0(SALU_CYCLE_1)
	s_xor_b32 s8, exec_lo, s8
	s_cbranch_execz .LBB39_6
; %bb.5:
	v_ashrrev_i32_e32 v18, 31, v17
	s_mov_b32 s6, exec_lo
	s_delay_alu instid0(VALU_DEP_1) | instskip(NEXT) | instid1(VALU_DEP_1)
	v_lshlrev_b64_e32 v[9:10], 2, v[17:18]
	v_add_co_u32 v9, vcc_lo, s4, v9
	s_delay_alu instid0(VALU_DEP_1)
	v_add_co_ci_u32_e64 v10, null, s5, v10, vcc_lo
	global_load_b32 v9, v[9:10], off
	s_wait_loadcnt 0x0
	v_subrev_nc_u32_e32 v9, s12, v9
.LBB39_6:
	s_or_b32 exec_lo, exec_lo, s8
	s_delay_alu instid0(SALU_CYCLE_1)
	s_and_b32 vcc_lo, exec_lo, s7
	s_wait_alu 0xfffe
	s_cbranch_vccz .LBB39_10
.LBB39_7:
	v_cmp_gt_i32_e32 vcc_lo, s2, v17
	s_and_not1_b32 s2, s6, exec_lo
	s_and_b32 s4, vcc_lo, exec_lo
	s_wait_alu 0xfffe
	s_or_b32 s6, s2, s4
	s_wait_alu 0xfffe
	s_and_b32 exec_lo, exec_lo, s6
	s_cbranch_execnz .LBB39_11
.LBB39_8:
	s_endpgm
.LBB39_9:
	s_mov_b32 s6, 0
                                        ; implicit-def: $vgpr9
	s_cbranch_execnz .LBB39_7
.LBB39_10:
	v_mov_b32_e32 v17, v9
	s_and_b32 exec_lo, exec_lo, s6
	s_cbranch_execz .LBB39_8
.LBB39_11:
	s_load_b256 s[4:11], s[0:1], 0x28
	s_delay_alu instid0(VALU_DEP_1) | instskip(SKIP_1) | instid1(VALU_DEP_2)
	v_ashrrev_i32_e32 v18, 31, v17
	v_and_b32_e32 v0, 63, v0
	v_lshlrev_b64_e32 v[9:10], 3, v[17:18]
	s_wait_kmcnt 0x0
	s_delay_alu instid0(VALU_DEP_1) | instskip(SKIP_1) | instid1(VALU_DEP_2)
	v_add_co_u32 v11, vcc_lo, s4, v9
	s_wait_alu 0xfffd
	v_add_co_ci_u32_e64 v12, null, s5, v10, vcc_lo
	v_add_co_u32 v9, vcc_lo, s6, v9
	s_wait_alu 0xfffd
	v_add_co_ci_u32_e64 v10, null, s7, v10, vcc_lo
	global_load_b64 v[13:14], v[11:12], off
	v_add_co_u32 v11, vcc_lo, v11, 8
	s_wait_alu 0xfffd
	v_add_co_ci_u32_e64 v12, null, 0, v12, vcc_lo
	s_cmp_eq_u64 s[6:7], 0
	s_load_b64 s[4:5], s[0:1], 0x48
	s_cselect_b32 vcc_lo, -1, 0
	s_cmp_eq_u32 s3, 1
	s_wait_alu 0xfffe
	v_dual_cndmask_b32 v10, v10, v12 :: v_dual_cndmask_b32 v9, v9, v11
	global_load_b64 v[9:10], v[9:10], off
	s_wait_loadcnt 0x1
	v_sub_co_u32 v11, vcc_lo, v13, s12
	s_wait_alu 0xfffd
	v_subrev_co_ci_u32_e64 v12, null, 0, v14, vcc_lo
	s_delay_alu instid0(VALU_DEP_2) | instskip(SKIP_1) | instid1(VALU_DEP_2)
	v_add_co_u32 v22, vcc_lo, v11, v0
	s_wait_alu 0xfffd
	v_add_co_ci_u32_e64 v23, null, 0, v12, vcc_lo
	s_delay_alu instid0(VALU_DEP_2) | instskip(SKIP_4) | instid1(VALU_DEP_3)
	v_mad_co_u64_u32 v[24:25], null, 0x90, v22, s[10:11]
	s_wait_loadcnt 0x0
	v_sub_co_u32 v26, vcc_lo, v9, s12
	s_wait_alu 0xfffd
	v_subrev_co_ci_u32_e64 v27, null, 0, v10, vcc_lo
	v_mov_b32_e32 v11, v25
	s_delay_alu instid0(VALU_DEP_2) | instskip(NEXT) | instid1(VALU_DEP_2)
	v_cmp_lt_i64_e64 s2, v[22:23], v[26:27]
	v_mad_co_u64_u32 v[11:12], null, 0x90, v23, v[11:12]
	s_delay_alu instid0(VALU_DEP_1)
	v_mov_b32_e32 v25, v11
	s_cbranch_scc1 .LBB39_17
; %bb.12:
	v_mov_b32_e32 v9, 0
	v_dual_mov_b32 v13, 0 :: v_dual_mov_b32 v18, 0
	v_dual_mov_b32 v10, 0 :: v_dual_mov_b32 v11, 0
	;; [unrolled: 1-line block ×4, first 2 shown]
	v_mov_b32_e32 v12, 0
	v_dual_mov_b32 v16, 0 :: v_dual_mov_b32 v21, 0
	s_and_saveexec_b32 s6, s2
	s_cbranch_execz .LBB39_16
; %bb.13:
	v_lshlrev_b64_e32 v[11:12], 2, v[22:23]
	v_mov_b32_e32 v9, 0
	v_dual_mov_b32 v10, 0 :: v_dual_mov_b32 v29, v23
	v_dual_mov_b32 v15, 0 :: v_dual_mov_b32 v18, 0
	s_delay_alu instid0(VALU_DEP_4)
	v_add_co_u32 v30, vcc_lo, s8, v11
	s_wait_alu 0xfffd
	v_add_co_ci_u32_e64 v31, null, s9, v12, vcc_lo
	v_mov_b32_e32 v11, 0
	v_dual_mov_b32 v12, 0 :: v_dual_mov_b32 v13, 0
	v_dual_mov_b32 v20, 0 :: v_dual_mov_b32 v33, v25
	v_mov_b32_e32 v28, v22
	v_mov_b32_e32 v14, 0
	v_dual_mov_b32 v16, 0 :: v_dual_mov_b32 v19, 0
	v_dual_mov_b32 v21, 0 :: v_dual_mov_b32 v32, v24
	s_mov_b32 s7, 0
.LBB39_14:                              ; =>This Inner Loop Header: Depth=1
	global_load_b32 v54, v[30:31], off
	s_clause 0x4
	global_load_b128 v[34:37], v[32:33], off offset:48
	global_load_b128 v[38:41], v[32:33], off offset:16
	global_load_b128 v[42:45], v[32:33], off
	global_load_b128 v[46:49], v[32:33], off offset:112
	global_load_b128 v[50:53], v[32:33], off offset:96
	v_add_co_u32 v30, s3, 0x100, v30
	s_wait_alu 0xf1ff
	v_add_co_ci_u32_e64 v31, null, 0, v31, s3
	s_wait_loadcnt 0x5
	v_subrev_nc_u32_e32 v54, s12, v54
	s_delay_alu instid0(VALU_DEP_1) | instskip(NEXT) | instid1(VALU_DEP_1)
	v_lshl_add_u32 v54, v54, 1, v54
	v_ashrrev_i32_e32 v55, 31, v54
	s_delay_alu instid0(VALU_DEP_1) | instskip(SKIP_1) | instid1(VALU_DEP_1)
	v_lshlrev_b64_e32 v[54:55], 4, v[54:55]
	s_wait_kmcnt 0x0
	v_add_co_u32 v78, vcc_lo, s4, v54
	s_wait_alu 0xfffd
	s_delay_alu instid0(VALU_DEP_2)
	v_add_co_ci_u32_e64 v79, null, s5, v55, vcc_lo
	v_add_co_u32 v28, vcc_lo, v28, 64
	s_wait_alu 0xfffd
	v_add_co_ci_u32_e64 v29, null, 0, v29, vcc_lo
	s_clause 0x1
	global_load_b128 v[54:57], v[78:79], off
	global_load_b128 v[58:61], v[78:79], off offset:16
	s_clause 0x3
	global_load_b128 v[62:65], v[32:33], off offset:64
	global_load_b128 v[66:69], v[32:33], off offset:80
	;; [unrolled: 1-line block ×5, first 2 shown]
	v_add_co_u32 v32, vcc_lo, 0x2400, v32
	s_wait_alu 0xfffd
	v_add_co_ci_u32_e64 v33, null, 0, v33, vcc_lo
	v_cmp_ge_i64_e32 vcc_lo, v[28:29], v[26:27]
	s_wait_alu 0xfffe
	s_or_b32 s7, vcc_lo, s7
	s_wait_loadcnt 0x6
	v_fma_f64 v[11:12], v[42:43], v[54:55], v[11:12]
	v_fma_f64 v[9:10], v[44:45], v[54:55], v[9:10]
	;; [unrolled: 1-line block ×6, first 2 shown]
	v_fma_f64 v[11:12], -v[44:45], v[56:57], v[11:12]
	v_fma_f64 v[9:10], v[42:43], v[56:57], v[9:10]
	v_fma_f64 v[18:19], -v[36:37], v[56:57], v[18:19]
	v_fma_f64 v[20:21], v[34:35], v[56:57], v[20:21]
	v_fma_f64 v[13:14], -v[52:53], v[56:57], v[13:14]
	v_fma_f64 v[15:16], v[50:51], v[56:57], v[15:16]
	s_wait_loadcnt 0x5
	v_fma_f64 v[11:12], v[38:39], v[58:59], v[11:12]
	v_fma_f64 v[9:10], v[40:41], v[58:59], v[9:10]
	s_wait_loadcnt 0x4
	v_fma_f64 v[18:19], v[62:63], v[58:59], v[18:19]
	v_fma_f64 v[20:21], v[64:65], v[58:59], v[20:21]
	v_fma_f64 v[13:14], v[46:47], v[58:59], v[13:14]
	v_fma_f64 v[15:16], v[48:49], v[58:59], v[15:16]
	v_fma_f64 v[11:12], -v[40:41], v[60:61], v[11:12]
	v_fma_f64 v[9:10], v[38:39], v[60:61], v[9:10]
	v_fma_f64 v[18:19], -v[64:65], v[60:61], v[18:19]
	v_fma_f64 v[20:21], v[62:63], v[60:61], v[20:21]
	v_fma_f64 v[13:14], -v[48:49], v[60:61], v[13:14]
	v_fma_f64 v[15:16], v[46:47], v[60:61], v[15:16]
	s_wait_loadcnt 0x0
	v_fma_f64 v[11:12], v[70:71], v[78:79], v[11:12]
	v_fma_f64 v[9:10], v[72:73], v[78:79], v[9:10]
	;; [unrolled: 1-line block ×6, first 2 shown]
	v_fma_f64 v[11:12], -v[72:73], v[80:81], v[11:12]
	v_fma_f64 v[9:10], v[70:71], v[80:81], v[9:10]
	v_fma_f64 v[18:19], -v[68:69], v[80:81], v[18:19]
	v_fma_f64 v[20:21], v[66:67], v[80:81], v[20:21]
	;; [unrolled: 2-line block ×3, first 2 shown]
	s_wait_alu 0xfffe
	s_and_not1_b32 exec_lo, exec_lo, s7
	s_cbranch_execnz .LBB39_14
; %bb.15:
	s_or_b32 exec_lo, exec_lo, s7
.LBB39_16:
	s_wait_alu 0xfffe
	s_or_b32 exec_lo, exec_lo, s6
	s_cbranch_execz .LBB39_18
	s_branch .LBB39_23
.LBB39_17:
                                        ; implicit-def: $vgpr9_vgpr10
                                        ; implicit-def: $vgpr11_vgpr12
                                        ; implicit-def: $vgpr13_vgpr14
                                        ; implicit-def: $vgpr15_vgpr16
                                        ; implicit-def: $vgpr18_vgpr19
                                        ; implicit-def: $vgpr20_vgpr21
.LBB39_18:
	v_mov_b32_e32 v9, 0
	v_dual_mov_b32 v13, 0 :: v_dual_mov_b32 v18, 0
	v_dual_mov_b32 v10, 0 :: v_dual_mov_b32 v11, 0
	;; [unrolled: 1-line block ×4, first 2 shown]
	v_mov_b32_e32 v12, 0
	v_dual_mov_b32 v16, 0 :: v_dual_mov_b32 v21, 0
	s_and_saveexec_b32 s3, s2
	s_cbranch_execz .LBB39_22
; %bb.19:
	v_lshlrev_b64_e32 v[28:29], 2, v[22:23]
	v_mov_b32_e32 v9, 0
	v_dual_mov_b32 v13, 0 :: v_dual_mov_b32 v18, 0
	v_dual_mov_b32 v10, 0 :: v_dual_mov_b32 v11, 0
	s_delay_alu instid0(VALU_DEP_4)
	v_add_co_u32 v28, vcc_lo, s8, v28
	v_dual_mov_b32 v14, 0 :: v_dual_mov_b32 v15, 0
	v_dual_mov_b32 v19, 0 :: v_dual_mov_b32 v20, 0
	v_mov_b32_e32 v12, 0
	v_dual_mov_b32 v16, 0 :: v_dual_mov_b32 v21, 0
	s_wait_alu 0xfffd
	v_add_co_ci_u32_e64 v29, null, s9, v29, vcc_lo
	s_mov_b32 s6, 0
.LBB39_20:                              ; =>This Inner Loop Header: Depth=1
	global_load_b32 v46, v[28:29], off
	s_clause 0x3
	global_load_b128 v[30:33], v[24:25], off offset:48
	global_load_b128 v[34:37], v[24:25], off offset:32
	;; [unrolled: 1-line block ×3, first 2 shown]
	global_load_b128 v[42:45], v[24:25], off
	v_add_co_u32 v28, s2, 0x100, v28
	s_wait_alu 0xf1ff
	v_add_co_ci_u32_e64 v29, null, 0, v29, s2
	s_wait_loadcnt 0x4
	v_subrev_nc_u32_e32 v46, s12, v46
	s_delay_alu instid0(VALU_DEP_1) | instskip(NEXT) | instid1(VALU_DEP_1)
	v_lshl_add_u32 v46, v46, 1, v46
	v_ashrrev_i32_e32 v47, 31, v46
	s_delay_alu instid0(VALU_DEP_1) | instskip(SKIP_1) | instid1(VALU_DEP_1)
	v_lshlrev_b64_e32 v[46:47], 4, v[46:47]
	s_wait_kmcnt 0x0
	v_add_co_u32 v74, vcc_lo, s4, v46
	s_wait_alu 0xfffd
	s_delay_alu instid0(VALU_DEP_2)
	v_add_co_ci_u32_e64 v75, null, s5, v47, vcc_lo
	v_add_co_u32 v22, vcc_lo, v22, 64
	s_wait_alu 0xfffd
	v_add_co_ci_u32_e64 v23, null, 0, v23, vcc_lo
	s_clause 0x1
	global_load_b128 v[46:49], v[74:75], off
	global_load_b128 v[50:53], v[74:75], off offset:16
	s_clause 0x4
	global_load_b128 v[54:57], v[24:25], off offset:64
	global_load_b128 v[58:61], v[24:25], off offset:80
	;; [unrolled: 1-line block ×6, first 2 shown]
	v_add_co_u32 v24, vcc_lo, 0x2400, v24
	s_wait_alu 0xfffd
	v_add_co_ci_u32_e64 v25, null, 0, v25, vcc_lo
	v_cmp_ge_i64_e32 vcc_lo, v[22:23], v[26:27]
	s_wait_alu 0xfffe
	s_or_b32 s6, vcc_lo, s6
	s_wait_loadcnt 0x7
	v_fma_f64 v[11:12], v[42:43], v[46:47], v[11:12]
	v_fma_f64 v[9:10], v[44:45], v[46:47], v[9:10]
	;; [unrolled: 1-line block ×6, first 2 shown]
	v_fma_f64 v[11:12], -v[44:45], v[48:49], v[11:12]
	v_fma_f64 v[9:10], v[42:43], v[48:49], v[9:10]
	v_fma_f64 v[18:19], -v[40:41], v[48:49], v[18:19]
	v_fma_f64 v[20:21], v[38:39], v[48:49], v[20:21]
	;; [unrolled: 2-line block ×3, first 2 shown]
	s_wait_loadcnt 0x6
	v_fma_f64 v[11:12], v[30:31], v[50:51], v[11:12]
	v_fma_f64 v[9:10], v[32:33], v[50:51], v[9:10]
	s_wait_loadcnt 0x5
	v_fma_f64 v[18:19], v[54:55], v[50:51], v[18:19]
	v_fma_f64 v[20:21], v[56:57], v[50:51], v[20:21]
	;; [unrolled: 3-line block ×3, first 2 shown]
	v_fma_f64 v[11:12], -v[32:33], v[52:53], v[11:12]
	v_fma_f64 v[9:10], v[30:31], v[52:53], v[9:10]
	v_fma_f64 v[18:19], -v[56:57], v[52:53], v[18:19]
	v_fma_f64 v[20:21], v[54:55], v[52:53], v[20:21]
	;; [unrolled: 2-line block ×3, first 2 shown]
	s_wait_loadcnt 0x0
	v_fma_f64 v[11:12], v[66:67], v[74:75], v[11:12]
	v_fma_f64 v[9:10], v[68:69], v[74:75], v[9:10]
	;; [unrolled: 1-line block ×6, first 2 shown]
	v_fma_f64 v[11:12], -v[68:69], v[76:77], v[11:12]
	v_fma_f64 v[9:10], v[66:67], v[76:77], v[9:10]
	v_fma_f64 v[18:19], -v[64:65], v[76:77], v[18:19]
	v_fma_f64 v[20:21], v[62:63], v[76:77], v[20:21]
	;; [unrolled: 2-line block ×3, first 2 shown]
	s_wait_alu 0xfffe
	s_and_not1_b32 exec_lo, exec_lo, s6
	s_cbranch_execnz .LBB39_20
; %bb.21:
	s_or_b32 exec_lo, exec_lo, s6
.LBB39_22:
	s_wait_alu 0xfffe
	s_or_b32 exec_lo, exec_lo, s3
.LBB39_23:
	v_mbcnt_lo_u32_b32 v34, -1, 0
	s_delay_alu instid0(VALU_DEP_1) | instskip(NEXT) | instid1(VALU_DEP_1)
	v_or_b32_e32 v22, 32, v34
	v_cmp_gt_i32_e32 vcc_lo, 32, v22
	s_wait_alu 0xfffd
	v_cndmask_b32_e32 v22, v34, v22, vcc_lo
	s_delay_alu instid0(VALU_DEP_1)
	v_lshlrev_b32_e32 v33, 2, v22
	ds_bpermute_b32 v22, v33, v11
	ds_bpermute_b32 v23, v33, v12
	ds_bpermute_b32 v24, v33, v9
	ds_bpermute_b32 v25, v33, v10
	ds_bpermute_b32 v26, v33, v18
	ds_bpermute_b32 v27, v33, v19
	ds_bpermute_b32 v28, v33, v20
	ds_bpermute_b32 v29, v33, v21
	ds_bpermute_b32 v30, v33, v13
	ds_bpermute_b32 v31, v33, v14
	ds_bpermute_b32 v32, v33, v15
	ds_bpermute_b32 v33, v33, v16
	s_wait_dscnt 0xa
	v_add_f64_e32 v[11:12], v[11:12], v[22:23]
	v_xor_b32_e32 v22, 16, v34
	s_wait_dscnt 0x8
	v_add_f64_e32 v[9:10], v[9:10], v[24:25]
	s_wait_dscnt 0x6
	v_add_f64_e32 v[18:19], v[18:19], v[26:27]
	s_wait_dscnt 0x4
	v_add_f64_e32 v[20:21], v[20:21], v[28:29]
	v_cmp_gt_i32_e32 vcc_lo, 32, v22
	s_wait_dscnt 0x2
	v_add_f64_e32 v[13:14], v[13:14], v[30:31]
	s_wait_dscnt 0x0
	v_add_f64_e32 v[15:16], v[15:16], v[32:33]
	s_wait_alu 0xfffd
	v_cndmask_b32_e32 v22, v34, v22, vcc_lo
	s_delay_alu instid0(VALU_DEP_1)
	v_lshlrev_b32_e32 v33, 2, v22
	ds_bpermute_b32 v22, v33, v11
	ds_bpermute_b32 v23, v33, v12
	ds_bpermute_b32 v24, v33, v9
	ds_bpermute_b32 v25, v33, v10
	ds_bpermute_b32 v26, v33, v18
	ds_bpermute_b32 v27, v33, v19
	ds_bpermute_b32 v28, v33, v20
	ds_bpermute_b32 v29, v33, v21
	ds_bpermute_b32 v30, v33, v13
	ds_bpermute_b32 v31, v33, v14
	ds_bpermute_b32 v32, v33, v15
	ds_bpermute_b32 v33, v33, v16
	s_wait_dscnt 0xa
	v_add_f64_e32 v[11:12], v[11:12], v[22:23]
	v_xor_b32_e32 v22, 8, v34
	s_wait_dscnt 0x8
	v_add_f64_e32 v[9:10], v[9:10], v[24:25]
	s_wait_dscnt 0x6
	v_add_f64_e32 v[18:19], v[18:19], v[26:27]
	s_wait_dscnt 0x4
	v_add_f64_e32 v[20:21], v[20:21], v[28:29]
	v_cmp_gt_i32_e32 vcc_lo, 32, v22
	s_wait_dscnt 0x2
	v_add_f64_e32 v[13:14], v[13:14], v[30:31]
	s_wait_dscnt 0x0
	v_add_f64_e32 v[15:16], v[15:16], v[32:33]
	;; [unrolled: 30-line block ×3, first 2 shown]
	s_wait_alu 0xfffd
	v_cndmask_b32_e32 v22, v34, v22, vcc_lo
	s_delay_alu instid0(VALU_DEP_1)
	v_lshlrev_b32_e32 v33, 2, v22
	ds_bpermute_b32 v22, v33, v11
	ds_bpermute_b32 v23, v33, v12
	;; [unrolled: 1-line block ×12, first 2 shown]
	s_wait_dscnt 0xa
	v_add_f64_e32 v[11:12], v[11:12], v[22:23]
	s_wait_dscnt 0x8
	v_add_f64_e32 v[22:23], v[9:10], v[24:25]
	v_xor_b32_e32 v9, 2, v34
	s_wait_dscnt 0x6
	v_add_f64_e32 v[18:19], v[18:19], v[26:27]
	s_wait_dscnt 0x4
	v_add_f64_e32 v[20:21], v[20:21], v[28:29]
	;; [unrolled: 2-line block ×3, first 2 shown]
	v_cmp_gt_i32_e32 vcc_lo, 32, v9
	s_wait_dscnt 0x0
	v_add_f64_e32 v[15:16], v[15:16], v[32:33]
	s_wait_alu 0xfffd
	v_cndmask_b32_e32 v9, v34, v9, vcc_lo
	s_delay_alu instid0(VALU_DEP_1)
	v_lshlrev_b32_e32 v33, 2, v9
	ds_bpermute_b32 v9, v33, v11
	ds_bpermute_b32 v10, v33, v12
	;; [unrolled: 1-line block ×12, first 2 shown]
	s_wait_dscnt 0xa
	v_add_f64_e32 v[9:10], v[11:12], v[9:10]
	s_wait_dscnt 0x8
	v_add_f64_e32 v[22:23], v[22:23], v[24:25]
	;; [unrolled: 2-line block ×4, first 2 shown]
	v_xor_b32_e32 v20, 1, v34
	s_wait_dscnt 0x2
	v_add_f64_e32 v[13:14], v[13:14], v[30:31]
	s_wait_dscnt 0x0
	v_add_f64_e32 v[15:16], v[15:16], v[32:33]
	v_cmp_gt_i32_e32 vcc_lo, 32, v20
	s_wait_alu 0xfffd
	v_cndmask_b32_e32 v20, v34, v20, vcc_lo
	v_cmp_eq_u32_e32 vcc_lo, 63, v0
	s_delay_alu instid0(VALU_DEP_2)
	v_lshlrev_b32_e32 v29, 2, v20
	ds_bpermute_b32 v20, v29, v9
	ds_bpermute_b32 v21, v29, v10
	;; [unrolled: 1-line block ×12, first 2 shown]
	s_and_b32 exec_lo, exec_lo, vcc_lo
	s_cbranch_execz .LBB39_8
; %bb.24:
	s_wait_dscnt 0x8
	v_add_f64_e32 v[22:23], v[22:23], v[32:33]
	s_wait_dscnt 0x4
	v_add_f64_e32 v[18:19], v[18:19], v[30:31]
	;; [unrolled: 2-line block ×3, first 2 shown]
	v_add_f64_e32 v[9:10], v[9:10], v[20:21]
	v_add_f64_e32 v[11:12], v[11:12], v[24:25]
	;; [unrolled: 1-line block ×3, first 2 shown]
	v_cmp_eq_f64_e32 vcc_lo, 0, v[1:2]
	v_cmp_eq_f64_e64 s2, 0, v[3:4]
	s_load_b64 s[0:1], s[0:1], 0x60
	v_lshl_add_u32 v17, v17, 1, v17
	v_mul_f64_e64 v[13:14], v[22:23], -v[7:8]
	v_mul_f64_e32 v[22:23], v[5:6], v[22:23]
	v_mul_f64_e64 v[24:25], v[18:19], -v[7:8]
	v_mul_f64_e32 v[18:19], v[5:6], v[18:19]
	;; [unrolled: 2-line block ×3, first 2 shown]
	s_and_b32 s2, vcc_lo, s2
	v_fma_f64 v[13:14], v[5:6], v[9:10], v[13:14]
	v_fma_f64 v[15:16], v[7:8], v[9:10], v[22:23]
	v_fma_f64 v[9:10], v[5:6], v[11:12], v[24:25]
	v_fma_f64 v[11:12], v[7:8], v[11:12], v[18:19]
	v_fma_f64 v[5:6], v[5:6], v[20:21], v[26:27]
	v_fma_f64 v[7:8], v[7:8], v[20:21], v[28:29]
	v_ashrrev_i32_e32 v18, 31, v17
	s_wait_alu 0xfffe
	s_and_saveexec_b32 s3, s2
	s_wait_alu 0xfffe
	s_xor_b32 s2, exec_lo, s3
	s_cbranch_execz .LBB39_26
; %bb.25:
	v_lshlrev_b64_e32 v[0:1], 4, v[17:18]
                                        ; implicit-def: $vgpr17
	s_wait_kmcnt 0x0
	s_delay_alu instid0(VALU_DEP_1) | instskip(SKIP_1) | instid1(VALU_DEP_2)
	v_add_co_u32 v0, vcc_lo, s0, v0
	s_wait_alu 0xfffd
	v_add_co_ci_u32_e64 v1, null, s1, v1, vcc_lo
	s_clause 0x2
	global_store_b128 v[0:1], v[13:16], off
	global_store_b128 v[0:1], v[9:12], off offset:16
	global_store_b128 v[0:1], v[5:8], off offset:32
                                        ; implicit-def: $vgpr3_vgpr4
                                        ; implicit-def: $vgpr13_vgpr14
                                        ; implicit-def: $vgpr9_vgpr10
                                        ; implicit-def: $vgpr5_vgpr6
.LBB39_26:
	s_wait_alu 0xfffe
	s_and_not1_saveexec_b32 s2, s2
	s_cbranch_execz .LBB39_8
; %bb.27:
	v_lshlrev_b64_e32 v[17:18], 4, v[17:18]
	s_wait_kmcnt 0x0
	s_delay_alu instid0(VALU_DEP_1) | instskip(SKIP_1) | instid1(VALU_DEP_2)
	v_add_co_u32 v29, vcc_lo, s0, v17
	s_wait_alu 0xfffd
	v_add_co_ci_u32_e64 v30, null, s1, v18, vcc_lo
	s_clause 0x2
	global_load_b128 v[17:20], v[29:30], off
	global_load_b128 v[21:24], v[29:30], off offset:16
	global_load_b128 v[25:28], v[29:30], off offset:32
	s_wait_loadcnt 0x2
	v_fma_f64 v[13:14], v[1:2], v[17:18], v[13:14]
	v_fma_f64 v[15:16], v[3:4], v[17:18], v[15:16]
	s_wait_loadcnt 0x1
	v_fma_f64 v[9:10], v[1:2], v[21:22], v[9:10]
	v_fma_f64 v[11:12], v[3:4], v[21:22], v[11:12]
	;; [unrolled: 3-line block ×3, first 2 shown]
	v_fma_f64 v[5:6], -v[3:4], v[19:20], v[13:14]
	v_fma_f64 v[7:8], v[1:2], v[19:20], v[15:16]
	v_fma_f64 v[9:10], -v[3:4], v[23:24], v[9:10]
	v_fma_f64 v[11:12], v[1:2], v[23:24], v[11:12]
	;; [unrolled: 2-line block ×3, first 2 shown]
	s_clause 0x2
	global_store_b128 v[29:30], v[5:8], off
	global_store_b128 v[29:30], v[9:12], off offset:16
	global_store_b128 v[29:30], v[13:16], off offset:32
	s_endpgm
	.section	.rodata,"a",@progbits
	.p2align	6, 0x0
	.amdhsa_kernel _ZN9rocsparseL18bsrxmvn_3x3_kernelILj256ELj64E21rocsparse_complex_numIdEliS2_S2_S2_EEvT3_20rocsparse_direction_NS_24const_host_device_scalarIT1_EES3_PKS3_PKT2_SC_S9_PKT4_PKT5_S7_PT6_21rocsparse_index_base_b
		.amdhsa_group_segment_fixed_size 0
		.amdhsa_private_segment_fixed_size 0
		.amdhsa_kernarg_size 112
		.amdhsa_user_sgpr_count 2
		.amdhsa_user_sgpr_dispatch_ptr 0
		.amdhsa_user_sgpr_queue_ptr 0
		.amdhsa_user_sgpr_kernarg_segment_ptr 1
		.amdhsa_user_sgpr_dispatch_id 0
		.amdhsa_user_sgpr_private_segment_size 0
		.amdhsa_wavefront_size32 1
		.amdhsa_uses_dynamic_stack 0
		.amdhsa_enable_private_segment 0
		.amdhsa_system_sgpr_workgroup_id_x 1
		.amdhsa_system_sgpr_workgroup_id_y 0
		.amdhsa_system_sgpr_workgroup_id_z 0
		.amdhsa_system_sgpr_workgroup_info 0
		.amdhsa_system_vgpr_workitem_id 0
		.amdhsa_next_free_vgpr 82
		.amdhsa_next_free_sgpr 14
		.amdhsa_reserve_vcc 1
		.amdhsa_float_round_mode_32 0
		.amdhsa_float_round_mode_16_64 0
		.amdhsa_float_denorm_mode_32 3
		.amdhsa_float_denorm_mode_16_64 3
		.amdhsa_fp16_overflow 0
		.amdhsa_workgroup_processor_mode 1
		.amdhsa_memory_ordered 1
		.amdhsa_forward_progress 1
		.amdhsa_inst_pref_size 30
		.amdhsa_round_robin_scheduling 0
		.amdhsa_exception_fp_ieee_invalid_op 0
		.amdhsa_exception_fp_denorm_src 0
		.amdhsa_exception_fp_ieee_div_zero 0
		.amdhsa_exception_fp_ieee_overflow 0
		.amdhsa_exception_fp_ieee_underflow 0
		.amdhsa_exception_fp_ieee_inexact 0
		.amdhsa_exception_int_div_zero 0
	.end_amdhsa_kernel
	.section	.text._ZN9rocsparseL18bsrxmvn_3x3_kernelILj256ELj64E21rocsparse_complex_numIdEliS2_S2_S2_EEvT3_20rocsparse_direction_NS_24const_host_device_scalarIT1_EES3_PKS3_PKT2_SC_S9_PKT4_PKT5_S7_PT6_21rocsparse_index_base_b,"axG",@progbits,_ZN9rocsparseL18bsrxmvn_3x3_kernelILj256ELj64E21rocsparse_complex_numIdEliS2_S2_S2_EEvT3_20rocsparse_direction_NS_24const_host_device_scalarIT1_EES3_PKS3_PKT2_SC_S9_PKT4_PKT5_S7_PT6_21rocsparse_index_base_b,comdat
.Lfunc_end39:
	.size	_ZN9rocsparseL18bsrxmvn_3x3_kernelILj256ELj64E21rocsparse_complex_numIdEliS2_S2_S2_EEvT3_20rocsparse_direction_NS_24const_host_device_scalarIT1_EES3_PKS3_PKT2_SC_S9_PKT4_PKT5_S7_PT6_21rocsparse_index_base_b, .Lfunc_end39-_ZN9rocsparseL18bsrxmvn_3x3_kernelILj256ELj64E21rocsparse_complex_numIdEliS2_S2_S2_EEvT3_20rocsparse_direction_NS_24const_host_device_scalarIT1_EES3_PKS3_PKT2_SC_S9_PKT4_PKT5_S7_PT6_21rocsparse_index_base_b
                                        ; -- End function
	.set _ZN9rocsparseL18bsrxmvn_3x3_kernelILj256ELj64E21rocsparse_complex_numIdEliS2_S2_S2_EEvT3_20rocsparse_direction_NS_24const_host_device_scalarIT1_EES3_PKS3_PKT2_SC_S9_PKT4_PKT5_S7_PT6_21rocsparse_index_base_b.num_vgpr, 82
	.set _ZN9rocsparseL18bsrxmvn_3x3_kernelILj256ELj64E21rocsparse_complex_numIdEliS2_S2_S2_EEvT3_20rocsparse_direction_NS_24const_host_device_scalarIT1_EES3_PKS3_PKT2_SC_S9_PKT4_PKT5_S7_PT6_21rocsparse_index_base_b.num_agpr, 0
	.set _ZN9rocsparseL18bsrxmvn_3x3_kernelILj256ELj64E21rocsparse_complex_numIdEliS2_S2_S2_EEvT3_20rocsparse_direction_NS_24const_host_device_scalarIT1_EES3_PKS3_PKT2_SC_S9_PKT4_PKT5_S7_PT6_21rocsparse_index_base_b.numbered_sgpr, 14
	.set _ZN9rocsparseL18bsrxmvn_3x3_kernelILj256ELj64E21rocsparse_complex_numIdEliS2_S2_S2_EEvT3_20rocsparse_direction_NS_24const_host_device_scalarIT1_EES3_PKS3_PKT2_SC_S9_PKT4_PKT5_S7_PT6_21rocsparse_index_base_b.num_named_barrier, 0
	.set _ZN9rocsparseL18bsrxmvn_3x3_kernelILj256ELj64E21rocsparse_complex_numIdEliS2_S2_S2_EEvT3_20rocsparse_direction_NS_24const_host_device_scalarIT1_EES3_PKS3_PKT2_SC_S9_PKT4_PKT5_S7_PT6_21rocsparse_index_base_b.private_seg_size, 0
	.set _ZN9rocsparseL18bsrxmvn_3x3_kernelILj256ELj64E21rocsparse_complex_numIdEliS2_S2_S2_EEvT3_20rocsparse_direction_NS_24const_host_device_scalarIT1_EES3_PKS3_PKT2_SC_S9_PKT4_PKT5_S7_PT6_21rocsparse_index_base_b.uses_vcc, 1
	.set _ZN9rocsparseL18bsrxmvn_3x3_kernelILj256ELj64E21rocsparse_complex_numIdEliS2_S2_S2_EEvT3_20rocsparse_direction_NS_24const_host_device_scalarIT1_EES3_PKS3_PKT2_SC_S9_PKT4_PKT5_S7_PT6_21rocsparse_index_base_b.uses_flat_scratch, 0
	.set _ZN9rocsparseL18bsrxmvn_3x3_kernelILj256ELj64E21rocsparse_complex_numIdEliS2_S2_S2_EEvT3_20rocsparse_direction_NS_24const_host_device_scalarIT1_EES3_PKS3_PKT2_SC_S9_PKT4_PKT5_S7_PT6_21rocsparse_index_base_b.has_dyn_sized_stack, 0
	.set _ZN9rocsparseL18bsrxmvn_3x3_kernelILj256ELj64E21rocsparse_complex_numIdEliS2_S2_S2_EEvT3_20rocsparse_direction_NS_24const_host_device_scalarIT1_EES3_PKS3_PKT2_SC_S9_PKT4_PKT5_S7_PT6_21rocsparse_index_base_b.has_recursion, 0
	.set _ZN9rocsparseL18bsrxmvn_3x3_kernelILj256ELj64E21rocsparse_complex_numIdEliS2_S2_S2_EEvT3_20rocsparse_direction_NS_24const_host_device_scalarIT1_EES3_PKS3_PKT2_SC_S9_PKT4_PKT5_S7_PT6_21rocsparse_index_base_b.has_indirect_call, 0
	.section	.AMDGPU.csdata,"",@progbits
; Kernel info:
; codeLenInByte = 3732
; TotalNumSgprs: 16
; NumVgprs: 82
; ScratchSize: 0
; MemoryBound: 0
; FloatMode: 240
; IeeeMode: 1
; LDSByteSize: 0 bytes/workgroup (compile time only)
; SGPRBlocks: 0
; VGPRBlocks: 10
; NumSGPRsForWavesPerEU: 16
; NumVGPRsForWavesPerEU: 82
; Occupancy: 16
; WaveLimiterHint : 1
; COMPUTE_PGM_RSRC2:SCRATCH_EN: 0
; COMPUTE_PGM_RSRC2:USER_SGPR: 2
; COMPUTE_PGM_RSRC2:TRAP_HANDLER: 0
; COMPUTE_PGM_RSRC2:TGID_X_EN: 1
; COMPUTE_PGM_RSRC2:TGID_Y_EN: 0
; COMPUTE_PGM_RSRC2:TGID_Z_EN: 0
; COMPUTE_PGM_RSRC2:TIDIG_COMP_CNT: 0
	.section	.text._ZN9rocsparseL18bsrxmvn_3x3_kernelILj256ELj4EfllfffEEvT3_20rocsparse_direction_NS_24const_host_device_scalarIT1_EES1_PKS1_PKT2_SA_S7_PKT4_PKT5_S5_PT6_21rocsparse_index_base_b,"axG",@progbits,_ZN9rocsparseL18bsrxmvn_3x3_kernelILj256ELj4EfllfffEEvT3_20rocsparse_direction_NS_24const_host_device_scalarIT1_EES1_PKS1_PKT2_SA_S7_PKT4_PKT5_S5_PT6_21rocsparse_index_base_b,comdat
	.globl	_ZN9rocsparseL18bsrxmvn_3x3_kernelILj256ELj4EfllfffEEvT3_20rocsparse_direction_NS_24const_host_device_scalarIT1_EES1_PKS1_PKT2_SA_S7_PKT4_PKT5_S5_PT6_21rocsparse_index_base_b ; -- Begin function _ZN9rocsparseL18bsrxmvn_3x3_kernelILj256ELj4EfllfffEEvT3_20rocsparse_direction_NS_24const_host_device_scalarIT1_EES1_PKS1_PKT2_SA_S7_PKT4_PKT5_S5_PT6_21rocsparse_index_base_b
	.p2align	8
	.type	_ZN9rocsparseL18bsrxmvn_3x3_kernelILj256ELj4EfllfffEEvT3_20rocsparse_direction_NS_24const_host_device_scalarIT1_EES1_PKS1_PKT2_SA_S7_PKT4_PKT5_S5_PT6_21rocsparse_index_base_b,@function
_ZN9rocsparseL18bsrxmvn_3x3_kernelILj256ELj4EfllfffEEvT3_20rocsparse_direction_NS_24const_host_device_scalarIT1_EES1_PKS1_PKT2_SA_S7_PKT4_PKT5_S5_PT6_21rocsparse_index_base_b: ; @_ZN9rocsparseL18bsrxmvn_3x3_kernelILj256ELj4EfllfffEEvT3_20rocsparse_direction_NS_24const_host_device_scalarIT1_EES1_PKS1_PKT2_SA_S7_PKT4_PKT5_S5_PT6_21rocsparse_index_base_b
; %bb.0:
	s_clause 0x2
	s_load_b64 s[2:3], s[0:1], 0x60
	s_load_b128 s[12:15], s[0:1], 0x10
	s_load_b64 s[16:17], s[0:1], 0x50
	s_wait_kmcnt 0x0
	s_bitcmp1_b32 s3, 0
	s_cselect_b32 s3, -1, 0
	s_delay_alu instid0(SALU_CYCLE_1)
	s_and_b32 vcc_lo, exec_lo, s3
	s_xor_b32 s3, s3, -1
	s_cbranch_vccnz .LBB40_2
; %bb.1:
	s_load_b32 s12, s[12:13], 0x0
.LBB40_2:
	s_and_not1_b32 vcc_lo, exec_lo, s3
	s_cbranch_vccnz .LBB40_4
; %bb.3:
	s_load_b32 s16, s[16:17], 0x0
.LBB40_4:
	s_wait_kmcnt 0x0
	s_cmp_neq_f32 s12, 0
	s_mov_b32 s6, 0
	s_cselect_b32 s3, -1, 0
	s_cmp_neq_f32 s16, 1.0
	s_cselect_b32 s4, -1, 0
	s_delay_alu instid0(SALU_CYCLE_1) | instskip(NEXT) | instid1(SALU_CYCLE_1)
	s_or_b32 s3, s3, s4
	s_and_not1_b32 vcc_lo, exec_lo, s3
	s_cbranch_vccnz .LBB40_10
; %bb.5:
	s_load_b64 s[4:5], s[0:1], 0x20
	v_lshrrev_b32_e32 v1, 2, v0
	v_mov_b32_e32 v6, 0
	s_delay_alu instid0(VALU_DEP_2)
	v_lshl_or_b32 v5, ttmp9, 6, v1
	s_wait_kmcnt 0x0
	s_cmp_lg_u64 s[4:5], 0
	s_cbranch_scc0 .LBB40_11
; %bb.6:
	s_mov_b32 s7, 0
                                        ; implicit-def: $vgpr3_vgpr4
                                        ; implicit-def: $vgpr1_vgpr2
	s_mov_b32 s3, exec_lo
	v_cmpx_gt_i64_e64 s[14:15], v[5:6]
	s_xor_b32 s8, exec_lo, s3
	s_cbranch_execz .LBB40_8
; %bb.7:
	v_lshlrev_b64_e32 v[1:2], 3, v[5:6]
	s_mov_b32 s3, 0
	s_mov_b32 s6, exec_lo
	s_delay_alu instid0(VALU_DEP_1) | instskip(NEXT) | instid1(VALU_DEP_1)
	v_add_co_u32 v1, vcc_lo, s4, v1
	v_add_co_ci_u32_e64 v2, null, s5, v2, vcc_lo
	global_load_b64 v[1:2], v[1:2], off
	s_wait_loadcnt 0x0
	v_sub_co_u32 v3, vcc_lo, v1, s2
	s_wait_alu 0xfffd
	v_subrev_co_ci_u32_e64 v4, null, 0, v2, vcc_lo
	v_dual_mov_b32 v1, s2 :: v_dual_mov_b32 v2, s3
.LBB40_8:
	s_or_b32 exec_lo, exec_lo, s8
	s_delay_alu instid0(SALU_CYCLE_1)
	s_and_b32 vcc_lo, exec_lo, s7
	s_wait_alu 0xfffe
	s_cbranch_vccnz .LBB40_12
.LBB40_9:
	s_and_saveexec_b32 s2, s6
	s_cbranch_execnz .LBB40_15
.LBB40_10:
	s_endpgm
.LBB40_11:
                                        ; implicit-def: $vgpr3_vgpr4
                                        ; implicit-def: $vgpr1_vgpr2
	s_cbranch_execz .LBB40_9
.LBB40_12:
	s_load_b64 s[4:5], s[0:1], 0x0
	s_wait_kmcnt 0x0
	v_cmp_gt_i64_e32 vcc_lo, s[4:5], v[5:6]
	s_and_saveexec_b32 s4, vcc_lo
; %bb.13:
	s_mov_b32 s3, 0
	s_or_b32 s6, s6, exec_lo
; %bb.14:
	s_wait_alu 0xfffe
	s_or_b32 exec_lo, exec_lo, s4
	v_dual_mov_b32 v1, s2 :: v_dual_mov_b32 v2, s3
	v_dual_mov_b32 v3, v5 :: v_dual_mov_b32 v4, v6
	s_and_saveexec_b32 s2, s6
	s_cbranch_execz .LBB40_10
.LBB40_15:
	s_load_b256 s[4:11], s[0:1], 0x28
	s_delay_alu instid0(VALU_DEP_1) | instskip(SKIP_2) | instid1(VALU_DEP_2)
	v_lshlrev_b64_e32 v[5:6], 3, v[3:4]
	v_dual_mov_b32 v17, 0 :: v_dual_and_b32 v0, 3, v0
	s_wait_kmcnt 0x0
	v_add_co_u32 v7, vcc_lo, s4, v5
	s_wait_alu 0xfffd
	s_delay_alu instid0(VALU_DEP_3)
	v_add_co_ci_u32_e64 v8, null, s5, v6, vcc_lo
	v_add_co_u32 v5, vcc_lo, s6, v5
	s_wait_alu 0xfffd
	v_add_co_ci_u32_e64 v6, null, s7, v6, vcc_lo
	global_load_b64 v[9:10], v[7:8], off
	v_add_co_u32 v7, vcc_lo, v7, 8
	s_wait_alu 0xfffd
	v_add_co_ci_u32_e64 v8, null, 0, v8, vcc_lo
	s_cmp_eq_u64 s[6:7], 0
	s_cselect_b32 vcc_lo, -1, 0
	s_wait_alu 0xfffe
	v_dual_cndmask_b32 v6, v6, v8 :: v_dual_cndmask_b32 v5, v5, v7
	global_load_b64 v[11:12], v[5:6], off
	s_clause 0x1
	s_load_b32 s3, s[0:1], 0x8
	s_load_b64 s[4:5], s[0:1], 0x48
	s_wait_kmcnt 0x0
	s_cmp_eq_u32 s3, 1
	s_wait_loadcnt 0x1
	v_sub_co_u32 v5, vcc_lo, v9, v1
	s_wait_alu 0xfffd
	v_sub_co_ci_u32_e64 v6, null, v10, v2, vcc_lo
	s_delay_alu instid0(VALU_DEP_2) | instskip(SKIP_1) | instid1(VALU_DEP_2)
	v_add_co_u32 v5, vcc_lo, v5, v0
	s_wait_alu 0xfffd
	v_add_co_ci_u32_e64 v6, null, 0, v6, vcc_lo
	s_delay_alu instid0(VALU_DEP_2) | instskip(NEXT) | instid1(VALU_DEP_1)
	v_mad_co_u64_u32 v[7:8], null, v5, 36, s[10:11]
	v_mad_co_u64_u32 v[8:9], null, v6, 36, v[8:9]
	s_wait_loadcnt 0x0
	v_sub_co_u32 v9, vcc_lo, v11, v1
	s_wait_alu 0xfffd
	v_sub_co_ci_u32_e64 v10, null, v12, v2, vcc_lo
	s_delay_alu instid0(VALU_DEP_1)
	v_cmp_lt_i64_e64 s2, v[5:6], v[9:10]
	s_cbranch_scc1 .LBB40_21
; %bb.16:
	v_dual_mov_b32 v18, 0 :: v_dual_mov_b32 v19, 0
	s_and_saveexec_b32 s6, s2
	s_cbranch_execz .LBB40_20
; %bb.17:
	v_lshlrev_b64_e32 v[13:14], 3, v[5:6]
	v_dual_mov_b32 v17, 0 :: v_dual_mov_b32 v12, v8
	v_dual_mov_b32 v11, v7 :: v_dual_mov_b32 v16, v6
	;; [unrolled: 1-line block ×3, first 2 shown]
	s_delay_alu instid0(VALU_DEP_4)
	v_add_co_u32 v13, vcc_lo, s8, v13
	s_wait_alu 0xfffd
	v_add_co_ci_u32_e64 v14, null, s9, v14, vcc_lo
	v_mov_b32_e32 v19, 0
	s_mov_b32 s7, 0
.LBB40_18:                              ; =>This Inner Loop Header: Depth=1
	global_load_b64 v[20:21], v[13:14], off
	s_wait_loadcnt 0x0
	v_sub_co_u32 v20, vcc_lo, v20, v1
	s_wait_alu 0xfffd
	v_sub_co_ci_u32_e64 v21, null, v21, v2, vcc_lo
	s_delay_alu instid0(VALU_DEP_2) | instskip(NEXT) | instid1(VALU_DEP_1)
	v_mad_co_u64_u32 v[28:29], null, v20, 12, s[4:5]
	v_mov_b32_e32 v20, v29
	s_delay_alu instid0(VALU_DEP_1)
	v_mad_co_u64_u32 v[24:25], null, v21, 12, v[20:21]
	global_load_b128 v[20:23], v[11:12], off offset:16
	v_mov_b32_e32 v29, v24
	global_load_b128 v[24:27], v[11:12], off
	global_load_b96 v[28:30], v[28:29], off
	global_load_b32 v31, v[11:12], off offset:32
	v_add_co_u32 v11, vcc_lo, 0x90, v11
	s_wait_alu 0xfffd
	v_add_co_ci_u32_e64 v12, null, 0, v12, vcc_lo
	v_add_co_u32 v15, vcc_lo, v15, 4
	s_wait_alu 0xfffd
	v_add_co_ci_u32_e64 v16, null, 0, v16, vcc_lo
	;; [unrolled: 3-line block ×3, first 2 shown]
	s_delay_alu instid0(VALU_DEP_3) | instskip(SKIP_4) | instid1(VALU_DEP_1)
	v_cmp_ge_i64_e64 s3, v[15:16], v[9:10]
	s_wait_alu 0xfffe
	s_or_b32 s7, s3, s7
	s_wait_loadcnt 0x1
	v_fmac_f32_e32 v18, v27, v28
	v_dual_fmac_f32 v17, v22, v28 :: v_dual_fmac_f32 v18, v20, v29
	v_fmac_f32_e32 v19, v24, v28
	s_delay_alu instid0(VALU_DEP_2) | instskip(NEXT) | instid1(VALU_DEP_2)
	v_dual_fmac_f32 v17, v23, v29 :: v_dual_fmac_f32 v18, v21, v30
	v_fmac_f32_e32 v19, v25, v29
	s_wait_loadcnt 0x0
	s_delay_alu instid0(VALU_DEP_2) | instskip(NEXT) | instid1(VALU_DEP_2)
	v_fmac_f32_e32 v17, v31, v30
	v_fmac_f32_e32 v19, v26, v30
	s_wait_alu 0xfffe
	s_and_not1_b32 exec_lo, exec_lo, s7
	s_cbranch_execnz .LBB40_18
; %bb.19:
	s_or_b32 exec_lo, exec_lo, s7
.LBB40_20:
	s_wait_alu 0xfffe
	s_or_b32 exec_lo, exec_lo, s6
	s_cbranch_execz .LBB40_22
	s_branch .LBB40_27
.LBB40_21:
                                        ; implicit-def: $vgpr17
                                        ; implicit-def: $vgpr18
                                        ; implicit-def: $vgpr19
.LBB40_22:
	v_dual_mov_b32 v17, 0 :: v_dual_mov_b32 v18, 0
	v_mov_b32_e32 v19, 0
	s_and_saveexec_b32 s3, s2
	s_cbranch_execz .LBB40_26
; %bb.23:
	v_lshlrev_b64_e32 v[11:12], 3, v[5:6]
	v_dual_mov_b32 v17, 0 :: v_dual_mov_b32 v18, 0
	v_mov_b32_e32 v19, 0
	s_mov_b32 s6, 0
	s_delay_alu instid0(VALU_DEP_3)
	v_add_co_u32 v11, vcc_lo, s8, v11
	s_wait_alu 0xfffd
	v_add_co_ci_u32_e64 v12, null, s9, v12, vcc_lo
.LBB40_24:                              ; =>This Inner Loop Header: Depth=1
	global_load_b64 v[13:14], v[11:12], off
	s_wait_loadcnt 0x0
	v_sub_co_u32 v13, vcc_lo, v13, v1
	s_wait_alu 0xfffd
	v_sub_co_ci_u32_e64 v14, null, v14, v2, vcc_lo
	s_delay_alu instid0(VALU_DEP_2) | instskip(NEXT) | instid1(VALU_DEP_1)
	v_mad_co_u64_u32 v[24:25], null, v13, 12, s[4:5]
	v_mov_b32_e32 v13, v25
	s_delay_alu instid0(VALU_DEP_1)
	v_mad_co_u64_u32 v[20:21], null, v14, 12, v[13:14]
	global_load_b128 v[13:16], v[7:8], off offset:16
	v_mov_b32_e32 v25, v20
	global_load_b128 v[20:23], v[7:8], off
	global_load_b96 v[24:26], v[24:25], off
	global_load_b32 v27, v[7:8], off offset:32
	v_add_co_u32 v7, vcc_lo, 0x90, v7
	s_wait_alu 0xfffd
	v_add_co_ci_u32_e64 v8, null, 0, v8, vcc_lo
	v_add_co_u32 v5, vcc_lo, v5, 4
	s_wait_alu 0xfffd
	v_add_co_ci_u32_e64 v6, null, 0, v6, vcc_lo
	;; [unrolled: 3-line block ×3, first 2 shown]
	s_delay_alu instid0(VALU_DEP_3)
	v_cmp_ge_i64_e64 s2, v[5:6], v[9:10]
	s_wait_alu 0xfffe
	s_or_b32 s6, s2, s6
	s_wait_loadcnt 0x1
	v_fmac_f32_e32 v18, v21, v24
	v_fmac_f32_e32 v19, v20, v24
	s_delay_alu instid0(VALU_DEP_2) | instskip(NEXT) | instid1(VALU_DEP_2)
	v_dual_fmac_f32 v17, v22, v24 :: v_dual_fmac_f32 v18, v13, v25
	v_fmac_f32_e32 v19, v23, v25
	s_delay_alu instid0(VALU_DEP_2) | instskip(NEXT) | instid1(VALU_DEP_2)
	v_dual_fmac_f32 v17, v14, v25 :: v_dual_fmac_f32 v18, v16, v26
	v_fmac_f32_e32 v19, v15, v26
	s_wait_loadcnt 0x0
	s_delay_alu instid0(VALU_DEP_2)
	v_fmac_f32_e32 v17, v27, v26
	s_wait_alu 0xfffe
	s_and_not1_b32 exec_lo, exec_lo, s6
	s_cbranch_execnz .LBB40_24
; %bb.25:
	s_or_b32 exec_lo, exec_lo, s6
.LBB40_26:
	s_wait_alu 0xfffe
	s_or_b32 exec_lo, exec_lo, s3
.LBB40_27:
	v_mbcnt_lo_u32_b32 v1, -1, 0
	s_mov_b32 s2, -1
	s_delay_alu instid0(VALU_DEP_1) | instskip(NEXT) | instid1(VALU_DEP_1)
	v_xor_b32_e32 v2, 2, v1
	v_cmp_gt_i32_e32 vcc_lo, 32, v2
	s_wait_alu 0xfffd
	v_cndmask_b32_e32 v2, v1, v2, vcc_lo
	s_delay_alu instid0(VALU_DEP_1) | instskip(SKIP_4) | instid1(VALU_DEP_1)
	v_lshlrev_b32_e32 v2, 2, v2
	ds_bpermute_b32 v5, v2, v19
	ds_bpermute_b32 v6, v2, v18
	;; [unrolled: 1-line block ×3, first 2 shown]
	v_xor_b32_e32 v2, 1, v1
	v_cmp_gt_i32_e32 vcc_lo, 32, v2
	s_wait_alu 0xfffd
	v_cndmask_b32_e32 v1, v1, v2, vcc_lo
	v_cmp_eq_u32_e32 vcc_lo, 3, v0
	s_delay_alu instid0(VALU_DEP_2)
	v_lshlrev_b32_e32 v8, 2, v1
	s_wait_dscnt 0x1
	v_dual_add_f32 v1, v19, v5 :: v_dual_add_f32 v2, v18, v6
	s_wait_dscnt 0x0
	v_add_f32_e32 v5, v17, v7
	ds_bpermute_b32 v6, v8, v1
	ds_bpermute_b32 v7, v8, v2
	;; [unrolled: 1-line block ×3, first 2 shown]
	s_and_b32 exec_lo, exec_lo, vcc_lo
	s_cbranch_execz .LBB40_10
; %bb.28:
	s_load_b64 s[0:1], s[0:1], 0x58
	s_wait_dscnt 0x1
	v_dual_add_f32 v0, v1, v6 :: v_dual_add_f32 v1, v2, v7
	s_wait_dscnt 0x0
	v_add_f32_e32 v2, v5, v8
	s_cmp_eq_f32 s16, 0
	s_delay_alu instid0(VALU_DEP_2) | instskip(NEXT) | instid1(VALU_DEP_2)
	v_dual_mul_f32 v0, s12, v0 :: v_dual_mul_f32 v1, s12, v1
	v_mul_f32_e32 v2, s12, v2
	s_cbranch_scc0 .LBB40_30
; %bb.29:
	s_wait_kmcnt 0x0
	v_mad_co_u64_u32 v[5:6], null, v3, 12, s[0:1]
	s_mov_b32 s2, 0
	v_mad_co_u64_u32 v[6:7], null, v4, 12, v[6:7]
	global_store_b96 v[5:6], v[0:2], off
.LBB40_30:
	s_wait_alu 0xfffe
	s_and_not1_b32 vcc_lo, exec_lo, s2
	s_wait_alu 0xfffe
	s_cbranch_vccnz .LBB40_10
; %bb.31:
	s_wait_kmcnt 0x0
	v_mad_co_u64_u32 v[6:7], null, v3, 12, s[0:1]
	s_delay_alu instid0(VALU_DEP_1) | instskip(NEXT) | instid1(VALU_DEP_1)
	v_mov_b32_e32 v3, v7
	v_mad_co_u64_u32 v[3:4], null, v4, 12, v[3:4]
	s_delay_alu instid0(VALU_DEP_1)
	v_mov_b32_e32 v7, v3
	global_load_b96 v[3:5], v[6:7], off
	s_wait_loadcnt 0x0
	v_dual_fmac_f32 v0, s16, v3 :: v_dual_fmac_f32 v1, s16, v4
	v_fmac_f32_e32 v2, s16, v5
	global_store_b96 v[6:7], v[0:2], off
	s_endpgm
	.section	.rodata,"a",@progbits
	.p2align	6, 0x0
	.amdhsa_kernel _ZN9rocsparseL18bsrxmvn_3x3_kernelILj256ELj4EfllfffEEvT3_20rocsparse_direction_NS_24const_host_device_scalarIT1_EES1_PKS1_PKT2_SA_S7_PKT4_PKT5_S5_PT6_21rocsparse_index_base_b
		.amdhsa_group_segment_fixed_size 0
		.amdhsa_private_segment_fixed_size 0
		.amdhsa_kernarg_size 104
		.amdhsa_user_sgpr_count 2
		.amdhsa_user_sgpr_dispatch_ptr 0
		.amdhsa_user_sgpr_queue_ptr 0
		.amdhsa_user_sgpr_kernarg_segment_ptr 1
		.amdhsa_user_sgpr_dispatch_id 0
		.amdhsa_user_sgpr_private_segment_size 0
		.amdhsa_wavefront_size32 1
		.amdhsa_uses_dynamic_stack 0
		.amdhsa_enable_private_segment 0
		.amdhsa_system_sgpr_workgroup_id_x 1
		.amdhsa_system_sgpr_workgroup_id_y 0
		.amdhsa_system_sgpr_workgroup_id_z 0
		.amdhsa_system_sgpr_workgroup_info 0
		.amdhsa_system_vgpr_workitem_id 0
		.amdhsa_next_free_vgpr 32
		.amdhsa_next_free_sgpr 18
		.amdhsa_reserve_vcc 1
		.amdhsa_float_round_mode_32 0
		.amdhsa_float_round_mode_16_64 0
		.amdhsa_float_denorm_mode_32 3
		.amdhsa_float_denorm_mode_16_64 3
		.amdhsa_fp16_overflow 0
		.amdhsa_workgroup_processor_mode 1
		.amdhsa_memory_ordered 1
		.amdhsa_forward_progress 1
		.amdhsa_inst_pref_size 13
		.amdhsa_round_robin_scheduling 0
		.amdhsa_exception_fp_ieee_invalid_op 0
		.amdhsa_exception_fp_denorm_src 0
		.amdhsa_exception_fp_ieee_div_zero 0
		.amdhsa_exception_fp_ieee_overflow 0
		.amdhsa_exception_fp_ieee_underflow 0
		.amdhsa_exception_fp_ieee_inexact 0
		.amdhsa_exception_int_div_zero 0
	.end_amdhsa_kernel
	.section	.text._ZN9rocsparseL18bsrxmvn_3x3_kernelILj256ELj4EfllfffEEvT3_20rocsparse_direction_NS_24const_host_device_scalarIT1_EES1_PKS1_PKT2_SA_S7_PKT4_PKT5_S5_PT6_21rocsparse_index_base_b,"axG",@progbits,_ZN9rocsparseL18bsrxmvn_3x3_kernelILj256ELj4EfllfffEEvT3_20rocsparse_direction_NS_24const_host_device_scalarIT1_EES1_PKS1_PKT2_SA_S7_PKT4_PKT5_S5_PT6_21rocsparse_index_base_b,comdat
.Lfunc_end40:
	.size	_ZN9rocsparseL18bsrxmvn_3x3_kernelILj256ELj4EfllfffEEvT3_20rocsparse_direction_NS_24const_host_device_scalarIT1_EES1_PKS1_PKT2_SA_S7_PKT4_PKT5_S5_PT6_21rocsparse_index_base_b, .Lfunc_end40-_ZN9rocsparseL18bsrxmvn_3x3_kernelILj256ELj4EfllfffEEvT3_20rocsparse_direction_NS_24const_host_device_scalarIT1_EES1_PKS1_PKT2_SA_S7_PKT4_PKT5_S5_PT6_21rocsparse_index_base_b
                                        ; -- End function
	.set _ZN9rocsparseL18bsrxmvn_3x3_kernelILj256ELj4EfllfffEEvT3_20rocsparse_direction_NS_24const_host_device_scalarIT1_EES1_PKS1_PKT2_SA_S7_PKT4_PKT5_S5_PT6_21rocsparse_index_base_b.num_vgpr, 32
	.set _ZN9rocsparseL18bsrxmvn_3x3_kernelILj256ELj4EfllfffEEvT3_20rocsparse_direction_NS_24const_host_device_scalarIT1_EES1_PKS1_PKT2_SA_S7_PKT4_PKT5_S5_PT6_21rocsparse_index_base_b.num_agpr, 0
	.set _ZN9rocsparseL18bsrxmvn_3x3_kernelILj256ELj4EfllfffEEvT3_20rocsparse_direction_NS_24const_host_device_scalarIT1_EES1_PKS1_PKT2_SA_S7_PKT4_PKT5_S5_PT6_21rocsparse_index_base_b.numbered_sgpr, 18
	.set _ZN9rocsparseL18bsrxmvn_3x3_kernelILj256ELj4EfllfffEEvT3_20rocsparse_direction_NS_24const_host_device_scalarIT1_EES1_PKS1_PKT2_SA_S7_PKT4_PKT5_S5_PT6_21rocsparse_index_base_b.num_named_barrier, 0
	.set _ZN9rocsparseL18bsrxmvn_3x3_kernelILj256ELj4EfllfffEEvT3_20rocsparse_direction_NS_24const_host_device_scalarIT1_EES1_PKS1_PKT2_SA_S7_PKT4_PKT5_S5_PT6_21rocsparse_index_base_b.private_seg_size, 0
	.set _ZN9rocsparseL18bsrxmvn_3x3_kernelILj256ELj4EfllfffEEvT3_20rocsparse_direction_NS_24const_host_device_scalarIT1_EES1_PKS1_PKT2_SA_S7_PKT4_PKT5_S5_PT6_21rocsparse_index_base_b.uses_vcc, 1
	.set _ZN9rocsparseL18bsrxmvn_3x3_kernelILj256ELj4EfllfffEEvT3_20rocsparse_direction_NS_24const_host_device_scalarIT1_EES1_PKS1_PKT2_SA_S7_PKT4_PKT5_S5_PT6_21rocsparse_index_base_b.uses_flat_scratch, 0
	.set _ZN9rocsparseL18bsrxmvn_3x3_kernelILj256ELj4EfllfffEEvT3_20rocsparse_direction_NS_24const_host_device_scalarIT1_EES1_PKS1_PKT2_SA_S7_PKT4_PKT5_S5_PT6_21rocsparse_index_base_b.has_dyn_sized_stack, 0
	.set _ZN9rocsparseL18bsrxmvn_3x3_kernelILj256ELj4EfllfffEEvT3_20rocsparse_direction_NS_24const_host_device_scalarIT1_EES1_PKS1_PKT2_SA_S7_PKT4_PKT5_S5_PT6_21rocsparse_index_base_b.has_recursion, 0
	.set _ZN9rocsparseL18bsrxmvn_3x3_kernelILj256ELj4EfllfffEEvT3_20rocsparse_direction_NS_24const_host_device_scalarIT1_EES1_PKS1_PKT2_SA_S7_PKT4_PKT5_S5_PT6_21rocsparse_index_base_b.has_indirect_call, 0
	.section	.AMDGPU.csdata,"",@progbits
; Kernel info:
; codeLenInByte = 1660
; TotalNumSgprs: 20
; NumVgprs: 32
; ScratchSize: 0
; MemoryBound: 0
; FloatMode: 240
; IeeeMode: 1
; LDSByteSize: 0 bytes/workgroup (compile time only)
; SGPRBlocks: 0
; VGPRBlocks: 3
; NumSGPRsForWavesPerEU: 20
; NumVGPRsForWavesPerEU: 32
; Occupancy: 16
; WaveLimiterHint : 1
; COMPUTE_PGM_RSRC2:SCRATCH_EN: 0
; COMPUTE_PGM_RSRC2:USER_SGPR: 2
; COMPUTE_PGM_RSRC2:TRAP_HANDLER: 0
; COMPUTE_PGM_RSRC2:TGID_X_EN: 1
; COMPUTE_PGM_RSRC2:TGID_Y_EN: 0
; COMPUTE_PGM_RSRC2:TGID_Z_EN: 0
; COMPUTE_PGM_RSRC2:TIDIG_COMP_CNT: 0
	.section	.text._ZN9rocsparseL18bsrxmvn_3x3_kernelILj256ELj8EfllfffEEvT3_20rocsparse_direction_NS_24const_host_device_scalarIT1_EES1_PKS1_PKT2_SA_S7_PKT4_PKT5_S5_PT6_21rocsparse_index_base_b,"axG",@progbits,_ZN9rocsparseL18bsrxmvn_3x3_kernelILj256ELj8EfllfffEEvT3_20rocsparse_direction_NS_24const_host_device_scalarIT1_EES1_PKS1_PKT2_SA_S7_PKT4_PKT5_S5_PT6_21rocsparse_index_base_b,comdat
	.globl	_ZN9rocsparseL18bsrxmvn_3x3_kernelILj256ELj8EfllfffEEvT3_20rocsparse_direction_NS_24const_host_device_scalarIT1_EES1_PKS1_PKT2_SA_S7_PKT4_PKT5_S5_PT6_21rocsparse_index_base_b ; -- Begin function _ZN9rocsparseL18bsrxmvn_3x3_kernelILj256ELj8EfllfffEEvT3_20rocsparse_direction_NS_24const_host_device_scalarIT1_EES1_PKS1_PKT2_SA_S7_PKT4_PKT5_S5_PT6_21rocsparse_index_base_b
	.p2align	8
	.type	_ZN9rocsparseL18bsrxmvn_3x3_kernelILj256ELj8EfllfffEEvT3_20rocsparse_direction_NS_24const_host_device_scalarIT1_EES1_PKS1_PKT2_SA_S7_PKT4_PKT5_S5_PT6_21rocsparse_index_base_b,@function
_ZN9rocsparseL18bsrxmvn_3x3_kernelILj256ELj8EfllfffEEvT3_20rocsparse_direction_NS_24const_host_device_scalarIT1_EES1_PKS1_PKT2_SA_S7_PKT4_PKT5_S5_PT6_21rocsparse_index_base_b: ; @_ZN9rocsparseL18bsrxmvn_3x3_kernelILj256ELj8EfllfffEEvT3_20rocsparse_direction_NS_24const_host_device_scalarIT1_EES1_PKS1_PKT2_SA_S7_PKT4_PKT5_S5_PT6_21rocsparse_index_base_b
; %bb.0:
	s_clause 0x2
	s_load_b64 s[2:3], s[0:1], 0x60
	s_load_b128 s[12:15], s[0:1], 0x10
	s_load_b64 s[16:17], s[0:1], 0x50
	s_wait_kmcnt 0x0
	s_bitcmp1_b32 s3, 0
	s_cselect_b32 s3, -1, 0
	s_delay_alu instid0(SALU_CYCLE_1)
	s_and_b32 vcc_lo, exec_lo, s3
	s_xor_b32 s3, s3, -1
	s_cbranch_vccnz .LBB41_2
; %bb.1:
	s_load_b32 s12, s[12:13], 0x0
.LBB41_2:
	s_and_not1_b32 vcc_lo, exec_lo, s3
	s_cbranch_vccnz .LBB41_4
; %bb.3:
	s_load_b32 s16, s[16:17], 0x0
.LBB41_4:
	s_wait_kmcnt 0x0
	s_cmp_neq_f32 s12, 0
	s_mov_b32 s6, 0
	s_cselect_b32 s3, -1, 0
	s_cmp_neq_f32 s16, 1.0
	s_cselect_b32 s4, -1, 0
	s_delay_alu instid0(SALU_CYCLE_1) | instskip(NEXT) | instid1(SALU_CYCLE_1)
	s_or_b32 s3, s3, s4
	s_and_not1_b32 vcc_lo, exec_lo, s3
	s_cbranch_vccnz .LBB41_10
; %bb.5:
	s_load_b64 s[4:5], s[0:1], 0x20
	v_lshrrev_b32_e32 v1, 3, v0
	v_mov_b32_e32 v6, 0
	s_delay_alu instid0(VALU_DEP_2)
	v_lshl_or_b32 v5, ttmp9, 5, v1
	s_wait_kmcnt 0x0
	s_cmp_lg_u64 s[4:5], 0
	s_cbranch_scc0 .LBB41_11
; %bb.6:
	s_mov_b32 s7, 0
                                        ; implicit-def: $vgpr3_vgpr4
                                        ; implicit-def: $vgpr1_vgpr2
	s_mov_b32 s3, exec_lo
	v_cmpx_gt_i64_e64 s[14:15], v[5:6]
	s_xor_b32 s8, exec_lo, s3
	s_cbranch_execz .LBB41_8
; %bb.7:
	v_lshlrev_b64_e32 v[1:2], 3, v[5:6]
	s_mov_b32 s3, 0
	s_mov_b32 s6, exec_lo
	s_delay_alu instid0(VALU_DEP_1) | instskip(NEXT) | instid1(VALU_DEP_1)
	v_add_co_u32 v1, vcc_lo, s4, v1
	v_add_co_ci_u32_e64 v2, null, s5, v2, vcc_lo
	global_load_b64 v[1:2], v[1:2], off
	s_wait_loadcnt 0x0
	v_sub_co_u32 v3, vcc_lo, v1, s2
	s_wait_alu 0xfffd
	v_subrev_co_ci_u32_e64 v4, null, 0, v2, vcc_lo
	v_dual_mov_b32 v1, s2 :: v_dual_mov_b32 v2, s3
.LBB41_8:
	s_or_b32 exec_lo, exec_lo, s8
	s_delay_alu instid0(SALU_CYCLE_1)
	s_and_b32 vcc_lo, exec_lo, s7
	s_wait_alu 0xfffe
	s_cbranch_vccnz .LBB41_12
.LBB41_9:
	s_and_saveexec_b32 s2, s6
	s_cbranch_execnz .LBB41_15
.LBB41_10:
	s_endpgm
.LBB41_11:
                                        ; implicit-def: $vgpr3_vgpr4
                                        ; implicit-def: $vgpr1_vgpr2
	s_cbranch_execz .LBB41_9
.LBB41_12:
	s_load_b64 s[4:5], s[0:1], 0x0
	s_wait_kmcnt 0x0
	v_cmp_gt_i64_e32 vcc_lo, s[4:5], v[5:6]
	s_and_saveexec_b32 s4, vcc_lo
; %bb.13:
	s_mov_b32 s3, 0
	s_or_b32 s6, s6, exec_lo
; %bb.14:
	s_wait_alu 0xfffe
	s_or_b32 exec_lo, exec_lo, s4
	v_dual_mov_b32 v1, s2 :: v_dual_mov_b32 v2, s3
	v_dual_mov_b32 v3, v5 :: v_dual_mov_b32 v4, v6
	s_and_saveexec_b32 s2, s6
	s_cbranch_execz .LBB41_10
.LBB41_15:
	s_load_b256 s[4:11], s[0:1], 0x28
	s_delay_alu instid0(VALU_DEP_1) | instskip(SKIP_2) | instid1(VALU_DEP_2)
	v_lshlrev_b64_e32 v[5:6], 3, v[3:4]
	v_dual_mov_b32 v17, 0 :: v_dual_and_b32 v0, 7, v0
	s_wait_kmcnt 0x0
	v_add_co_u32 v7, vcc_lo, s4, v5
	s_wait_alu 0xfffd
	s_delay_alu instid0(VALU_DEP_3)
	v_add_co_ci_u32_e64 v8, null, s5, v6, vcc_lo
	v_add_co_u32 v5, vcc_lo, s6, v5
	s_wait_alu 0xfffd
	v_add_co_ci_u32_e64 v6, null, s7, v6, vcc_lo
	global_load_b64 v[9:10], v[7:8], off
	v_add_co_u32 v7, vcc_lo, v7, 8
	s_wait_alu 0xfffd
	v_add_co_ci_u32_e64 v8, null, 0, v8, vcc_lo
	s_cmp_eq_u64 s[6:7], 0
	s_cselect_b32 vcc_lo, -1, 0
	s_wait_alu 0xfffe
	v_dual_cndmask_b32 v6, v6, v8 :: v_dual_cndmask_b32 v5, v5, v7
	global_load_b64 v[11:12], v[5:6], off
	s_clause 0x1
	s_load_b32 s3, s[0:1], 0x8
	s_load_b64 s[4:5], s[0:1], 0x48
	s_wait_kmcnt 0x0
	s_cmp_eq_u32 s3, 1
	s_wait_loadcnt 0x1
	v_sub_co_u32 v5, vcc_lo, v9, v1
	s_wait_alu 0xfffd
	v_sub_co_ci_u32_e64 v6, null, v10, v2, vcc_lo
	s_delay_alu instid0(VALU_DEP_2) | instskip(SKIP_1) | instid1(VALU_DEP_2)
	v_add_co_u32 v5, vcc_lo, v5, v0
	s_wait_alu 0xfffd
	v_add_co_ci_u32_e64 v6, null, 0, v6, vcc_lo
	s_delay_alu instid0(VALU_DEP_2) | instskip(NEXT) | instid1(VALU_DEP_1)
	v_mad_co_u64_u32 v[7:8], null, v5, 36, s[10:11]
	v_mad_co_u64_u32 v[8:9], null, v6, 36, v[8:9]
	s_wait_loadcnt 0x0
	v_sub_co_u32 v9, vcc_lo, v11, v1
	s_wait_alu 0xfffd
	v_sub_co_ci_u32_e64 v10, null, v12, v2, vcc_lo
	s_delay_alu instid0(VALU_DEP_1)
	v_cmp_lt_i64_e64 s2, v[5:6], v[9:10]
	s_cbranch_scc1 .LBB41_21
; %bb.16:
	v_dual_mov_b32 v18, 0 :: v_dual_mov_b32 v19, 0
	s_and_saveexec_b32 s6, s2
	s_cbranch_execz .LBB41_20
; %bb.17:
	v_lshlrev_b64_e32 v[13:14], 3, v[5:6]
	v_dual_mov_b32 v17, 0 :: v_dual_mov_b32 v12, v8
	v_dual_mov_b32 v11, v7 :: v_dual_mov_b32 v16, v6
	;; [unrolled: 1-line block ×3, first 2 shown]
	s_delay_alu instid0(VALU_DEP_4)
	v_add_co_u32 v13, vcc_lo, s8, v13
	s_wait_alu 0xfffd
	v_add_co_ci_u32_e64 v14, null, s9, v14, vcc_lo
	v_mov_b32_e32 v19, 0
	s_mov_b32 s7, 0
.LBB41_18:                              ; =>This Inner Loop Header: Depth=1
	global_load_b64 v[20:21], v[13:14], off
	s_wait_loadcnt 0x0
	v_sub_co_u32 v20, vcc_lo, v20, v1
	s_wait_alu 0xfffd
	v_sub_co_ci_u32_e64 v21, null, v21, v2, vcc_lo
	s_delay_alu instid0(VALU_DEP_2) | instskip(NEXT) | instid1(VALU_DEP_1)
	v_mad_co_u64_u32 v[28:29], null, v20, 12, s[4:5]
	v_mov_b32_e32 v20, v29
	s_delay_alu instid0(VALU_DEP_1)
	v_mad_co_u64_u32 v[24:25], null, v21, 12, v[20:21]
	global_load_b128 v[20:23], v[11:12], off offset:16
	v_mov_b32_e32 v29, v24
	global_load_b128 v[24:27], v[11:12], off
	global_load_b96 v[28:30], v[28:29], off
	global_load_b32 v31, v[11:12], off offset:32
	v_add_co_u32 v11, vcc_lo, 0x120, v11
	s_wait_alu 0xfffd
	v_add_co_ci_u32_e64 v12, null, 0, v12, vcc_lo
	v_add_co_u32 v15, vcc_lo, v15, 8
	s_wait_alu 0xfffd
	v_add_co_ci_u32_e64 v16, null, 0, v16, vcc_lo
	;; [unrolled: 3-line block ×3, first 2 shown]
	s_delay_alu instid0(VALU_DEP_3) | instskip(SKIP_4) | instid1(VALU_DEP_1)
	v_cmp_ge_i64_e64 s3, v[15:16], v[9:10]
	s_wait_alu 0xfffe
	s_or_b32 s7, s3, s7
	s_wait_loadcnt 0x1
	v_fmac_f32_e32 v18, v27, v28
	v_dual_fmac_f32 v17, v22, v28 :: v_dual_fmac_f32 v18, v20, v29
	v_fmac_f32_e32 v19, v24, v28
	s_delay_alu instid0(VALU_DEP_2) | instskip(NEXT) | instid1(VALU_DEP_2)
	v_dual_fmac_f32 v17, v23, v29 :: v_dual_fmac_f32 v18, v21, v30
	v_fmac_f32_e32 v19, v25, v29
	s_wait_loadcnt 0x0
	s_delay_alu instid0(VALU_DEP_2) | instskip(NEXT) | instid1(VALU_DEP_2)
	v_fmac_f32_e32 v17, v31, v30
	v_fmac_f32_e32 v19, v26, v30
	s_wait_alu 0xfffe
	s_and_not1_b32 exec_lo, exec_lo, s7
	s_cbranch_execnz .LBB41_18
; %bb.19:
	s_or_b32 exec_lo, exec_lo, s7
.LBB41_20:
	s_wait_alu 0xfffe
	s_or_b32 exec_lo, exec_lo, s6
	s_cbranch_execz .LBB41_22
	s_branch .LBB41_27
.LBB41_21:
                                        ; implicit-def: $vgpr17
                                        ; implicit-def: $vgpr18
                                        ; implicit-def: $vgpr19
.LBB41_22:
	v_dual_mov_b32 v17, 0 :: v_dual_mov_b32 v18, 0
	v_mov_b32_e32 v19, 0
	s_and_saveexec_b32 s3, s2
	s_cbranch_execz .LBB41_26
; %bb.23:
	v_lshlrev_b64_e32 v[11:12], 3, v[5:6]
	v_dual_mov_b32 v17, 0 :: v_dual_mov_b32 v18, 0
	v_mov_b32_e32 v19, 0
	s_mov_b32 s6, 0
	s_delay_alu instid0(VALU_DEP_3)
	v_add_co_u32 v11, vcc_lo, s8, v11
	s_wait_alu 0xfffd
	v_add_co_ci_u32_e64 v12, null, s9, v12, vcc_lo
.LBB41_24:                              ; =>This Inner Loop Header: Depth=1
	global_load_b64 v[13:14], v[11:12], off
	s_wait_loadcnt 0x0
	v_sub_co_u32 v13, vcc_lo, v13, v1
	s_wait_alu 0xfffd
	v_sub_co_ci_u32_e64 v14, null, v14, v2, vcc_lo
	s_delay_alu instid0(VALU_DEP_2) | instskip(NEXT) | instid1(VALU_DEP_1)
	v_mad_co_u64_u32 v[24:25], null, v13, 12, s[4:5]
	v_mov_b32_e32 v13, v25
	s_delay_alu instid0(VALU_DEP_1)
	v_mad_co_u64_u32 v[20:21], null, v14, 12, v[13:14]
	global_load_b128 v[13:16], v[7:8], off offset:16
	v_mov_b32_e32 v25, v20
	global_load_b128 v[20:23], v[7:8], off
	global_load_b96 v[24:26], v[24:25], off
	global_load_b32 v27, v[7:8], off offset:32
	v_add_co_u32 v7, vcc_lo, 0x120, v7
	s_wait_alu 0xfffd
	v_add_co_ci_u32_e64 v8, null, 0, v8, vcc_lo
	v_add_co_u32 v5, vcc_lo, v5, 8
	s_wait_alu 0xfffd
	v_add_co_ci_u32_e64 v6, null, 0, v6, vcc_lo
	;; [unrolled: 3-line block ×3, first 2 shown]
	s_delay_alu instid0(VALU_DEP_3)
	v_cmp_ge_i64_e64 s2, v[5:6], v[9:10]
	s_wait_alu 0xfffe
	s_or_b32 s6, s2, s6
	s_wait_loadcnt 0x1
	v_fmac_f32_e32 v18, v21, v24
	v_fmac_f32_e32 v19, v20, v24
	s_delay_alu instid0(VALU_DEP_2) | instskip(NEXT) | instid1(VALU_DEP_2)
	v_dual_fmac_f32 v17, v22, v24 :: v_dual_fmac_f32 v18, v13, v25
	v_fmac_f32_e32 v19, v23, v25
	s_delay_alu instid0(VALU_DEP_2) | instskip(NEXT) | instid1(VALU_DEP_2)
	v_dual_fmac_f32 v17, v14, v25 :: v_dual_fmac_f32 v18, v16, v26
	v_fmac_f32_e32 v19, v15, v26
	s_wait_loadcnt 0x0
	s_delay_alu instid0(VALU_DEP_2)
	v_fmac_f32_e32 v17, v27, v26
	s_wait_alu 0xfffe
	s_and_not1_b32 exec_lo, exec_lo, s6
	s_cbranch_execnz .LBB41_24
; %bb.25:
	s_or_b32 exec_lo, exec_lo, s6
.LBB41_26:
	s_wait_alu 0xfffe
	s_or_b32 exec_lo, exec_lo, s3
.LBB41_27:
	v_mbcnt_lo_u32_b32 v1, -1, 0
	s_mov_b32 s2, -1
	s_delay_alu instid0(VALU_DEP_1) | instskip(SKIP_2) | instid1(VALU_DEP_3)
	v_xor_b32_e32 v2, 4, v1
	v_xor_b32_e32 v7, 2, v1
	;; [unrolled: 1-line block ×3, first 2 shown]
	v_cmp_gt_i32_e32 vcc_lo, 32, v2
	s_wait_alu 0xfffd
	v_cndmask_b32_e32 v2, v1, v2, vcc_lo
	v_cmp_gt_i32_e32 vcc_lo, 32, v7
	s_wait_alu 0xfffd
	v_cndmask_b32_e32 v7, v1, v7, vcc_lo
	v_cmp_gt_i32_e32 vcc_lo, 32, v10
	s_delay_alu instid0(VALU_DEP_2)
	v_lshlrev_b32_e32 v7, 2, v7
	v_lshlrev_b32_e32 v2, 2, v2
	ds_bpermute_b32 v5, v2, v19
	s_wait_dscnt 0x0
	v_add_f32_e32 v5, v19, v5
	ds_bpermute_b32 v6, v2, v18
	ds_bpermute_b32 v2, v2, v17
	s_wait_dscnt 0x1
	v_add_f32_e32 v6, v18, v6
	s_wait_dscnt 0x0
	v_add_f32_e32 v8, v17, v2
	ds_bpermute_b32 v2, v7, v5
	ds_bpermute_b32 v9, v7, v6
	;; [unrolled: 1-line block ×3, first 2 shown]
	s_wait_alu 0xfffd
	v_cndmask_b32_e32 v1, v1, v10, vcc_lo
	v_cmp_eq_u32_e32 vcc_lo, 7, v0
	s_wait_dscnt 0x2
	s_delay_alu instid0(VALU_DEP_2)
	v_dual_add_f32 v1, v5, v2 :: v_dual_lshlrev_b32 v10, 2, v1
	s_wait_dscnt 0x0
	v_dual_add_f32 v2, v6, v9 :: v_dual_add_f32 v5, v8, v7
	ds_bpermute_b32 v6, v10, v1
	ds_bpermute_b32 v7, v10, v2
	;; [unrolled: 1-line block ×3, first 2 shown]
	s_and_b32 exec_lo, exec_lo, vcc_lo
	s_cbranch_execz .LBB41_10
; %bb.28:
	s_load_b64 s[0:1], s[0:1], 0x58
	s_wait_dscnt 0x1
	v_dual_add_f32 v0, v1, v6 :: v_dual_add_f32 v1, v2, v7
	s_wait_dscnt 0x0
	v_add_f32_e32 v2, v5, v8
	s_cmp_eq_f32 s16, 0
	s_delay_alu instid0(VALU_DEP_2) | instskip(NEXT) | instid1(VALU_DEP_2)
	v_dual_mul_f32 v0, s12, v0 :: v_dual_mul_f32 v1, s12, v1
	v_mul_f32_e32 v2, s12, v2
	s_cbranch_scc0 .LBB41_30
; %bb.29:
	s_wait_kmcnt 0x0
	v_mad_co_u64_u32 v[5:6], null, v3, 12, s[0:1]
	s_mov_b32 s2, 0
	v_mad_co_u64_u32 v[6:7], null, v4, 12, v[6:7]
	global_store_b96 v[5:6], v[0:2], off
.LBB41_30:
	s_wait_alu 0xfffe
	s_and_not1_b32 vcc_lo, exec_lo, s2
	s_wait_alu 0xfffe
	s_cbranch_vccnz .LBB41_10
; %bb.31:
	s_wait_kmcnt 0x0
	v_mad_co_u64_u32 v[6:7], null, v3, 12, s[0:1]
	s_delay_alu instid0(VALU_DEP_1) | instskip(NEXT) | instid1(VALU_DEP_1)
	v_mov_b32_e32 v3, v7
	v_mad_co_u64_u32 v[3:4], null, v4, 12, v[3:4]
	s_delay_alu instid0(VALU_DEP_1)
	v_mov_b32_e32 v7, v3
	global_load_b96 v[3:5], v[6:7], off
	s_wait_loadcnt 0x0
	v_dual_fmac_f32 v0, s16, v3 :: v_dual_fmac_f32 v1, s16, v4
	v_fmac_f32_e32 v2, s16, v5
	global_store_b96 v[6:7], v[0:2], off
	s_endpgm
	.section	.rodata,"a",@progbits
	.p2align	6, 0x0
	.amdhsa_kernel _ZN9rocsparseL18bsrxmvn_3x3_kernelILj256ELj8EfllfffEEvT3_20rocsparse_direction_NS_24const_host_device_scalarIT1_EES1_PKS1_PKT2_SA_S7_PKT4_PKT5_S5_PT6_21rocsparse_index_base_b
		.amdhsa_group_segment_fixed_size 0
		.amdhsa_private_segment_fixed_size 0
		.amdhsa_kernarg_size 104
		.amdhsa_user_sgpr_count 2
		.amdhsa_user_sgpr_dispatch_ptr 0
		.amdhsa_user_sgpr_queue_ptr 0
		.amdhsa_user_sgpr_kernarg_segment_ptr 1
		.amdhsa_user_sgpr_dispatch_id 0
		.amdhsa_user_sgpr_private_segment_size 0
		.amdhsa_wavefront_size32 1
		.amdhsa_uses_dynamic_stack 0
		.amdhsa_enable_private_segment 0
		.amdhsa_system_sgpr_workgroup_id_x 1
		.amdhsa_system_sgpr_workgroup_id_y 0
		.amdhsa_system_sgpr_workgroup_id_z 0
		.amdhsa_system_sgpr_workgroup_info 0
		.amdhsa_system_vgpr_workitem_id 0
		.amdhsa_next_free_vgpr 32
		.amdhsa_next_free_sgpr 18
		.amdhsa_reserve_vcc 1
		.amdhsa_float_round_mode_32 0
		.amdhsa_float_round_mode_16_64 0
		.amdhsa_float_denorm_mode_32 3
		.amdhsa_float_denorm_mode_16_64 3
		.amdhsa_fp16_overflow 0
		.amdhsa_workgroup_processor_mode 1
		.amdhsa_memory_ordered 1
		.amdhsa_forward_progress 1
		.amdhsa_inst_pref_size 14
		.amdhsa_round_robin_scheduling 0
		.amdhsa_exception_fp_ieee_invalid_op 0
		.amdhsa_exception_fp_denorm_src 0
		.amdhsa_exception_fp_ieee_div_zero 0
		.amdhsa_exception_fp_ieee_overflow 0
		.amdhsa_exception_fp_ieee_underflow 0
		.amdhsa_exception_fp_ieee_inexact 0
		.amdhsa_exception_int_div_zero 0
	.end_amdhsa_kernel
	.section	.text._ZN9rocsparseL18bsrxmvn_3x3_kernelILj256ELj8EfllfffEEvT3_20rocsparse_direction_NS_24const_host_device_scalarIT1_EES1_PKS1_PKT2_SA_S7_PKT4_PKT5_S5_PT6_21rocsparse_index_base_b,"axG",@progbits,_ZN9rocsparseL18bsrxmvn_3x3_kernelILj256ELj8EfllfffEEvT3_20rocsparse_direction_NS_24const_host_device_scalarIT1_EES1_PKS1_PKT2_SA_S7_PKT4_PKT5_S5_PT6_21rocsparse_index_base_b,comdat
.Lfunc_end41:
	.size	_ZN9rocsparseL18bsrxmvn_3x3_kernelILj256ELj8EfllfffEEvT3_20rocsparse_direction_NS_24const_host_device_scalarIT1_EES1_PKS1_PKT2_SA_S7_PKT4_PKT5_S5_PT6_21rocsparse_index_base_b, .Lfunc_end41-_ZN9rocsparseL18bsrxmvn_3x3_kernelILj256ELj8EfllfffEEvT3_20rocsparse_direction_NS_24const_host_device_scalarIT1_EES1_PKS1_PKT2_SA_S7_PKT4_PKT5_S5_PT6_21rocsparse_index_base_b
                                        ; -- End function
	.set _ZN9rocsparseL18bsrxmvn_3x3_kernelILj256ELj8EfllfffEEvT3_20rocsparse_direction_NS_24const_host_device_scalarIT1_EES1_PKS1_PKT2_SA_S7_PKT4_PKT5_S5_PT6_21rocsparse_index_base_b.num_vgpr, 32
	.set _ZN9rocsparseL18bsrxmvn_3x3_kernelILj256ELj8EfllfffEEvT3_20rocsparse_direction_NS_24const_host_device_scalarIT1_EES1_PKS1_PKT2_SA_S7_PKT4_PKT5_S5_PT6_21rocsparse_index_base_b.num_agpr, 0
	.set _ZN9rocsparseL18bsrxmvn_3x3_kernelILj256ELj8EfllfffEEvT3_20rocsparse_direction_NS_24const_host_device_scalarIT1_EES1_PKS1_PKT2_SA_S7_PKT4_PKT5_S5_PT6_21rocsparse_index_base_b.numbered_sgpr, 18
	.set _ZN9rocsparseL18bsrxmvn_3x3_kernelILj256ELj8EfllfffEEvT3_20rocsparse_direction_NS_24const_host_device_scalarIT1_EES1_PKS1_PKT2_SA_S7_PKT4_PKT5_S5_PT6_21rocsparse_index_base_b.num_named_barrier, 0
	.set _ZN9rocsparseL18bsrxmvn_3x3_kernelILj256ELj8EfllfffEEvT3_20rocsparse_direction_NS_24const_host_device_scalarIT1_EES1_PKS1_PKT2_SA_S7_PKT4_PKT5_S5_PT6_21rocsparse_index_base_b.private_seg_size, 0
	.set _ZN9rocsparseL18bsrxmvn_3x3_kernelILj256ELj8EfllfffEEvT3_20rocsparse_direction_NS_24const_host_device_scalarIT1_EES1_PKS1_PKT2_SA_S7_PKT4_PKT5_S5_PT6_21rocsparse_index_base_b.uses_vcc, 1
	.set _ZN9rocsparseL18bsrxmvn_3x3_kernelILj256ELj8EfllfffEEvT3_20rocsparse_direction_NS_24const_host_device_scalarIT1_EES1_PKS1_PKT2_SA_S7_PKT4_PKT5_S5_PT6_21rocsparse_index_base_b.uses_flat_scratch, 0
	.set _ZN9rocsparseL18bsrxmvn_3x3_kernelILj256ELj8EfllfffEEvT3_20rocsparse_direction_NS_24const_host_device_scalarIT1_EES1_PKS1_PKT2_SA_S7_PKT4_PKT5_S5_PT6_21rocsparse_index_base_b.has_dyn_sized_stack, 0
	.set _ZN9rocsparseL18bsrxmvn_3x3_kernelILj256ELj8EfllfffEEvT3_20rocsparse_direction_NS_24const_host_device_scalarIT1_EES1_PKS1_PKT2_SA_S7_PKT4_PKT5_S5_PT6_21rocsparse_index_base_b.has_recursion, 0
	.set _ZN9rocsparseL18bsrxmvn_3x3_kernelILj256ELj8EfllfffEEvT3_20rocsparse_direction_NS_24const_host_device_scalarIT1_EES1_PKS1_PKT2_SA_S7_PKT4_PKT5_S5_PT6_21rocsparse_index_base_b.has_indirect_call, 0
	.section	.AMDGPU.csdata,"",@progbits
; Kernel info:
; codeLenInByte = 1728
; TotalNumSgprs: 20
; NumVgprs: 32
; ScratchSize: 0
; MemoryBound: 0
; FloatMode: 240
; IeeeMode: 1
; LDSByteSize: 0 bytes/workgroup (compile time only)
; SGPRBlocks: 0
; VGPRBlocks: 3
; NumSGPRsForWavesPerEU: 20
; NumVGPRsForWavesPerEU: 32
; Occupancy: 16
; WaveLimiterHint : 1
; COMPUTE_PGM_RSRC2:SCRATCH_EN: 0
; COMPUTE_PGM_RSRC2:USER_SGPR: 2
; COMPUTE_PGM_RSRC2:TRAP_HANDLER: 0
; COMPUTE_PGM_RSRC2:TGID_X_EN: 1
; COMPUTE_PGM_RSRC2:TGID_Y_EN: 0
; COMPUTE_PGM_RSRC2:TGID_Z_EN: 0
; COMPUTE_PGM_RSRC2:TIDIG_COMP_CNT: 0
	.section	.text._ZN9rocsparseL18bsrxmvn_3x3_kernelILj256ELj16EfllfffEEvT3_20rocsparse_direction_NS_24const_host_device_scalarIT1_EES1_PKS1_PKT2_SA_S7_PKT4_PKT5_S5_PT6_21rocsparse_index_base_b,"axG",@progbits,_ZN9rocsparseL18bsrxmvn_3x3_kernelILj256ELj16EfllfffEEvT3_20rocsparse_direction_NS_24const_host_device_scalarIT1_EES1_PKS1_PKT2_SA_S7_PKT4_PKT5_S5_PT6_21rocsparse_index_base_b,comdat
	.globl	_ZN9rocsparseL18bsrxmvn_3x3_kernelILj256ELj16EfllfffEEvT3_20rocsparse_direction_NS_24const_host_device_scalarIT1_EES1_PKS1_PKT2_SA_S7_PKT4_PKT5_S5_PT6_21rocsparse_index_base_b ; -- Begin function _ZN9rocsparseL18bsrxmvn_3x3_kernelILj256ELj16EfllfffEEvT3_20rocsparse_direction_NS_24const_host_device_scalarIT1_EES1_PKS1_PKT2_SA_S7_PKT4_PKT5_S5_PT6_21rocsparse_index_base_b
	.p2align	8
	.type	_ZN9rocsparseL18bsrxmvn_3x3_kernelILj256ELj16EfllfffEEvT3_20rocsparse_direction_NS_24const_host_device_scalarIT1_EES1_PKS1_PKT2_SA_S7_PKT4_PKT5_S5_PT6_21rocsparse_index_base_b,@function
_ZN9rocsparseL18bsrxmvn_3x3_kernelILj256ELj16EfllfffEEvT3_20rocsparse_direction_NS_24const_host_device_scalarIT1_EES1_PKS1_PKT2_SA_S7_PKT4_PKT5_S5_PT6_21rocsparse_index_base_b: ; @_ZN9rocsparseL18bsrxmvn_3x3_kernelILj256ELj16EfllfffEEvT3_20rocsparse_direction_NS_24const_host_device_scalarIT1_EES1_PKS1_PKT2_SA_S7_PKT4_PKT5_S5_PT6_21rocsparse_index_base_b
; %bb.0:
	s_clause 0x2
	s_load_b64 s[2:3], s[0:1], 0x60
	s_load_b128 s[12:15], s[0:1], 0x10
	s_load_b64 s[16:17], s[0:1], 0x50
	s_wait_kmcnt 0x0
	s_bitcmp1_b32 s3, 0
	s_cselect_b32 s3, -1, 0
	s_delay_alu instid0(SALU_CYCLE_1)
	s_and_b32 vcc_lo, exec_lo, s3
	s_xor_b32 s3, s3, -1
	s_cbranch_vccnz .LBB42_2
; %bb.1:
	s_load_b32 s12, s[12:13], 0x0
.LBB42_2:
	s_and_not1_b32 vcc_lo, exec_lo, s3
	s_cbranch_vccnz .LBB42_4
; %bb.3:
	s_load_b32 s16, s[16:17], 0x0
.LBB42_4:
	s_wait_kmcnt 0x0
	s_cmp_neq_f32 s12, 0
	s_mov_b32 s6, 0
	s_cselect_b32 s3, -1, 0
	s_cmp_neq_f32 s16, 1.0
	s_cselect_b32 s4, -1, 0
	s_delay_alu instid0(SALU_CYCLE_1) | instskip(NEXT) | instid1(SALU_CYCLE_1)
	s_or_b32 s3, s3, s4
	s_and_not1_b32 vcc_lo, exec_lo, s3
	s_cbranch_vccnz .LBB42_10
; %bb.5:
	s_load_b64 s[4:5], s[0:1], 0x20
	v_lshrrev_b32_e32 v1, 4, v0
	v_mov_b32_e32 v6, 0
	s_delay_alu instid0(VALU_DEP_2)
	v_lshl_or_b32 v5, ttmp9, 4, v1
	s_wait_kmcnt 0x0
	s_cmp_lg_u64 s[4:5], 0
	s_cbranch_scc0 .LBB42_11
; %bb.6:
	s_mov_b32 s7, 0
                                        ; implicit-def: $vgpr3_vgpr4
                                        ; implicit-def: $vgpr1_vgpr2
	s_mov_b32 s3, exec_lo
	v_cmpx_gt_i64_e64 s[14:15], v[5:6]
	s_xor_b32 s8, exec_lo, s3
	s_cbranch_execz .LBB42_8
; %bb.7:
	v_lshlrev_b64_e32 v[1:2], 3, v[5:6]
	s_mov_b32 s3, 0
	s_mov_b32 s6, exec_lo
	s_delay_alu instid0(VALU_DEP_1) | instskip(NEXT) | instid1(VALU_DEP_1)
	v_add_co_u32 v1, vcc_lo, s4, v1
	v_add_co_ci_u32_e64 v2, null, s5, v2, vcc_lo
	global_load_b64 v[1:2], v[1:2], off
	s_wait_loadcnt 0x0
	v_sub_co_u32 v3, vcc_lo, v1, s2
	s_wait_alu 0xfffd
	v_subrev_co_ci_u32_e64 v4, null, 0, v2, vcc_lo
	v_dual_mov_b32 v1, s2 :: v_dual_mov_b32 v2, s3
.LBB42_8:
	s_or_b32 exec_lo, exec_lo, s8
	s_delay_alu instid0(SALU_CYCLE_1)
	s_and_b32 vcc_lo, exec_lo, s7
	s_wait_alu 0xfffe
	s_cbranch_vccnz .LBB42_12
.LBB42_9:
	s_and_saveexec_b32 s2, s6
	s_cbranch_execnz .LBB42_15
.LBB42_10:
	s_endpgm
.LBB42_11:
                                        ; implicit-def: $vgpr3_vgpr4
                                        ; implicit-def: $vgpr1_vgpr2
	s_cbranch_execz .LBB42_9
.LBB42_12:
	s_load_b64 s[4:5], s[0:1], 0x0
	s_wait_kmcnt 0x0
	v_cmp_gt_i64_e32 vcc_lo, s[4:5], v[5:6]
	s_and_saveexec_b32 s4, vcc_lo
; %bb.13:
	s_mov_b32 s3, 0
	s_or_b32 s6, s6, exec_lo
; %bb.14:
	s_wait_alu 0xfffe
	s_or_b32 exec_lo, exec_lo, s4
	v_dual_mov_b32 v1, s2 :: v_dual_mov_b32 v2, s3
	v_dual_mov_b32 v3, v5 :: v_dual_mov_b32 v4, v6
	s_and_saveexec_b32 s2, s6
	s_cbranch_execz .LBB42_10
.LBB42_15:
	s_load_b256 s[4:11], s[0:1], 0x28
	s_delay_alu instid0(VALU_DEP_1) | instskip(SKIP_2) | instid1(VALU_DEP_2)
	v_lshlrev_b64_e32 v[5:6], 3, v[3:4]
	v_dual_mov_b32 v17, 0 :: v_dual_and_b32 v0, 15, v0
	s_wait_kmcnt 0x0
	v_add_co_u32 v7, vcc_lo, s4, v5
	s_wait_alu 0xfffd
	s_delay_alu instid0(VALU_DEP_3)
	v_add_co_ci_u32_e64 v8, null, s5, v6, vcc_lo
	v_add_co_u32 v5, vcc_lo, s6, v5
	s_wait_alu 0xfffd
	v_add_co_ci_u32_e64 v6, null, s7, v6, vcc_lo
	global_load_b64 v[9:10], v[7:8], off
	v_add_co_u32 v7, vcc_lo, v7, 8
	s_wait_alu 0xfffd
	v_add_co_ci_u32_e64 v8, null, 0, v8, vcc_lo
	s_cmp_eq_u64 s[6:7], 0
	s_cselect_b32 vcc_lo, -1, 0
	s_wait_alu 0xfffe
	v_dual_cndmask_b32 v6, v6, v8 :: v_dual_cndmask_b32 v5, v5, v7
	global_load_b64 v[11:12], v[5:6], off
	s_clause 0x1
	s_load_b32 s3, s[0:1], 0x8
	s_load_b64 s[4:5], s[0:1], 0x48
	s_wait_kmcnt 0x0
	s_cmp_eq_u32 s3, 1
	s_wait_loadcnt 0x1
	v_sub_co_u32 v5, vcc_lo, v9, v1
	s_wait_alu 0xfffd
	v_sub_co_ci_u32_e64 v6, null, v10, v2, vcc_lo
	s_delay_alu instid0(VALU_DEP_2) | instskip(SKIP_1) | instid1(VALU_DEP_2)
	v_add_co_u32 v5, vcc_lo, v5, v0
	s_wait_alu 0xfffd
	v_add_co_ci_u32_e64 v6, null, 0, v6, vcc_lo
	s_delay_alu instid0(VALU_DEP_2) | instskip(NEXT) | instid1(VALU_DEP_1)
	v_mad_co_u64_u32 v[7:8], null, v5, 36, s[10:11]
	v_mad_co_u64_u32 v[8:9], null, v6, 36, v[8:9]
	s_wait_loadcnt 0x0
	v_sub_co_u32 v9, vcc_lo, v11, v1
	s_wait_alu 0xfffd
	v_sub_co_ci_u32_e64 v10, null, v12, v2, vcc_lo
	s_delay_alu instid0(VALU_DEP_1)
	v_cmp_lt_i64_e64 s2, v[5:6], v[9:10]
	s_cbranch_scc1 .LBB42_21
; %bb.16:
	v_dual_mov_b32 v18, 0 :: v_dual_mov_b32 v19, 0
	s_and_saveexec_b32 s6, s2
	s_cbranch_execz .LBB42_20
; %bb.17:
	v_lshlrev_b64_e32 v[13:14], 3, v[5:6]
	v_dual_mov_b32 v17, 0 :: v_dual_mov_b32 v12, v8
	v_dual_mov_b32 v11, v7 :: v_dual_mov_b32 v16, v6
	;; [unrolled: 1-line block ×3, first 2 shown]
	s_delay_alu instid0(VALU_DEP_4)
	v_add_co_u32 v13, vcc_lo, s8, v13
	s_wait_alu 0xfffd
	v_add_co_ci_u32_e64 v14, null, s9, v14, vcc_lo
	v_mov_b32_e32 v19, 0
	s_mov_b32 s7, 0
.LBB42_18:                              ; =>This Inner Loop Header: Depth=1
	global_load_b64 v[20:21], v[13:14], off
	s_wait_loadcnt 0x0
	v_sub_co_u32 v20, vcc_lo, v20, v1
	s_wait_alu 0xfffd
	v_sub_co_ci_u32_e64 v21, null, v21, v2, vcc_lo
	s_delay_alu instid0(VALU_DEP_2) | instskip(NEXT) | instid1(VALU_DEP_1)
	v_mad_co_u64_u32 v[28:29], null, v20, 12, s[4:5]
	v_mov_b32_e32 v20, v29
	s_delay_alu instid0(VALU_DEP_1)
	v_mad_co_u64_u32 v[24:25], null, v21, 12, v[20:21]
	global_load_b128 v[20:23], v[11:12], off offset:16
	v_mov_b32_e32 v29, v24
	global_load_b128 v[24:27], v[11:12], off
	global_load_b96 v[28:30], v[28:29], off
	global_load_b32 v31, v[11:12], off offset:32
	v_add_co_u32 v11, vcc_lo, 0x240, v11
	s_wait_alu 0xfffd
	v_add_co_ci_u32_e64 v12, null, 0, v12, vcc_lo
	v_add_co_u32 v15, vcc_lo, v15, 16
	s_wait_alu 0xfffd
	v_add_co_ci_u32_e64 v16, null, 0, v16, vcc_lo
	;; [unrolled: 3-line block ×3, first 2 shown]
	s_delay_alu instid0(VALU_DEP_3) | instskip(SKIP_4) | instid1(VALU_DEP_1)
	v_cmp_ge_i64_e64 s3, v[15:16], v[9:10]
	s_wait_alu 0xfffe
	s_or_b32 s7, s3, s7
	s_wait_loadcnt 0x1
	v_fmac_f32_e32 v18, v27, v28
	v_dual_fmac_f32 v17, v22, v28 :: v_dual_fmac_f32 v18, v20, v29
	v_fmac_f32_e32 v19, v24, v28
	s_delay_alu instid0(VALU_DEP_2) | instskip(NEXT) | instid1(VALU_DEP_2)
	v_dual_fmac_f32 v17, v23, v29 :: v_dual_fmac_f32 v18, v21, v30
	v_fmac_f32_e32 v19, v25, v29
	s_wait_loadcnt 0x0
	s_delay_alu instid0(VALU_DEP_2) | instskip(NEXT) | instid1(VALU_DEP_2)
	v_fmac_f32_e32 v17, v31, v30
	v_fmac_f32_e32 v19, v26, v30
	s_wait_alu 0xfffe
	s_and_not1_b32 exec_lo, exec_lo, s7
	s_cbranch_execnz .LBB42_18
; %bb.19:
	s_or_b32 exec_lo, exec_lo, s7
.LBB42_20:
	s_wait_alu 0xfffe
	s_or_b32 exec_lo, exec_lo, s6
	s_cbranch_execz .LBB42_22
	s_branch .LBB42_27
.LBB42_21:
                                        ; implicit-def: $vgpr17
                                        ; implicit-def: $vgpr18
                                        ; implicit-def: $vgpr19
.LBB42_22:
	v_dual_mov_b32 v17, 0 :: v_dual_mov_b32 v18, 0
	v_mov_b32_e32 v19, 0
	s_and_saveexec_b32 s3, s2
	s_cbranch_execz .LBB42_26
; %bb.23:
	v_lshlrev_b64_e32 v[11:12], 3, v[5:6]
	v_dual_mov_b32 v17, 0 :: v_dual_mov_b32 v18, 0
	v_mov_b32_e32 v19, 0
	s_mov_b32 s6, 0
	s_delay_alu instid0(VALU_DEP_3)
	v_add_co_u32 v11, vcc_lo, s8, v11
	s_wait_alu 0xfffd
	v_add_co_ci_u32_e64 v12, null, s9, v12, vcc_lo
.LBB42_24:                              ; =>This Inner Loop Header: Depth=1
	global_load_b64 v[13:14], v[11:12], off
	s_wait_loadcnt 0x0
	v_sub_co_u32 v13, vcc_lo, v13, v1
	s_wait_alu 0xfffd
	v_sub_co_ci_u32_e64 v14, null, v14, v2, vcc_lo
	s_delay_alu instid0(VALU_DEP_2) | instskip(NEXT) | instid1(VALU_DEP_1)
	v_mad_co_u64_u32 v[24:25], null, v13, 12, s[4:5]
	v_mov_b32_e32 v13, v25
	s_delay_alu instid0(VALU_DEP_1)
	v_mad_co_u64_u32 v[20:21], null, v14, 12, v[13:14]
	global_load_b128 v[13:16], v[7:8], off offset:16
	v_mov_b32_e32 v25, v20
	global_load_b128 v[20:23], v[7:8], off
	global_load_b96 v[24:26], v[24:25], off
	global_load_b32 v27, v[7:8], off offset:32
	v_add_co_u32 v7, vcc_lo, 0x240, v7
	s_wait_alu 0xfffd
	v_add_co_ci_u32_e64 v8, null, 0, v8, vcc_lo
	v_add_co_u32 v5, vcc_lo, v5, 16
	s_wait_alu 0xfffd
	v_add_co_ci_u32_e64 v6, null, 0, v6, vcc_lo
	;; [unrolled: 3-line block ×3, first 2 shown]
	s_delay_alu instid0(VALU_DEP_3)
	v_cmp_ge_i64_e64 s2, v[5:6], v[9:10]
	s_wait_alu 0xfffe
	s_or_b32 s6, s2, s6
	s_wait_loadcnt 0x1
	v_fmac_f32_e32 v18, v21, v24
	v_fmac_f32_e32 v19, v20, v24
	s_delay_alu instid0(VALU_DEP_2) | instskip(NEXT) | instid1(VALU_DEP_2)
	v_dual_fmac_f32 v17, v22, v24 :: v_dual_fmac_f32 v18, v13, v25
	v_fmac_f32_e32 v19, v23, v25
	s_delay_alu instid0(VALU_DEP_2) | instskip(NEXT) | instid1(VALU_DEP_2)
	v_dual_fmac_f32 v17, v14, v25 :: v_dual_fmac_f32 v18, v16, v26
	v_fmac_f32_e32 v19, v15, v26
	s_wait_loadcnt 0x0
	s_delay_alu instid0(VALU_DEP_2)
	v_fmac_f32_e32 v17, v27, v26
	s_wait_alu 0xfffe
	s_and_not1_b32 exec_lo, exec_lo, s6
	s_cbranch_execnz .LBB42_24
; %bb.25:
	s_or_b32 exec_lo, exec_lo, s6
.LBB42_26:
	s_wait_alu 0xfffe
	s_or_b32 exec_lo, exec_lo, s3
.LBB42_27:
	v_mbcnt_lo_u32_b32 v1, -1, 0
	s_mov_b32 s2, -1
	s_delay_alu instid0(VALU_DEP_1) | instskip(SKIP_2) | instid1(VALU_DEP_3)
	v_xor_b32_e32 v2, 8, v1
	v_xor_b32_e32 v7, 4, v1
	;; [unrolled: 1-line block ×3, first 2 shown]
	v_cmp_gt_i32_e32 vcc_lo, 32, v2
	s_wait_alu 0xfffd
	v_cndmask_b32_e32 v2, v1, v2, vcc_lo
	v_cmp_gt_i32_e32 vcc_lo, 32, v7
	s_wait_alu 0xfffd
	v_cndmask_b32_e32 v7, v1, v7, vcc_lo
	v_cmp_gt_i32_e32 vcc_lo, 32, v10
	s_delay_alu instid0(VALU_DEP_2)
	v_lshlrev_b32_e32 v7, 2, v7
	v_lshlrev_b32_e32 v2, 2, v2
	ds_bpermute_b32 v5, v2, v19
	s_wait_dscnt 0x0
	v_add_f32_e32 v5, v19, v5
	ds_bpermute_b32 v6, v2, v18
	ds_bpermute_b32 v2, v2, v17
	;; [unrolled: 1-line block ×3, first 2 shown]
	s_wait_dscnt 0x2
	v_add_f32_e32 v6, v18, v6
	s_wait_dscnt 0x1
	v_add_f32_e32 v2, v17, v2
	;; [unrolled: 2-line block ×3, first 2 shown]
	ds_bpermute_b32 v9, v7, v6
	ds_bpermute_b32 v7, v7, v2
	s_wait_alu 0xfffd
	v_cndmask_b32_e32 v10, v1, v10, vcc_lo
	s_wait_dscnt 0x1
	v_add_f32_e32 v6, v6, v9
	s_wait_dscnt 0x0
	s_delay_alu instid0(VALU_DEP_2) | instskip(SKIP_4) | instid1(VALU_DEP_1)
	v_dual_add_f32 v7, v2, v7 :: v_dual_lshlrev_b32 v10, 2, v10
	ds_bpermute_b32 v2, v10, v5
	ds_bpermute_b32 v8, v10, v6
	;; [unrolled: 1-line block ×3, first 2 shown]
	v_xor_b32_e32 v10, 1, v1
	v_cmp_gt_i32_e32 vcc_lo, 32, v10
	s_wait_alu 0xfffd
	v_cndmask_b32_e32 v1, v1, v10, vcc_lo
	v_cmp_eq_u32_e32 vcc_lo, 15, v0
	s_wait_dscnt 0x2
	s_delay_alu instid0(VALU_DEP_2)
	v_dual_add_f32 v1, v5, v2 :: v_dual_lshlrev_b32 v10, 2, v1
	s_wait_dscnt 0x0
	v_dual_add_f32 v2, v6, v8 :: v_dual_add_f32 v5, v7, v9
	ds_bpermute_b32 v6, v10, v1
	ds_bpermute_b32 v7, v10, v2
	ds_bpermute_b32 v8, v10, v5
	s_and_b32 exec_lo, exec_lo, vcc_lo
	s_cbranch_execz .LBB42_10
; %bb.28:
	s_load_b64 s[0:1], s[0:1], 0x58
	s_wait_dscnt 0x1
	v_dual_add_f32 v0, v1, v6 :: v_dual_add_f32 v1, v2, v7
	s_wait_dscnt 0x0
	v_add_f32_e32 v2, v5, v8
	s_cmp_eq_f32 s16, 0
	s_delay_alu instid0(VALU_DEP_2) | instskip(NEXT) | instid1(VALU_DEP_2)
	v_dual_mul_f32 v0, s12, v0 :: v_dual_mul_f32 v1, s12, v1
	v_mul_f32_e32 v2, s12, v2
	s_cbranch_scc0 .LBB42_30
; %bb.29:
	s_wait_kmcnt 0x0
	v_mad_co_u64_u32 v[5:6], null, v3, 12, s[0:1]
	s_mov_b32 s2, 0
	v_mad_co_u64_u32 v[6:7], null, v4, 12, v[6:7]
	global_store_b96 v[5:6], v[0:2], off
.LBB42_30:
	s_wait_alu 0xfffe
	s_and_not1_b32 vcc_lo, exec_lo, s2
	s_wait_alu 0xfffe
	s_cbranch_vccnz .LBB42_10
; %bb.31:
	s_wait_kmcnt 0x0
	v_mad_co_u64_u32 v[6:7], null, v3, 12, s[0:1]
	s_delay_alu instid0(VALU_DEP_1) | instskip(NEXT) | instid1(VALU_DEP_1)
	v_mov_b32_e32 v3, v7
	v_mad_co_u64_u32 v[3:4], null, v4, 12, v[3:4]
	s_delay_alu instid0(VALU_DEP_1)
	v_mov_b32_e32 v7, v3
	global_load_b96 v[3:5], v[6:7], off
	s_wait_loadcnt 0x0
	v_dual_fmac_f32 v0, s16, v3 :: v_dual_fmac_f32 v1, s16, v4
	v_fmac_f32_e32 v2, s16, v5
	global_store_b96 v[6:7], v[0:2], off
	s_endpgm
	.section	.rodata,"a",@progbits
	.p2align	6, 0x0
	.amdhsa_kernel _ZN9rocsparseL18bsrxmvn_3x3_kernelILj256ELj16EfllfffEEvT3_20rocsparse_direction_NS_24const_host_device_scalarIT1_EES1_PKS1_PKT2_SA_S7_PKT4_PKT5_S5_PT6_21rocsparse_index_base_b
		.amdhsa_group_segment_fixed_size 0
		.amdhsa_private_segment_fixed_size 0
		.amdhsa_kernarg_size 104
		.amdhsa_user_sgpr_count 2
		.amdhsa_user_sgpr_dispatch_ptr 0
		.amdhsa_user_sgpr_queue_ptr 0
		.amdhsa_user_sgpr_kernarg_segment_ptr 1
		.amdhsa_user_sgpr_dispatch_id 0
		.amdhsa_user_sgpr_private_segment_size 0
		.amdhsa_wavefront_size32 1
		.amdhsa_uses_dynamic_stack 0
		.amdhsa_enable_private_segment 0
		.amdhsa_system_sgpr_workgroup_id_x 1
		.amdhsa_system_sgpr_workgroup_id_y 0
		.amdhsa_system_sgpr_workgroup_id_z 0
		.amdhsa_system_sgpr_workgroup_info 0
		.amdhsa_system_vgpr_workitem_id 0
		.amdhsa_next_free_vgpr 32
		.amdhsa_next_free_sgpr 18
		.amdhsa_reserve_vcc 1
		.amdhsa_float_round_mode_32 0
		.amdhsa_float_round_mode_16_64 0
		.amdhsa_float_denorm_mode_32 3
		.amdhsa_float_denorm_mode_16_64 3
		.amdhsa_fp16_overflow 0
		.amdhsa_workgroup_processor_mode 1
		.amdhsa_memory_ordered 1
		.amdhsa_forward_progress 1
		.amdhsa_inst_pref_size 15
		.amdhsa_round_robin_scheduling 0
		.amdhsa_exception_fp_ieee_invalid_op 0
		.amdhsa_exception_fp_denorm_src 0
		.amdhsa_exception_fp_ieee_div_zero 0
		.amdhsa_exception_fp_ieee_overflow 0
		.amdhsa_exception_fp_ieee_underflow 0
		.amdhsa_exception_fp_ieee_inexact 0
		.amdhsa_exception_int_div_zero 0
	.end_amdhsa_kernel
	.section	.text._ZN9rocsparseL18bsrxmvn_3x3_kernelILj256ELj16EfllfffEEvT3_20rocsparse_direction_NS_24const_host_device_scalarIT1_EES1_PKS1_PKT2_SA_S7_PKT4_PKT5_S5_PT6_21rocsparse_index_base_b,"axG",@progbits,_ZN9rocsparseL18bsrxmvn_3x3_kernelILj256ELj16EfllfffEEvT3_20rocsparse_direction_NS_24const_host_device_scalarIT1_EES1_PKS1_PKT2_SA_S7_PKT4_PKT5_S5_PT6_21rocsparse_index_base_b,comdat
.Lfunc_end42:
	.size	_ZN9rocsparseL18bsrxmvn_3x3_kernelILj256ELj16EfllfffEEvT3_20rocsparse_direction_NS_24const_host_device_scalarIT1_EES1_PKS1_PKT2_SA_S7_PKT4_PKT5_S5_PT6_21rocsparse_index_base_b, .Lfunc_end42-_ZN9rocsparseL18bsrxmvn_3x3_kernelILj256ELj16EfllfffEEvT3_20rocsparse_direction_NS_24const_host_device_scalarIT1_EES1_PKS1_PKT2_SA_S7_PKT4_PKT5_S5_PT6_21rocsparse_index_base_b
                                        ; -- End function
	.set _ZN9rocsparseL18bsrxmvn_3x3_kernelILj256ELj16EfllfffEEvT3_20rocsparse_direction_NS_24const_host_device_scalarIT1_EES1_PKS1_PKT2_SA_S7_PKT4_PKT5_S5_PT6_21rocsparse_index_base_b.num_vgpr, 32
	.set _ZN9rocsparseL18bsrxmvn_3x3_kernelILj256ELj16EfllfffEEvT3_20rocsparse_direction_NS_24const_host_device_scalarIT1_EES1_PKS1_PKT2_SA_S7_PKT4_PKT5_S5_PT6_21rocsparse_index_base_b.num_agpr, 0
	.set _ZN9rocsparseL18bsrxmvn_3x3_kernelILj256ELj16EfllfffEEvT3_20rocsparse_direction_NS_24const_host_device_scalarIT1_EES1_PKS1_PKT2_SA_S7_PKT4_PKT5_S5_PT6_21rocsparse_index_base_b.numbered_sgpr, 18
	.set _ZN9rocsparseL18bsrxmvn_3x3_kernelILj256ELj16EfllfffEEvT3_20rocsparse_direction_NS_24const_host_device_scalarIT1_EES1_PKS1_PKT2_SA_S7_PKT4_PKT5_S5_PT6_21rocsparse_index_base_b.num_named_barrier, 0
	.set _ZN9rocsparseL18bsrxmvn_3x3_kernelILj256ELj16EfllfffEEvT3_20rocsparse_direction_NS_24const_host_device_scalarIT1_EES1_PKS1_PKT2_SA_S7_PKT4_PKT5_S5_PT6_21rocsparse_index_base_b.private_seg_size, 0
	.set _ZN9rocsparseL18bsrxmvn_3x3_kernelILj256ELj16EfllfffEEvT3_20rocsparse_direction_NS_24const_host_device_scalarIT1_EES1_PKS1_PKT2_SA_S7_PKT4_PKT5_S5_PT6_21rocsparse_index_base_b.uses_vcc, 1
	.set _ZN9rocsparseL18bsrxmvn_3x3_kernelILj256ELj16EfllfffEEvT3_20rocsparse_direction_NS_24const_host_device_scalarIT1_EES1_PKS1_PKT2_SA_S7_PKT4_PKT5_S5_PT6_21rocsparse_index_base_b.uses_flat_scratch, 0
	.set _ZN9rocsparseL18bsrxmvn_3x3_kernelILj256ELj16EfllfffEEvT3_20rocsparse_direction_NS_24const_host_device_scalarIT1_EES1_PKS1_PKT2_SA_S7_PKT4_PKT5_S5_PT6_21rocsparse_index_base_b.has_dyn_sized_stack, 0
	.set _ZN9rocsparseL18bsrxmvn_3x3_kernelILj256ELj16EfllfffEEvT3_20rocsparse_direction_NS_24const_host_device_scalarIT1_EES1_PKS1_PKT2_SA_S7_PKT4_PKT5_S5_PT6_21rocsparse_index_base_b.has_recursion, 0
	.set _ZN9rocsparseL18bsrxmvn_3x3_kernelILj256ELj16EfllfffEEvT3_20rocsparse_direction_NS_24const_host_device_scalarIT1_EES1_PKS1_PKT2_SA_S7_PKT4_PKT5_S5_PT6_21rocsparse_index_base_b.has_indirect_call, 0
	.section	.AMDGPU.csdata,"",@progbits
; Kernel info:
; codeLenInByte = 1808
; TotalNumSgprs: 20
; NumVgprs: 32
; ScratchSize: 0
; MemoryBound: 0
; FloatMode: 240
; IeeeMode: 1
; LDSByteSize: 0 bytes/workgroup (compile time only)
; SGPRBlocks: 0
; VGPRBlocks: 3
; NumSGPRsForWavesPerEU: 20
; NumVGPRsForWavesPerEU: 32
; Occupancy: 16
; WaveLimiterHint : 1
; COMPUTE_PGM_RSRC2:SCRATCH_EN: 0
; COMPUTE_PGM_RSRC2:USER_SGPR: 2
; COMPUTE_PGM_RSRC2:TRAP_HANDLER: 0
; COMPUTE_PGM_RSRC2:TGID_X_EN: 1
; COMPUTE_PGM_RSRC2:TGID_Y_EN: 0
; COMPUTE_PGM_RSRC2:TGID_Z_EN: 0
; COMPUTE_PGM_RSRC2:TIDIG_COMP_CNT: 0
	.section	.text._ZN9rocsparseL18bsrxmvn_3x3_kernelILj256ELj32EfllfffEEvT3_20rocsparse_direction_NS_24const_host_device_scalarIT1_EES1_PKS1_PKT2_SA_S7_PKT4_PKT5_S5_PT6_21rocsparse_index_base_b,"axG",@progbits,_ZN9rocsparseL18bsrxmvn_3x3_kernelILj256ELj32EfllfffEEvT3_20rocsparse_direction_NS_24const_host_device_scalarIT1_EES1_PKS1_PKT2_SA_S7_PKT4_PKT5_S5_PT6_21rocsparse_index_base_b,comdat
	.globl	_ZN9rocsparseL18bsrxmvn_3x3_kernelILj256ELj32EfllfffEEvT3_20rocsparse_direction_NS_24const_host_device_scalarIT1_EES1_PKS1_PKT2_SA_S7_PKT4_PKT5_S5_PT6_21rocsparse_index_base_b ; -- Begin function _ZN9rocsparseL18bsrxmvn_3x3_kernelILj256ELj32EfllfffEEvT3_20rocsparse_direction_NS_24const_host_device_scalarIT1_EES1_PKS1_PKT2_SA_S7_PKT4_PKT5_S5_PT6_21rocsparse_index_base_b
	.p2align	8
	.type	_ZN9rocsparseL18bsrxmvn_3x3_kernelILj256ELj32EfllfffEEvT3_20rocsparse_direction_NS_24const_host_device_scalarIT1_EES1_PKS1_PKT2_SA_S7_PKT4_PKT5_S5_PT6_21rocsparse_index_base_b,@function
_ZN9rocsparseL18bsrxmvn_3x3_kernelILj256ELj32EfllfffEEvT3_20rocsparse_direction_NS_24const_host_device_scalarIT1_EES1_PKS1_PKT2_SA_S7_PKT4_PKT5_S5_PT6_21rocsparse_index_base_b: ; @_ZN9rocsparseL18bsrxmvn_3x3_kernelILj256ELj32EfllfffEEvT3_20rocsparse_direction_NS_24const_host_device_scalarIT1_EES1_PKS1_PKT2_SA_S7_PKT4_PKT5_S5_PT6_21rocsparse_index_base_b
; %bb.0:
	s_clause 0x2
	s_load_b64 s[2:3], s[0:1], 0x60
	s_load_b128 s[12:15], s[0:1], 0x10
	s_load_b64 s[16:17], s[0:1], 0x50
	s_wait_kmcnt 0x0
	s_bitcmp1_b32 s3, 0
	s_cselect_b32 s3, -1, 0
	s_delay_alu instid0(SALU_CYCLE_1)
	s_and_b32 vcc_lo, exec_lo, s3
	s_xor_b32 s3, s3, -1
	s_cbranch_vccnz .LBB43_2
; %bb.1:
	s_load_b32 s12, s[12:13], 0x0
.LBB43_2:
	s_and_not1_b32 vcc_lo, exec_lo, s3
	s_cbranch_vccnz .LBB43_4
; %bb.3:
	s_load_b32 s16, s[16:17], 0x0
.LBB43_4:
	s_wait_kmcnt 0x0
	s_cmp_neq_f32 s12, 0
	s_mov_b32 s6, 0
	s_cselect_b32 s3, -1, 0
	s_cmp_neq_f32 s16, 1.0
	s_cselect_b32 s4, -1, 0
	s_delay_alu instid0(SALU_CYCLE_1) | instskip(NEXT) | instid1(SALU_CYCLE_1)
	s_or_b32 s3, s3, s4
	s_and_not1_b32 vcc_lo, exec_lo, s3
	s_cbranch_vccnz .LBB43_10
; %bb.5:
	s_load_b64 s[4:5], s[0:1], 0x20
	v_lshrrev_b32_e32 v1, 5, v0
	v_mov_b32_e32 v6, 0
	s_delay_alu instid0(VALU_DEP_2)
	v_lshl_or_b32 v5, ttmp9, 3, v1
	s_wait_kmcnt 0x0
	s_cmp_lg_u64 s[4:5], 0
	s_cbranch_scc0 .LBB43_11
; %bb.6:
	s_mov_b32 s7, 0
                                        ; implicit-def: $vgpr3_vgpr4
                                        ; implicit-def: $vgpr1_vgpr2
	s_mov_b32 s3, exec_lo
	v_cmpx_gt_i64_e64 s[14:15], v[5:6]
	s_xor_b32 s8, exec_lo, s3
	s_cbranch_execz .LBB43_8
; %bb.7:
	v_lshlrev_b64_e32 v[1:2], 3, v[5:6]
	s_mov_b32 s3, 0
	s_mov_b32 s6, exec_lo
	s_delay_alu instid0(VALU_DEP_1) | instskip(NEXT) | instid1(VALU_DEP_1)
	v_add_co_u32 v1, vcc_lo, s4, v1
	v_add_co_ci_u32_e64 v2, null, s5, v2, vcc_lo
	global_load_b64 v[1:2], v[1:2], off
	s_wait_loadcnt 0x0
	v_sub_co_u32 v3, vcc_lo, v1, s2
	s_wait_alu 0xfffd
	v_subrev_co_ci_u32_e64 v4, null, 0, v2, vcc_lo
	v_dual_mov_b32 v1, s2 :: v_dual_mov_b32 v2, s3
.LBB43_8:
	s_or_b32 exec_lo, exec_lo, s8
	s_delay_alu instid0(SALU_CYCLE_1)
	s_and_b32 vcc_lo, exec_lo, s7
	s_wait_alu 0xfffe
	s_cbranch_vccnz .LBB43_12
.LBB43_9:
	s_and_saveexec_b32 s2, s6
	s_cbranch_execnz .LBB43_15
.LBB43_10:
	s_endpgm
.LBB43_11:
                                        ; implicit-def: $vgpr3_vgpr4
                                        ; implicit-def: $vgpr1_vgpr2
	s_cbranch_execz .LBB43_9
.LBB43_12:
	s_load_b64 s[4:5], s[0:1], 0x0
	s_wait_kmcnt 0x0
	v_cmp_gt_i64_e32 vcc_lo, s[4:5], v[5:6]
	s_and_saveexec_b32 s4, vcc_lo
; %bb.13:
	s_mov_b32 s3, 0
	s_or_b32 s6, s6, exec_lo
; %bb.14:
	s_wait_alu 0xfffe
	s_or_b32 exec_lo, exec_lo, s4
	v_dual_mov_b32 v1, s2 :: v_dual_mov_b32 v2, s3
	v_dual_mov_b32 v3, v5 :: v_dual_mov_b32 v4, v6
	s_and_saveexec_b32 s2, s6
	s_cbranch_execz .LBB43_10
.LBB43_15:
	s_load_b256 s[4:11], s[0:1], 0x28
	s_delay_alu instid0(VALU_DEP_1) | instskip(SKIP_2) | instid1(VALU_DEP_2)
	v_lshlrev_b64_e32 v[5:6], 3, v[3:4]
	v_dual_mov_b32 v17, 0 :: v_dual_and_b32 v0, 31, v0
	s_wait_kmcnt 0x0
	v_add_co_u32 v7, vcc_lo, s4, v5
	s_wait_alu 0xfffd
	s_delay_alu instid0(VALU_DEP_3)
	v_add_co_ci_u32_e64 v8, null, s5, v6, vcc_lo
	v_add_co_u32 v5, vcc_lo, s6, v5
	s_wait_alu 0xfffd
	v_add_co_ci_u32_e64 v6, null, s7, v6, vcc_lo
	global_load_b64 v[9:10], v[7:8], off
	v_add_co_u32 v7, vcc_lo, v7, 8
	s_wait_alu 0xfffd
	v_add_co_ci_u32_e64 v8, null, 0, v8, vcc_lo
	s_cmp_eq_u64 s[6:7], 0
	s_cselect_b32 vcc_lo, -1, 0
	s_wait_alu 0xfffe
	v_dual_cndmask_b32 v6, v6, v8 :: v_dual_cndmask_b32 v5, v5, v7
	global_load_b64 v[11:12], v[5:6], off
	s_clause 0x1
	s_load_b32 s3, s[0:1], 0x8
	s_load_b64 s[4:5], s[0:1], 0x48
	s_wait_kmcnt 0x0
	s_cmp_eq_u32 s3, 1
	s_wait_loadcnt 0x1
	v_sub_co_u32 v5, vcc_lo, v9, v1
	s_wait_alu 0xfffd
	v_sub_co_ci_u32_e64 v6, null, v10, v2, vcc_lo
	s_delay_alu instid0(VALU_DEP_2) | instskip(SKIP_1) | instid1(VALU_DEP_2)
	v_add_co_u32 v5, vcc_lo, v5, v0
	s_wait_alu 0xfffd
	v_add_co_ci_u32_e64 v6, null, 0, v6, vcc_lo
	s_delay_alu instid0(VALU_DEP_2) | instskip(NEXT) | instid1(VALU_DEP_1)
	v_mad_co_u64_u32 v[7:8], null, v5, 36, s[10:11]
	v_mad_co_u64_u32 v[8:9], null, v6, 36, v[8:9]
	s_wait_loadcnt 0x0
	v_sub_co_u32 v9, vcc_lo, v11, v1
	s_wait_alu 0xfffd
	v_sub_co_ci_u32_e64 v10, null, v12, v2, vcc_lo
	s_delay_alu instid0(VALU_DEP_1)
	v_cmp_lt_i64_e64 s2, v[5:6], v[9:10]
	s_cbranch_scc1 .LBB43_21
; %bb.16:
	v_dual_mov_b32 v18, 0 :: v_dual_mov_b32 v19, 0
	s_and_saveexec_b32 s6, s2
	s_cbranch_execz .LBB43_20
; %bb.17:
	v_lshlrev_b64_e32 v[13:14], 3, v[5:6]
	v_dual_mov_b32 v17, 0 :: v_dual_mov_b32 v12, v8
	v_dual_mov_b32 v11, v7 :: v_dual_mov_b32 v16, v6
	;; [unrolled: 1-line block ×3, first 2 shown]
	s_delay_alu instid0(VALU_DEP_4)
	v_add_co_u32 v13, vcc_lo, s8, v13
	s_wait_alu 0xfffd
	v_add_co_ci_u32_e64 v14, null, s9, v14, vcc_lo
	v_mov_b32_e32 v19, 0
	s_mov_b32 s7, 0
.LBB43_18:                              ; =>This Inner Loop Header: Depth=1
	global_load_b64 v[20:21], v[13:14], off
	s_wait_loadcnt 0x0
	v_sub_co_u32 v20, vcc_lo, v20, v1
	s_wait_alu 0xfffd
	v_sub_co_ci_u32_e64 v21, null, v21, v2, vcc_lo
	s_delay_alu instid0(VALU_DEP_2) | instskip(NEXT) | instid1(VALU_DEP_1)
	v_mad_co_u64_u32 v[28:29], null, v20, 12, s[4:5]
	v_mov_b32_e32 v20, v29
	s_delay_alu instid0(VALU_DEP_1)
	v_mad_co_u64_u32 v[24:25], null, v21, 12, v[20:21]
	global_load_b128 v[20:23], v[11:12], off offset:16
	v_mov_b32_e32 v29, v24
	global_load_b128 v[24:27], v[11:12], off
	global_load_b96 v[28:30], v[28:29], off
	global_load_b32 v31, v[11:12], off offset:32
	v_add_co_u32 v11, vcc_lo, 0x480, v11
	s_wait_alu 0xfffd
	v_add_co_ci_u32_e64 v12, null, 0, v12, vcc_lo
	v_add_co_u32 v15, vcc_lo, v15, 32
	s_wait_alu 0xfffd
	v_add_co_ci_u32_e64 v16, null, 0, v16, vcc_lo
	;; [unrolled: 3-line block ×3, first 2 shown]
	s_delay_alu instid0(VALU_DEP_3) | instskip(SKIP_4) | instid1(VALU_DEP_1)
	v_cmp_ge_i64_e64 s3, v[15:16], v[9:10]
	s_wait_alu 0xfffe
	s_or_b32 s7, s3, s7
	s_wait_loadcnt 0x1
	v_fmac_f32_e32 v18, v27, v28
	v_dual_fmac_f32 v17, v22, v28 :: v_dual_fmac_f32 v18, v20, v29
	v_fmac_f32_e32 v19, v24, v28
	s_delay_alu instid0(VALU_DEP_2) | instskip(NEXT) | instid1(VALU_DEP_2)
	v_dual_fmac_f32 v17, v23, v29 :: v_dual_fmac_f32 v18, v21, v30
	v_fmac_f32_e32 v19, v25, v29
	s_wait_loadcnt 0x0
	s_delay_alu instid0(VALU_DEP_2) | instskip(NEXT) | instid1(VALU_DEP_2)
	v_fmac_f32_e32 v17, v31, v30
	v_fmac_f32_e32 v19, v26, v30
	s_wait_alu 0xfffe
	s_and_not1_b32 exec_lo, exec_lo, s7
	s_cbranch_execnz .LBB43_18
; %bb.19:
	s_or_b32 exec_lo, exec_lo, s7
.LBB43_20:
	s_wait_alu 0xfffe
	s_or_b32 exec_lo, exec_lo, s6
	s_cbranch_execz .LBB43_22
	s_branch .LBB43_27
.LBB43_21:
                                        ; implicit-def: $vgpr17
                                        ; implicit-def: $vgpr18
                                        ; implicit-def: $vgpr19
.LBB43_22:
	v_dual_mov_b32 v17, 0 :: v_dual_mov_b32 v18, 0
	v_mov_b32_e32 v19, 0
	s_and_saveexec_b32 s3, s2
	s_cbranch_execz .LBB43_26
; %bb.23:
	v_lshlrev_b64_e32 v[11:12], 3, v[5:6]
	v_dual_mov_b32 v17, 0 :: v_dual_mov_b32 v18, 0
	v_mov_b32_e32 v19, 0
	s_mov_b32 s6, 0
	s_delay_alu instid0(VALU_DEP_3)
	v_add_co_u32 v11, vcc_lo, s8, v11
	s_wait_alu 0xfffd
	v_add_co_ci_u32_e64 v12, null, s9, v12, vcc_lo
.LBB43_24:                              ; =>This Inner Loop Header: Depth=1
	global_load_b64 v[13:14], v[11:12], off
	s_wait_loadcnt 0x0
	v_sub_co_u32 v13, vcc_lo, v13, v1
	s_wait_alu 0xfffd
	v_sub_co_ci_u32_e64 v14, null, v14, v2, vcc_lo
	s_delay_alu instid0(VALU_DEP_2) | instskip(NEXT) | instid1(VALU_DEP_1)
	v_mad_co_u64_u32 v[24:25], null, v13, 12, s[4:5]
	v_mov_b32_e32 v13, v25
	s_delay_alu instid0(VALU_DEP_1)
	v_mad_co_u64_u32 v[20:21], null, v14, 12, v[13:14]
	global_load_b128 v[13:16], v[7:8], off offset:16
	v_mov_b32_e32 v25, v20
	global_load_b128 v[20:23], v[7:8], off
	global_load_b96 v[24:26], v[24:25], off
	global_load_b32 v27, v[7:8], off offset:32
	v_add_co_u32 v7, vcc_lo, 0x480, v7
	s_wait_alu 0xfffd
	v_add_co_ci_u32_e64 v8, null, 0, v8, vcc_lo
	v_add_co_u32 v5, vcc_lo, v5, 32
	s_wait_alu 0xfffd
	v_add_co_ci_u32_e64 v6, null, 0, v6, vcc_lo
	;; [unrolled: 3-line block ×3, first 2 shown]
	s_delay_alu instid0(VALU_DEP_3)
	v_cmp_ge_i64_e64 s2, v[5:6], v[9:10]
	s_wait_alu 0xfffe
	s_or_b32 s6, s2, s6
	s_wait_loadcnt 0x1
	v_fmac_f32_e32 v18, v21, v24
	v_fmac_f32_e32 v19, v20, v24
	s_delay_alu instid0(VALU_DEP_2) | instskip(NEXT) | instid1(VALU_DEP_2)
	v_dual_fmac_f32 v17, v22, v24 :: v_dual_fmac_f32 v18, v13, v25
	v_fmac_f32_e32 v19, v23, v25
	s_delay_alu instid0(VALU_DEP_2) | instskip(NEXT) | instid1(VALU_DEP_2)
	v_dual_fmac_f32 v17, v14, v25 :: v_dual_fmac_f32 v18, v16, v26
	v_fmac_f32_e32 v19, v15, v26
	s_wait_loadcnt 0x0
	s_delay_alu instid0(VALU_DEP_2)
	v_fmac_f32_e32 v17, v27, v26
	s_wait_alu 0xfffe
	s_and_not1_b32 exec_lo, exec_lo, s6
	s_cbranch_execnz .LBB43_24
; %bb.25:
	s_or_b32 exec_lo, exec_lo, s6
.LBB43_26:
	s_wait_alu 0xfffe
	s_or_b32 exec_lo, exec_lo, s3
.LBB43_27:
	v_mbcnt_lo_u32_b32 v1, -1, 0
	s_mov_b32 s2, -1
	s_delay_alu instid0(VALU_DEP_1) | instskip(SKIP_2) | instid1(VALU_DEP_3)
	v_xor_b32_e32 v2, 16, v1
	v_xor_b32_e32 v7, 8, v1
	;; [unrolled: 1-line block ×3, first 2 shown]
	v_cmp_gt_i32_e32 vcc_lo, 32, v2
	s_wait_alu 0xfffd
	v_cndmask_b32_e32 v2, v1, v2, vcc_lo
	v_cmp_gt_i32_e32 vcc_lo, 32, v7
	s_wait_alu 0xfffd
	v_cndmask_b32_e32 v7, v1, v7, vcc_lo
	v_cmp_gt_i32_e32 vcc_lo, 32, v10
	s_delay_alu instid0(VALU_DEP_2)
	v_lshlrev_b32_e32 v7, 2, v7
	v_lshlrev_b32_e32 v2, 2, v2
	ds_bpermute_b32 v5, v2, v19
	s_wait_dscnt 0x0
	v_add_f32_e32 v5, v19, v5
	ds_bpermute_b32 v6, v2, v18
	ds_bpermute_b32 v2, v2, v17
	;; [unrolled: 1-line block ×3, first 2 shown]
	s_wait_dscnt 0x2
	v_add_f32_e32 v6, v18, v6
	s_wait_dscnt 0x1
	v_add_f32_e32 v2, v17, v2
	;; [unrolled: 2-line block ×3, first 2 shown]
	ds_bpermute_b32 v9, v7, v6
	ds_bpermute_b32 v7, v7, v2
	s_wait_dscnt 0x0
	v_add_f32_e32 v2, v2, v7
	s_wait_alu 0xfffd
	v_cndmask_b32_e32 v10, v1, v10, vcc_lo
	s_delay_alu instid0(VALU_DEP_1)
	v_lshlrev_b32_e32 v10, 2, v10
	ds_bpermute_b32 v7, v10, v5
	v_add_f32_e32 v6, v6, v9
	ds_bpermute_b32 v9, v10, v2
	s_wait_dscnt 0x1
	v_add_f32_e32 v5, v5, v7
	ds_bpermute_b32 v8, v10, v6
	v_xor_b32_e32 v10, 2, v1
	s_wait_dscnt 0x1
	v_add_f32_e32 v7, v2, v9
	s_delay_alu instid0(VALU_DEP_2) | instskip(SKIP_2) | instid1(VALU_DEP_1)
	v_cmp_gt_i32_e32 vcc_lo, 32, v10
	s_wait_alu 0xfffd
	v_cndmask_b32_e32 v10, v1, v10, vcc_lo
	v_lshlrev_b32_e32 v10, 2, v10
	ds_bpermute_b32 v2, v10, v5
	s_wait_dscnt 0x1
	v_add_f32_e32 v6, v6, v8
	ds_bpermute_b32 v9, v10, v7
	ds_bpermute_b32 v8, v10, v6
	v_xor_b32_e32 v10, 1, v1
	s_delay_alu instid0(VALU_DEP_1) | instskip(SKIP_4) | instid1(VALU_DEP_2)
	v_cmp_gt_i32_e32 vcc_lo, 32, v10
	s_wait_alu 0xfffd
	v_cndmask_b32_e32 v1, v1, v10, vcc_lo
	v_cmp_eq_u32_e32 vcc_lo, 31, v0
	s_wait_dscnt 0x2
	v_dual_add_f32 v1, v5, v2 :: v_dual_lshlrev_b32 v10, 2, v1
	s_wait_dscnt 0x0
	v_dual_add_f32 v5, v7, v9 :: v_dual_add_f32 v2, v6, v8
	ds_bpermute_b32 v6, v10, v1
	ds_bpermute_b32 v8, v10, v5
	;; [unrolled: 1-line block ×3, first 2 shown]
	s_and_b32 exec_lo, exec_lo, vcc_lo
	s_cbranch_execz .LBB43_10
; %bb.28:
	s_load_b64 s[0:1], s[0:1], 0x58
	s_wait_dscnt 0x0
	v_dual_add_f32 v0, v1, v6 :: v_dual_add_f32 v1, v2, v7
	v_add_f32_e32 v2, v5, v8
	s_cmp_eq_f32 s16, 0
	s_delay_alu instid0(VALU_DEP_2) | instskip(NEXT) | instid1(VALU_DEP_2)
	v_dual_mul_f32 v0, s12, v0 :: v_dual_mul_f32 v1, s12, v1
	v_mul_f32_e32 v2, s12, v2
	s_cbranch_scc0 .LBB43_30
; %bb.29:
	s_wait_kmcnt 0x0
	v_mad_co_u64_u32 v[5:6], null, v3, 12, s[0:1]
	s_mov_b32 s2, 0
	v_mad_co_u64_u32 v[6:7], null, v4, 12, v[6:7]
	global_store_b96 v[5:6], v[0:2], off
.LBB43_30:
	s_wait_alu 0xfffe
	s_and_not1_b32 vcc_lo, exec_lo, s2
	s_wait_alu 0xfffe
	s_cbranch_vccnz .LBB43_10
; %bb.31:
	s_wait_kmcnt 0x0
	v_mad_co_u64_u32 v[6:7], null, v3, 12, s[0:1]
	s_delay_alu instid0(VALU_DEP_1) | instskip(NEXT) | instid1(VALU_DEP_1)
	v_mov_b32_e32 v3, v7
	v_mad_co_u64_u32 v[3:4], null, v4, 12, v[3:4]
	s_delay_alu instid0(VALU_DEP_1)
	v_mov_b32_e32 v7, v3
	global_load_b96 v[3:5], v[6:7], off
	s_wait_loadcnt 0x0
	v_dual_fmac_f32 v0, s16, v3 :: v_dual_fmac_f32 v1, s16, v4
	v_fmac_f32_e32 v2, s16, v5
	global_store_b96 v[6:7], v[0:2], off
	s_endpgm
	.section	.rodata,"a",@progbits
	.p2align	6, 0x0
	.amdhsa_kernel _ZN9rocsparseL18bsrxmvn_3x3_kernelILj256ELj32EfllfffEEvT3_20rocsparse_direction_NS_24const_host_device_scalarIT1_EES1_PKS1_PKT2_SA_S7_PKT4_PKT5_S5_PT6_21rocsparse_index_base_b
		.amdhsa_group_segment_fixed_size 0
		.amdhsa_private_segment_fixed_size 0
		.amdhsa_kernarg_size 104
		.amdhsa_user_sgpr_count 2
		.amdhsa_user_sgpr_dispatch_ptr 0
		.amdhsa_user_sgpr_queue_ptr 0
		.amdhsa_user_sgpr_kernarg_segment_ptr 1
		.amdhsa_user_sgpr_dispatch_id 0
		.amdhsa_user_sgpr_private_segment_size 0
		.amdhsa_wavefront_size32 1
		.amdhsa_uses_dynamic_stack 0
		.amdhsa_enable_private_segment 0
		.amdhsa_system_sgpr_workgroup_id_x 1
		.amdhsa_system_sgpr_workgroup_id_y 0
		.amdhsa_system_sgpr_workgroup_id_z 0
		.amdhsa_system_sgpr_workgroup_info 0
		.amdhsa_system_vgpr_workitem_id 0
		.amdhsa_next_free_vgpr 32
		.amdhsa_next_free_sgpr 18
		.amdhsa_reserve_vcc 1
		.amdhsa_float_round_mode_32 0
		.amdhsa_float_round_mode_16_64 0
		.amdhsa_float_denorm_mode_32 3
		.amdhsa_float_denorm_mode_16_64 3
		.amdhsa_fp16_overflow 0
		.amdhsa_workgroup_processor_mode 1
		.amdhsa_memory_ordered 1
		.amdhsa_forward_progress 1
		.amdhsa_inst_pref_size 15
		.amdhsa_round_robin_scheduling 0
		.amdhsa_exception_fp_ieee_invalid_op 0
		.amdhsa_exception_fp_denorm_src 0
		.amdhsa_exception_fp_ieee_div_zero 0
		.amdhsa_exception_fp_ieee_overflow 0
		.amdhsa_exception_fp_ieee_underflow 0
		.amdhsa_exception_fp_ieee_inexact 0
		.amdhsa_exception_int_div_zero 0
	.end_amdhsa_kernel
	.section	.text._ZN9rocsparseL18bsrxmvn_3x3_kernelILj256ELj32EfllfffEEvT3_20rocsparse_direction_NS_24const_host_device_scalarIT1_EES1_PKS1_PKT2_SA_S7_PKT4_PKT5_S5_PT6_21rocsparse_index_base_b,"axG",@progbits,_ZN9rocsparseL18bsrxmvn_3x3_kernelILj256ELj32EfllfffEEvT3_20rocsparse_direction_NS_24const_host_device_scalarIT1_EES1_PKS1_PKT2_SA_S7_PKT4_PKT5_S5_PT6_21rocsparse_index_base_b,comdat
.Lfunc_end43:
	.size	_ZN9rocsparseL18bsrxmvn_3x3_kernelILj256ELj32EfllfffEEvT3_20rocsparse_direction_NS_24const_host_device_scalarIT1_EES1_PKS1_PKT2_SA_S7_PKT4_PKT5_S5_PT6_21rocsparse_index_base_b, .Lfunc_end43-_ZN9rocsparseL18bsrxmvn_3x3_kernelILj256ELj32EfllfffEEvT3_20rocsparse_direction_NS_24const_host_device_scalarIT1_EES1_PKS1_PKT2_SA_S7_PKT4_PKT5_S5_PT6_21rocsparse_index_base_b
                                        ; -- End function
	.set _ZN9rocsparseL18bsrxmvn_3x3_kernelILj256ELj32EfllfffEEvT3_20rocsparse_direction_NS_24const_host_device_scalarIT1_EES1_PKS1_PKT2_SA_S7_PKT4_PKT5_S5_PT6_21rocsparse_index_base_b.num_vgpr, 32
	.set _ZN9rocsparseL18bsrxmvn_3x3_kernelILj256ELj32EfllfffEEvT3_20rocsparse_direction_NS_24const_host_device_scalarIT1_EES1_PKS1_PKT2_SA_S7_PKT4_PKT5_S5_PT6_21rocsparse_index_base_b.num_agpr, 0
	.set _ZN9rocsparseL18bsrxmvn_3x3_kernelILj256ELj32EfllfffEEvT3_20rocsparse_direction_NS_24const_host_device_scalarIT1_EES1_PKS1_PKT2_SA_S7_PKT4_PKT5_S5_PT6_21rocsparse_index_base_b.numbered_sgpr, 18
	.set _ZN9rocsparseL18bsrxmvn_3x3_kernelILj256ELj32EfllfffEEvT3_20rocsparse_direction_NS_24const_host_device_scalarIT1_EES1_PKS1_PKT2_SA_S7_PKT4_PKT5_S5_PT6_21rocsparse_index_base_b.num_named_barrier, 0
	.set _ZN9rocsparseL18bsrxmvn_3x3_kernelILj256ELj32EfllfffEEvT3_20rocsparse_direction_NS_24const_host_device_scalarIT1_EES1_PKS1_PKT2_SA_S7_PKT4_PKT5_S5_PT6_21rocsparse_index_base_b.private_seg_size, 0
	.set _ZN9rocsparseL18bsrxmvn_3x3_kernelILj256ELj32EfllfffEEvT3_20rocsparse_direction_NS_24const_host_device_scalarIT1_EES1_PKS1_PKT2_SA_S7_PKT4_PKT5_S5_PT6_21rocsparse_index_base_b.uses_vcc, 1
	.set _ZN9rocsparseL18bsrxmvn_3x3_kernelILj256ELj32EfllfffEEvT3_20rocsparse_direction_NS_24const_host_device_scalarIT1_EES1_PKS1_PKT2_SA_S7_PKT4_PKT5_S5_PT6_21rocsparse_index_base_b.uses_flat_scratch, 0
	.set _ZN9rocsparseL18bsrxmvn_3x3_kernelILj256ELj32EfllfffEEvT3_20rocsparse_direction_NS_24const_host_device_scalarIT1_EES1_PKS1_PKT2_SA_S7_PKT4_PKT5_S5_PT6_21rocsparse_index_base_b.has_dyn_sized_stack, 0
	.set _ZN9rocsparseL18bsrxmvn_3x3_kernelILj256ELj32EfllfffEEvT3_20rocsparse_direction_NS_24const_host_device_scalarIT1_EES1_PKS1_PKT2_SA_S7_PKT4_PKT5_S5_PT6_21rocsparse_index_base_b.has_recursion, 0
	.set _ZN9rocsparseL18bsrxmvn_3x3_kernelILj256ELj32EfllfffEEvT3_20rocsparse_direction_NS_24const_host_device_scalarIT1_EES1_PKS1_PKT2_SA_S7_PKT4_PKT5_S5_PT6_21rocsparse_index_base_b.has_indirect_call, 0
	.section	.AMDGPU.csdata,"",@progbits
; Kernel info:
; codeLenInByte = 1872
; TotalNumSgprs: 20
; NumVgprs: 32
; ScratchSize: 0
; MemoryBound: 0
; FloatMode: 240
; IeeeMode: 1
; LDSByteSize: 0 bytes/workgroup (compile time only)
; SGPRBlocks: 0
; VGPRBlocks: 3
; NumSGPRsForWavesPerEU: 20
; NumVGPRsForWavesPerEU: 32
; Occupancy: 16
; WaveLimiterHint : 1
; COMPUTE_PGM_RSRC2:SCRATCH_EN: 0
; COMPUTE_PGM_RSRC2:USER_SGPR: 2
; COMPUTE_PGM_RSRC2:TRAP_HANDLER: 0
; COMPUTE_PGM_RSRC2:TGID_X_EN: 1
; COMPUTE_PGM_RSRC2:TGID_Y_EN: 0
; COMPUTE_PGM_RSRC2:TGID_Z_EN: 0
; COMPUTE_PGM_RSRC2:TIDIG_COMP_CNT: 0
	.section	.text._ZN9rocsparseL18bsrxmvn_3x3_kernelILj256ELj64EfllfffEEvT3_20rocsparse_direction_NS_24const_host_device_scalarIT1_EES1_PKS1_PKT2_SA_S7_PKT4_PKT5_S5_PT6_21rocsparse_index_base_b,"axG",@progbits,_ZN9rocsparseL18bsrxmvn_3x3_kernelILj256ELj64EfllfffEEvT3_20rocsparse_direction_NS_24const_host_device_scalarIT1_EES1_PKS1_PKT2_SA_S7_PKT4_PKT5_S5_PT6_21rocsparse_index_base_b,comdat
	.globl	_ZN9rocsparseL18bsrxmvn_3x3_kernelILj256ELj64EfllfffEEvT3_20rocsparse_direction_NS_24const_host_device_scalarIT1_EES1_PKS1_PKT2_SA_S7_PKT4_PKT5_S5_PT6_21rocsparse_index_base_b ; -- Begin function _ZN9rocsparseL18bsrxmvn_3x3_kernelILj256ELj64EfllfffEEvT3_20rocsparse_direction_NS_24const_host_device_scalarIT1_EES1_PKS1_PKT2_SA_S7_PKT4_PKT5_S5_PT6_21rocsparse_index_base_b
	.p2align	8
	.type	_ZN9rocsparseL18bsrxmvn_3x3_kernelILj256ELj64EfllfffEEvT3_20rocsparse_direction_NS_24const_host_device_scalarIT1_EES1_PKS1_PKT2_SA_S7_PKT4_PKT5_S5_PT6_21rocsparse_index_base_b,@function
_ZN9rocsparseL18bsrxmvn_3x3_kernelILj256ELj64EfllfffEEvT3_20rocsparse_direction_NS_24const_host_device_scalarIT1_EES1_PKS1_PKT2_SA_S7_PKT4_PKT5_S5_PT6_21rocsparse_index_base_b: ; @_ZN9rocsparseL18bsrxmvn_3x3_kernelILj256ELj64EfllfffEEvT3_20rocsparse_direction_NS_24const_host_device_scalarIT1_EES1_PKS1_PKT2_SA_S7_PKT4_PKT5_S5_PT6_21rocsparse_index_base_b
; %bb.0:
	s_clause 0x2
	s_load_b64 s[2:3], s[0:1], 0x60
	s_load_b128 s[12:15], s[0:1], 0x10
	s_load_b64 s[16:17], s[0:1], 0x50
	s_wait_kmcnt 0x0
	s_bitcmp1_b32 s3, 0
	s_cselect_b32 s3, -1, 0
	s_delay_alu instid0(SALU_CYCLE_1)
	s_and_b32 vcc_lo, exec_lo, s3
	s_xor_b32 s3, s3, -1
	s_cbranch_vccnz .LBB44_2
; %bb.1:
	s_load_b32 s12, s[12:13], 0x0
.LBB44_2:
	s_and_not1_b32 vcc_lo, exec_lo, s3
	s_cbranch_vccnz .LBB44_4
; %bb.3:
	s_load_b32 s16, s[16:17], 0x0
.LBB44_4:
	s_wait_kmcnt 0x0
	s_cmp_neq_f32 s12, 0
	s_mov_b32 s6, 0
	s_cselect_b32 s3, -1, 0
	s_cmp_neq_f32 s16, 1.0
	s_cselect_b32 s4, -1, 0
	s_delay_alu instid0(SALU_CYCLE_1) | instskip(NEXT) | instid1(SALU_CYCLE_1)
	s_or_b32 s3, s3, s4
	s_and_not1_b32 vcc_lo, exec_lo, s3
	s_cbranch_vccnz .LBB44_10
; %bb.5:
	s_load_b64 s[4:5], s[0:1], 0x20
	v_lshrrev_b32_e32 v1, 6, v0
	v_mov_b32_e32 v6, 0
	s_delay_alu instid0(VALU_DEP_2)
	v_lshl_or_b32 v5, ttmp9, 2, v1
	s_wait_kmcnt 0x0
	s_cmp_lg_u64 s[4:5], 0
	s_cbranch_scc0 .LBB44_11
; %bb.6:
	s_mov_b32 s7, 0
                                        ; implicit-def: $vgpr3_vgpr4
                                        ; implicit-def: $vgpr1_vgpr2
	s_mov_b32 s3, exec_lo
	v_cmpx_gt_i64_e64 s[14:15], v[5:6]
	s_xor_b32 s8, exec_lo, s3
	s_cbranch_execz .LBB44_8
; %bb.7:
	v_lshlrev_b64_e32 v[1:2], 3, v[5:6]
	s_mov_b32 s3, 0
	s_mov_b32 s6, exec_lo
	s_delay_alu instid0(VALU_DEP_1) | instskip(NEXT) | instid1(VALU_DEP_1)
	v_add_co_u32 v1, vcc_lo, s4, v1
	v_add_co_ci_u32_e64 v2, null, s5, v2, vcc_lo
	global_load_b64 v[1:2], v[1:2], off
	s_wait_loadcnt 0x0
	v_sub_co_u32 v3, vcc_lo, v1, s2
	s_wait_alu 0xfffd
	v_subrev_co_ci_u32_e64 v4, null, 0, v2, vcc_lo
	v_dual_mov_b32 v1, s2 :: v_dual_mov_b32 v2, s3
.LBB44_8:
	s_or_b32 exec_lo, exec_lo, s8
	s_delay_alu instid0(SALU_CYCLE_1)
	s_and_b32 vcc_lo, exec_lo, s7
	s_wait_alu 0xfffe
	s_cbranch_vccnz .LBB44_12
.LBB44_9:
	s_and_saveexec_b32 s2, s6
	s_cbranch_execnz .LBB44_15
.LBB44_10:
	s_endpgm
.LBB44_11:
                                        ; implicit-def: $vgpr3_vgpr4
                                        ; implicit-def: $vgpr1_vgpr2
	s_cbranch_execz .LBB44_9
.LBB44_12:
	s_load_b64 s[4:5], s[0:1], 0x0
	s_wait_kmcnt 0x0
	v_cmp_gt_i64_e32 vcc_lo, s[4:5], v[5:6]
	s_and_saveexec_b32 s4, vcc_lo
; %bb.13:
	s_mov_b32 s3, 0
	s_or_b32 s6, s6, exec_lo
; %bb.14:
	s_wait_alu 0xfffe
	s_or_b32 exec_lo, exec_lo, s4
	v_dual_mov_b32 v1, s2 :: v_dual_mov_b32 v2, s3
	v_dual_mov_b32 v3, v5 :: v_dual_mov_b32 v4, v6
	s_and_saveexec_b32 s2, s6
	s_cbranch_execz .LBB44_10
.LBB44_15:
	s_load_b256 s[4:11], s[0:1], 0x28
	s_delay_alu instid0(VALU_DEP_1) | instskip(SKIP_2) | instid1(VALU_DEP_2)
	v_lshlrev_b64_e32 v[5:6], 3, v[3:4]
	v_dual_mov_b32 v17, 0 :: v_dual_and_b32 v0, 63, v0
	s_wait_kmcnt 0x0
	v_add_co_u32 v7, vcc_lo, s4, v5
	s_wait_alu 0xfffd
	s_delay_alu instid0(VALU_DEP_3)
	v_add_co_ci_u32_e64 v8, null, s5, v6, vcc_lo
	v_add_co_u32 v5, vcc_lo, s6, v5
	s_wait_alu 0xfffd
	v_add_co_ci_u32_e64 v6, null, s7, v6, vcc_lo
	global_load_b64 v[9:10], v[7:8], off
	v_add_co_u32 v7, vcc_lo, v7, 8
	s_wait_alu 0xfffd
	v_add_co_ci_u32_e64 v8, null, 0, v8, vcc_lo
	s_cmp_eq_u64 s[6:7], 0
	s_cselect_b32 vcc_lo, -1, 0
	s_wait_alu 0xfffe
	v_dual_cndmask_b32 v6, v6, v8 :: v_dual_cndmask_b32 v5, v5, v7
	global_load_b64 v[11:12], v[5:6], off
	s_clause 0x1
	s_load_b32 s3, s[0:1], 0x8
	s_load_b64 s[4:5], s[0:1], 0x48
	s_wait_kmcnt 0x0
	s_cmp_eq_u32 s3, 1
	s_wait_loadcnt 0x1
	v_sub_co_u32 v5, vcc_lo, v9, v1
	s_wait_alu 0xfffd
	v_sub_co_ci_u32_e64 v6, null, v10, v2, vcc_lo
	s_delay_alu instid0(VALU_DEP_2) | instskip(SKIP_1) | instid1(VALU_DEP_2)
	v_add_co_u32 v5, vcc_lo, v5, v0
	s_wait_alu 0xfffd
	v_add_co_ci_u32_e64 v6, null, 0, v6, vcc_lo
	s_delay_alu instid0(VALU_DEP_2) | instskip(NEXT) | instid1(VALU_DEP_1)
	v_mad_co_u64_u32 v[7:8], null, v5, 36, s[10:11]
	v_mad_co_u64_u32 v[8:9], null, v6, 36, v[8:9]
	s_wait_loadcnt 0x0
	v_sub_co_u32 v9, vcc_lo, v11, v1
	s_wait_alu 0xfffd
	v_sub_co_ci_u32_e64 v10, null, v12, v2, vcc_lo
	s_delay_alu instid0(VALU_DEP_1)
	v_cmp_lt_i64_e64 s2, v[5:6], v[9:10]
	s_cbranch_scc1 .LBB44_21
; %bb.16:
	v_dual_mov_b32 v18, 0 :: v_dual_mov_b32 v19, 0
	s_and_saveexec_b32 s6, s2
	s_cbranch_execz .LBB44_20
; %bb.17:
	v_lshlrev_b64_e32 v[13:14], 3, v[5:6]
	v_dual_mov_b32 v17, 0 :: v_dual_mov_b32 v12, v8
	v_dual_mov_b32 v11, v7 :: v_dual_mov_b32 v16, v6
	;; [unrolled: 1-line block ×3, first 2 shown]
	s_delay_alu instid0(VALU_DEP_4)
	v_add_co_u32 v13, vcc_lo, s8, v13
	s_wait_alu 0xfffd
	v_add_co_ci_u32_e64 v14, null, s9, v14, vcc_lo
	v_mov_b32_e32 v19, 0
	s_mov_b32 s7, 0
.LBB44_18:                              ; =>This Inner Loop Header: Depth=1
	global_load_b64 v[20:21], v[13:14], off
	s_wait_loadcnt 0x0
	v_sub_co_u32 v20, vcc_lo, v20, v1
	s_wait_alu 0xfffd
	v_sub_co_ci_u32_e64 v21, null, v21, v2, vcc_lo
	s_delay_alu instid0(VALU_DEP_2) | instskip(NEXT) | instid1(VALU_DEP_1)
	v_mad_co_u64_u32 v[28:29], null, v20, 12, s[4:5]
	v_mov_b32_e32 v20, v29
	s_delay_alu instid0(VALU_DEP_1)
	v_mad_co_u64_u32 v[24:25], null, v21, 12, v[20:21]
	global_load_b128 v[20:23], v[11:12], off offset:16
	v_mov_b32_e32 v29, v24
	global_load_b128 v[24:27], v[11:12], off
	global_load_b96 v[28:30], v[28:29], off
	global_load_b32 v31, v[11:12], off offset:32
	v_add_co_u32 v11, vcc_lo, 0x900, v11
	s_wait_alu 0xfffd
	v_add_co_ci_u32_e64 v12, null, 0, v12, vcc_lo
	v_add_co_u32 v15, vcc_lo, v15, 64
	s_wait_alu 0xfffd
	v_add_co_ci_u32_e64 v16, null, 0, v16, vcc_lo
	;; [unrolled: 3-line block ×3, first 2 shown]
	s_delay_alu instid0(VALU_DEP_3) | instskip(SKIP_4) | instid1(VALU_DEP_1)
	v_cmp_ge_i64_e64 s3, v[15:16], v[9:10]
	s_wait_alu 0xfffe
	s_or_b32 s7, s3, s7
	s_wait_loadcnt 0x1
	v_fmac_f32_e32 v18, v27, v28
	v_dual_fmac_f32 v17, v22, v28 :: v_dual_fmac_f32 v18, v20, v29
	v_fmac_f32_e32 v19, v24, v28
	s_delay_alu instid0(VALU_DEP_2) | instskip(NEXT) | instid1(VALU_DEP_2)
	v_dual_fmac_f32 v17, v23, v29 :: v_dual_fmac_f32 v18, v21, v30
	v_fmac_f32_e32 v19, v25, v29
	s_wait_loadcnt 0x0
	s_delay_alu instid0(VALU_DEP_2) | instskip(NEXT) | instid1(VALU_DEP_2)
	v_fmac_f32_e32 v17, v31, v30
	v_fmac_f32_e32 v19, v26, v30
	s_wait_alu 0xfffe
	s_and_not1_b32 exec_lo, exec_lo, s7
	s_cbranch_execnz .LBB44_18
; %bb.19:
	s_or_b32 exec_lo, exec_lo, s7
.LBB44_20:
	s_wait_alu 0xfffe
	s_or_b32 exec_lo, exec_lo, s6
	s_cbranch_execz .LBB44_22
	s_branch .LBB44_27
.LBB44_21:
                                        ; implicit-def: $vgpr17
                                        ; implicit-def: $vgpr18
                                        ; implicit-def: $vgpr19
.LBB44_22:
	v_dual_mov_b32 v17, 0 :: v_dual_mov_b32 v18, 0
	v_mov_b32_e32 v19, 0
	s_and_saveexec_b32 s3, s2
	s_cbranch_execz .LBB44_26
; %bb.23:
	v_lshlrev_b64_e32 v[11:12], 3, v[5:6]
	v_dual_mov_b32 v17, 0 :: v_dual_mov_b32 v18, 0
	v_mov_b32_e32 v19, 0
	s_mov_b32 s6, 0
	s_delay_alu instid0(VALU_DEP_3)
	v_add_co_u32 v11, vcc_lo, s8, v11
	s_wait_alu 0xfffd
	v_add_co_ci_u32_e64 v12, null, s9, v12, vcc_lo
.LBB44_24:                              ; =>This Inner Loop Header: Depth=1
	global_load_b64 v[13:14], v[11:12], off
	s_wait_loadcnt 0x0
	v_sub_co_u32 v13, vcc_lo, v13, v1
	s_wait_alu 0xfffd
	v_sub_co_ci_u32_e64 v14, null, v14, v2, vcc_lo
	s_delay_alu instid0(VALU_DEP_2) | instskip(NEXT) | instid1(VALU_DEP_1)
	v_mad_co_u64_u32 v[24:25], null, v13, 12, s[4:5]
	v_mov_b32_e32 v13, v25
	s_delay_alu instid0(VALU_DEP_1)
	v_mad_co_u64_u32 v[20:21], null, v14, 12, v[13:14]
	global_load_b128 v[13:16], v[7:8], off offset:16
	v_mov_b32_e32 v25, v20
	global_load_b128 v[20:23], v[7:8], off
	global_load_b96 v[24:26], v[24:25], off
	global_load_b32 v27, v[7:8], off offset:32
	v_add_co_u32 v7, vcc_lo, 0x900, v7
	s_wait_alu 0xfffd
	v_add_co_ci_u32_e64 v8, null, 0, v8, vcc_lo
	v_add_co_u32 v5, vcc_lo, v5, 64
	s_wait_alu 0xfffd
	v_add_co_ci_u32_e64 v6, null, 0, v6, vcc_lo
	;; [unrolled: 3-line block ×3, first 2 shown]
	s_delay_alu instid0(VALU_DEP_3)
	v_cmp_ge_i64_e64 s2, v[5:6], v[9:10]
	s_wait_alu 0xfffe
	s_or_b32 s6, s2, s6
	s_wait_loadcnt 0x1
	v_fmac_f32_e32 v18, v21, v24
	v_fmac_f32_e32 v19, v20, v24
	s_delay_alu instid0(VALU_DEP_2) | instskip(NEXT) | instid1(VALU_DEP_2)
	v_dual_fmac_f32 v17, v22, v24 :: v_dual_fmac_f32 v18, v13, v25
	v_fmac_f32_e32 v19, v23, v25
	s_delay_alu instid0(VALU_DEP_2) | instskip(NEXT) | instid1(VALU_DEP_2)
	v_dual_fmac_f32 v17, v14, v25 :: v_dual_fmac_f32 v18, v16, v26
	v_fmac_f32_e32 v19, v15, v26
	s_wait_loadcnt 0x0
	s_delay_alu instid0(VALU_DEP_2)
	v_fmac_f32_e32 v17, v27, v26
	s_wait_alu 0xfffe
	s_and_not1_b32 exec_lo, exec_lo, s6
	s_cbranch_execnz .LBB44_24
; %bb.25:
	s_or_b32 exec_lo, exec_lo, s6
.LBB44_26:
	s_wait_alu 0xfffe
	s_or_b32 exec_lo, exec_lo, s3
.LBB44_27:
	v_mbcnt_lo_u32_b32 v1, -1, 0
	s_mov_b32 s2, -1
	s_delay_alu instid0(VALU_DEP_1) | instskip(SKIP_2) | instid1(VALU_DEP_3)
	v_or_b32_e32 v2, 32, v1
	v_xor_b32_e32 v7, 16, v1
	v_xor_b32_e32 v10, 8, v1
	v_cmp_gt_i32_e32 vcc_lo, 32, v2
	s_wait_alu 0xfffd
	v_cndmask_b32_e32 v2, v1, v2, vcc_lo
	v_cmp_gt_i32_e32 vcc_lo, 32, v7
	s_wait_alu 0xfffd
	v_cndmask_b32_e32 v7, v1, v7, vcc_lo
	v_cmp_gt_i32_e32 vcc_lo, 32, v10
	s_delay_alu instid0(VALU_DEP_2)
	v_lshlrev_b32_e32 v7, 2, v7
	v_lshlrev_b32_e32 v2, 2, v2
	s_wait_alu 0xfffd
	v_cndmask_b32_e32 v10, v1, v10, vcc_lo
	ds_bpermute_b32 v5, v2, v19
	s_wait_dscnt 0x0
	v_add_f32_e32 v5, v19, v5
	ds_bpermute_b32 v6, v2, v18
	ds_bpermute_b32 v2, v2, v17
	;; [unrolled: 1-line block ×3, first 2 shown]
	v_lshlrev_b32_e32 v10, 2, v10
	s_wait_dscnt 0x2
	v_add_f32_e32 v6, v18, v6
	s_wait_dscnt 0x1
	v_add_f32_e32 v2, v17, v2
	;; [unrolled: 2-line block ×3, first 2 shown]
	ds_bpermute_b32 v9, v7, v6
	ds_bpermute_b32 v7, v7, v2
	s_wait_dscnt 0x0
	v_add_f32_e32 v2, v2, v7
	ds_bpermute_b32 v7, v10, v5
	v_add_f32_e32 v6, v6, v9
	ds_bpermute_b32 v9, v10, v2
	s_wait_dscnt 0x1
	v_add_f32_e32 v5, v5, v7
	ds_bpermute_b32 v8, v10, v6
	v_xor_b32_e32 v10, 4, v1
	s_wait_dscnt 0x1
	v_add_f32_e32 v2, v2, v9
	s_delay_alu instid0(VALU_DEP_2) | instskip(SKIP_2) | instid1(VALU_DEP_1)
	v_cmp_gt_i32_e32 vcc_lo, 32, v10
	s_wait_alu 0xfffd
	v_cndmask_b32_e32 v10, v1, v10, vcc_lo
	v_lshlrev_b32_e32 v10, 2, v10
	ds_bpermute_b32 v7, v10, v5
	s_wait_dscnt 0x0
	v_dual_add_f32 v5, v5, v7 :: v_dual_add_f32 v6, v6, v8
	ds_bpermute_b32 v9, v10, v2
	ds_bpermute_b32 v8, v10, v6
	v_xor_b32_e32 v10, 2, v1
	s_delay_alu instid0(VALU_DEP_1) | instskip(SKIP_3) | instid1(VALU_DEP_1)
	v_cmp_gt_i32_e32 vcc_lo, 32, v10
	s_wait_alu 0xfffd
	v_cndmask_b32_e32 v10, v1, v10, vcc_lo
	s_wait_dscnt 0x1
	v_dual_add_f32 v7, v2, v9 :: v_dual_lshlrev_b32 v10, 2, v10
	s_wait_dscnt 0x0
	v_add_f32_e32 v6, v6, v8
	ds_bpermute_b32 v2, v10, v5
	ds_bpermute_b32 v9, v10, v7
	;; [unrolled: 1-line block ×3, first 2 shown]
	v_xor_b32_e32 v10, 1, v1
	s_delay_alu instid0(VALU_DEP_1) | instskip(SKIP_4) | instid1(VALU_DEP_2)
	v_cmp_gt_i32_e32 vcc_lo, 32, v10
	s_wait_alu 0xfffd
	v_cndmask_b32_e32 v1, v1, v10, vcc_lo
	v_cmp_eq_u32_e32 vcc_lo, 63, v0
	s_wait_dscnt 0x2
	v_dual_add_f32 v1, v5, v2 :: v_dual_lshlrev_b32 v10, 2, v1
	s_wait_dscnt 0x0
	v_dual_add_f32 v5, v7, v9 :: v_dual_add_f32 v2, v6, v8
	ds_bpermute_b32 v6, v10, v1
	ds_bpermute_b32 v8, v10, v5
	ds_bpermute_b32 v7, v10, v2
	s_and_b32 exec_lo, exec_lo, vcc_lo
	s_cbranch_execz .LBB44_10
; %bb.28:
	s_load_b64 s[0:1], s[0:1], 0x58
	s_wait_dscnt 0x0
	v_dual_add_f32 v0, v1, v6 :: v_dual_add_f32 v1, v2, v7
	v_add_f32_e32 v2, v5, v8
	s_cmp_eq_f32 s16, 0
	s_delay_alu instid0(VALU_DEP_2) | instskip(NEXT) | instid1(VALU_DEP_2)
	v_dual_mul_f32 v0, s12, v0 :: v_dual_mul_f32 v1, s12, v1
	v_mul_f32_e32 v2, s12, v2
	s_cbranch_scc0 .LBB44_30
; %bb.29:
	s_wait_kmcnt 0x0
	v_mad_co_u64_u32 v[5:6], null, v3, 12, s[0:1]
	s_mov_b32 s2, 0
	v_mad_co_u64_u32 v[6:7], null, v4, 12, v[6:7]
	global_store_b96 v[5:6], v[0:2], off
.LBB44_30:
	s_wait_alu 0xfffe
	s_and_not1_b32 vcc_lo, exec_lo, s2
	s_wait_alu 0xfffe
	s_cbranch_vccnz .LBB44_10
; %bb.31:
	s_wait_kmcnt 0x0
	v_mad_co_u64_u32 v[6:7], null, v3, 12, s[0:1]
	s_delay_alu instid0(VALU_DEP_1) | instskip(NEXT) | instid1(VALU_DEP_1)
	v_mov_b32_e32 v3, v7
	v_mad_co_u64_u32 v[3:4], null, v4, 12, v[3:4]
	s_delay_alu instid0(VALU_DEP_1)
	v_mov_b32_e32 v7, v3
	global_load_b96 v[3:5], v[6:7], off
	s_wait_loadcnt 0x0
	v_dual_fmac_f32 v0, s16, v3 :: v_dual_fmac_f32 v1, s16, v4
	v_fmac_f32_e32 v2, s16, v5
	global_store_b96 v[6:7], v[0:2], off
	s_endpgm
	.section	.rodata,"a",@progbits
	.p2align	6, 0x0
	.amdhsa_kernel _ZN9rocsparseL18bsrxmvn_3x3_kernelILj256ELj64EfllfffEEvT3_20rocsparse_direction_NS_24const_host_device_scalarIT1_EES1_PKS1_PKT2_SA_S7_PKT4_PKT5_S5_PT6_21rocsparse_index_base_b
		.amdhsa_group_segment_fixed_size 0
		.amdhsa_private_segment_fixed_size 0
		.amdhsa_kernarg_size 104
		.amdhsa_user_sgpr_count 2
		.amdhsa_user_sgpr_dispatch_ptr 0
		.amdhsa_user_sgpr_queue_ptr 0
		.amdhsa_user_sgpr_kernarg_segment_ptr 1
		.amdhsa_user_sgpr_dispatch_id 0
		.amdhsa_user_sgpr_private_segment_size 0
		.amdhsa_wavefront_size32 1
		.amdhsa_uses_dynamic_stack 0
		.amdhsa_enable_private_segment 0
		.amdhsa_system_sgpr_workgroup_id_x 1
		.amdhsa_system_sgpr_workgroup_id_y 0
		.amdhsa_system_sgpr_workgroup_id_z 0
		.amdhsa_system_sgpr_workgroup_info 0
		.amdhsa_system_vgpr_workitem_id 0
		.amdhsa_next_free_vgpr 32
		.amdhsa_next_free_sgpr 18
		.amdhsa_reserve_vcc 1
		.amdhsa_float_round_mode_32 0
		.amdhsa_float_round_mode_16_64 0
		.amdhsa_float_denorm_mode_32 3
		.amdhsa_float_denorm_mode_16_64 3
		.amdhsa_fp16_overflow 0
		.amdhsa_workgroup_processor_mode 1
		.amdhsa_memory_ordered 1
		.amdhsa_forward_progress 1
		.amdhsa_inst_pref_size 16
		.amdhsa_round_robin_scheduling 0
		.amdhsa_exception_fp_ieee_invalid_op 0
		.amdhsa_exception_fp_denorm_src 0
		.amdhsa_exception_fp_ieee_div_zero 0
		.amdhsa_exception_fp_ieee_overflow 0
		.amdhsa_exception_fp_ieee_underflow 0
		.amdhsa_exception_fp_ieee_inexact 0
		.amdhsa_exception_int_div_zero 0
	.end_amdhsa_kernel
	.section	.text._ZN9rocsparseL18bsrxmvn_3x3_kernelILj256ELj64EfllfffEEvT3_20rocsparse_direction_NS_24const_host_device_scalarIT1_EES1_PKS1_PKT2_SA_S7_PKT4_PKT5_S5_PT6_21rocsparse_index_base_b,"axG",@progbits,_ZN9rocsparseL18bsrxmvn_3x3_kernelILj256ELj64EfllfffEEvT3_20rocsparse_direction_NS_24const_host_device_scalarIT1_EES1_PKS1_PKT2_SA_S7_PKT4_PKT5_S5_PT6_21rocsparse_index_base_b,comdat
.Lfunc_end44:
	.size	_ZN9rocsparseL18bsrxmvn_3x3_kernelILj256ELj64EfllfffEEvT3_20rocsparse_direction_NS_24const_host_device_scalarIT1_EES1_PKS1_PKT2_SA_S7_PKT4_PKT5_S5_PT6_21rocsparse_index_base_b, .Lfunc_end44-_ZN9rocsparseL18bsrxmvn_3x3_kernelILj256ELj64EfllfffEEvT3_20rocsparse_direction_NS_24const_host_device_scalarIT1_EES1_PKS1_PKT2_SA_S7_PKT4_PKT5_S5_PT6_21rocsparse_index_base_b
                                        ; -- End function
	.set _ZN9rocsparseL18bsrxmvn_3x3_kernelILj256ELj64EfllfffEEvT3_20rocsparse_direction_NS_24const_host_device_scalarIT1_EES1_PKS1_PKT2_SA_S7_PKT4_PKT5_S5_PT6_21rocsparse_index_base_b.num_vgpr, 32
	.set _ZN9rocsparseL18bsrxmvn_3x3_kernelILj256ELj64EfllfffEEvT3_20rocsparse_direction_NS_24const_host_device_scalarIT1_EES1_PKS1_PKT2_SA_S7_PKT4_PKT5_S5_PT6_21rocsparse_index_base_b.num_agpr, 0
	.set _ZN9rocsparseL18bsrxmvn_3x3_kernelILj256ELj64EfllfffEEvT3_20rocsparse_direction_NS_24const_host_device_scalarIT1_EES1_PKS1_PKT2_SA_S7_PKT4_PKT5_S5_PT6_21rocsparse_index_base_b.numbered_sgpr, 18
	.set _ZN9rocsparseL18bsrxmvn_3x3_kernelILj256ELj64EfllfffEEvT3_20rocsparse_direction_NS_24const_host_device_scalarIT1_EES1_PKS1_PKT2_SA_S7_PKT4_PKT5_S5_PT6_21rocsparse_index_base_b.num_named_barrier, 0
	.set _ZN9rocsparseL18bsrxmvn_3x3_kernelILj256ELj64EfllfffEEvT3_20rocsparse_direction_NS_24const_host_device_scalarIT1_EES1_PKS1_PKT2_SA_S7_PKT4_PKT5_S5_PT6_21rocsparse_index_base_b.private_seg_size, 0
	.set _ZN9rocsparseL18bsrxmvn_3x3_kernelILj256ELj64EfllfffEEvT3_20rocsparse_direction_NS_24const_host_device_scalarIT1_EES1_PKS1_PKT2_SA_S7_PKT4_PKT5_S5_PT6_21rocsparse_index_base_b.uses_vcc, 1
	.set _ZN9rocsparseL18bsrxmvn_3x3_kernelILj256ELj64EfllfffEEvT3_20rocsparse_direction_NS_24const_host_device_scalarIT1_EES1_PKS1_PKT2_SA_S7_PKT4_PKT5_S5_PT6_21rocsparse_index_base_b.uses_flat_scratch, 0
	.set _ZN9rocsparseL18bsrxmvn_3x3_kernelILj256ELj64EfllfffEEvT3_20rocsparse_direction_NS_24const_host_device_scalarIT1_EES1_PKS1_PKT2_SA_S7_PKT4_PKT5_S5_PT6_21rocsparse_index_base_b.has_dyn_sized_stack, 0
	.set _ZN9rocsparseL18bsrxmvn_3x3_kernelILj256ELj64EfllfffEEvT3_20rocsparse_direction_NS_24const_host_device_scalarIT1_EES1_PKS1_PKT2_SA_S7_PKT4_PKT5_S5_PT6_21rocsparse_index_base_b.has_recursion, 0
	.set _ZN9rocsparseL18bsrxmvn_3x3_kernelILj256ELj64EfllfffEEvT3_20rocsparse_direction_NS_24const_host_device_scalarIT1_EES1_PKS1_PKT2_SA_S7_PKT4_PKT5_S5_PT6_21rocsparse_index_base_b.has_indirect_call, 0
	.section	.AMDGPU.csdata,"",@progbits
; Kernel info:
; codeLenInByte = 1936
; TotalNumSgprs: 20
; NumVgprs: 32
; ScratchSize: 0
; MemoryBound: 0
; FloatMode: 240
; IeeeMode: 1
; LDSByteSize: 0 bytes/workgroup (compile time only)
; SGPRBlocks: 0
; VGPRBlocks: 3
; NumSGPRsForWavesPerEU: 20
; NumVGPRsForWavesPerEU: 32
; Occupancy: 16
; WaveLimiterHint : 1
; COMPUTE_PGM_RSRC2:SCRATCH_EN: 0
; COMPUTE_PGM_RSRC2:USER_SGPR: 2
; COMPUTE_PGM_RSRC2:TRAP_HANDLER: 0
; COMPUTE_PGM_RSRC2:TGID_X_EN: 1
; COMPUTE_PGM_RSRC2:TGID_Y_EN: 0
; COMPUTE_PGM_RSRC2:TGID_Z_EN: 0
; COMPUTE_PGM_RSRC2:TIDIG_COMP_CNT: 0
	.section	.text._ZN9rocsparseL18bsrxmvn_3x3_kernelILj256ELj4EdlldddEEvT3_20rocsparse_direction_NS_24const_host_device_scalarIT1_EES1_PKS1_PKT2_SA_S7_PKT4_PKT5_S5_PT6_21rocsparse_index_base_b,"axG",@progbits,_ZN9rocsparseL18bsrxmvn_3x3_kernelILj256ELj4EdlldddEEvT3_20rocsparse_direction_NS_24const_host_device_scalarIT1_EES1_PKS1_PKT2_SA_S7_PKT4_PKT5_S5_PT6_21rocsparse_index_base_b,comdat
	.globl	_ZN9rocsparseL18bsrxmvn_3x3_kernelILj256ELj4EdlldddEEvT3_20rocsparse_direction_NS_24const_host_device_scalarIT1_EES1_PKS1_PKT2_SA_S7_PKT4_PKT5_S5_PT6_21rocsparse_index_base_b ; -- Begin function _ZN9rocsparseL18bsrxmvn_3x3_kernelILj256ELj4EdlldddEEvT3_20rocsparse_direction_NS_24const_host_device_scalarIT1_EES1_PKS1_PKT2_SA_S7_PKT4_PKT5_S5_PT6_21rocsparse_index_base_b
	.p2align	8
	.type	_ZN9rocsparseL18bsrxmvn_3x3_kernelILj256ELj4EdlldddEEvT3_20rocsparse_direction_NS_24const_host_device_scalarIT1_EES1_PKS1_PKT2_SA_S7_PKT4_PKT5_S5_PT6_21rocsparse_index_base_b,@function
_ZN9rocsparseL18bsrxmvn_3x3_kernelILj256ELj4EdlldddEEvT3_20rocsparse_direction_NS_24const_host_device_scalarIT1_EES1_PKS1_PKT2_SA_S7_PKT4_PKT5_S5_PT6_21rocsparse_index_base_b: ; @_ZN9rocsparseL18bsrxmvn_3x3_kernelILj256ELj4EdlldddEEvT3_20rocsparse_direction_NS_24const_host_device_scalarIT1_EES1_PKS1_PKT2_SA_S7_PKT4_PKT5_S5_PT6_21rocsparse_index_base_b
; %bb.0:
	s_clause 0x2
	s_load_b64 s[8:9], s[0:1], 0x60
	s_load_b128 s[4:7], s[0:1], 0x10
	s_load_b64 s[2:3], s[0:1], 0x50
	s_wait_kmcnt 0x0
	s_bitcmp1_b32 s9, 0
	v_dual_mov_b32 v7, s5 :: v_dual_mov_b32 v6, s4
	s_cselect_b32 s9, -1, 0
	s_delay_alu instid0(SALU_CYCLE_1)
	s_and_b32 vcc_lo, exec_lo, s9
	s_xor_b32 s9, s9, -1
	s_cbranch_vccnz .LBB45_2
; %bb.1:
	v_dual_mov_b32 v1, s4 :: v_dual_mov_b32 v2, s5
	flat_load_b64 v[6:7], v[1:2]
.LBB45_2:
	v_dual_mov_b32 v5, s3 :: v_dual_mov_b32 v4, s2
	s_and_not1_b32 vcc_lo, exec_lo, s9
	s_cbranch_vccnz .LBB45_4
; %bb.3:
	v_dual_mov_b32 v1, s2 :: v_dual_mov_b32 v2, s3
	flat_load_b64 v[4:5], v[1:2]
.LBB45_4:
	s_wait_loadcnt_dscnt 0x0
	v_cmp_neq_f64_e32 vcc_lo, 0, v[6:7]
	v_cmp_neq_f64_e64 s2, 1.0, v[4:5]
	s_or_b32 s2, vcc_lo, s2
	s_wait_alu 0xfffe
	s_and_saveexec_b32 s3, s2
	s_cbranch_execz .LBB45_10
; %bb.5:
	s_load_b64 s[2:3], s[0:1], 0x20
	v_lshrrev_b32_e32 v1, 2, v0
	v_mov_b32_e32 v11, 0
	s_delay_alu instid0(VALU_DEP_2)
	v_lshl_or_b32 v10, ttmp9, 6, v1
	s_wait_kmcnt 0x0
	s_cmp_lg_u64 s[2:3], 0
	s_cbranch_scc0 .LBB45_11
; %bb.6:
	s_delay_alu instid0(VALU_DEP_1)
	v_cmp_gt_i64_e32 vcc_lo, s[6:7], v[10:11]
	s_mov_b32 s5, 0
	s_mov_b32 s4, 0
                                        ; implicit-def: $vgpr8_vgpr9
                                        ; implicit-def: $vgpr1_vgpr2
	s_and_saveexec_b32 s6, vcc_lo
	s_wait_alu 0xfffe
	s_xor_b32 s6, exec_lo, s6
	s_cbranch_execz .LBB45_8
; %bb.7:
	v_lshlrev_b64_e32 v[1:2], 3, v[10:11]
	s_mov_b32 s9, 0
	s_mov_b32 s4, exec_lo
	s_delay_alu instid0(VALU_DEP_1) | instskip(NEXT) | instid1(VALU_DEP_1)
	v_add_co_u32 v1, vcc_lo, s2, v1
	v_add_co_ci_u32_e64 v2, null, s3, v2, vcc_lo
	global_load_b64 v[1:2], v[1:2], off
	s_wait_loadcnt 0x0
	v_sub_co_u32 v8, vcc_lo, v1, s8
	s_wait_alu 0xfffd
	v_subrev_co_ci_u32_e64 v9, null, 0, v2, vcc_lo
	v_dual_mov_b32 v1, s8 :: v_dual_mov_b32 v2, s9
.LBB45_8:
	s_wait_alu 0xfffe
	s_or_b32 exec_lo, exec_lo, s6
	s_delay_alu instid0(SALU_CYCLE_1)
	s_and_b32 vcc_lo, exec_lo, s5
	s_wait_alu 0xfffe
	s_cbranch_vccnz .LBB45_12
.LBB45_9:
	s_wait_alu 0xfffe
	s_and_b32 exec_lo, exec_lo, s4
	s_cbranch_execnz .LBB45_15
.LBB45_10:
	s_endpgm
.LBB45_11:
	s_mov_b32 s4, 0
                                        ; implicit-def: $vgpr8_vgpr9
                                        ; implicit-def: $vgpr1_vgpr2
	s_cbranch_execz .LBB45_9
.LBB45_12:
	s_load_b64 s[2:3], s[0:1], 0x0
	s_wait_kmcnt 0x0
	v_cmp_gt_i64_e32 vcc_lo, s[2:3], v[10:11]
	s_and_saveexec_b32 s2, vcc_lo
; %bb.13:
	s_mov_b32 s9, 0
	s_or_b32 s4, s4, exec_lo
; %bb.14:
	s_wait_alu 0xfffe
	s_or_b32 exec_lo, exec_lo, s2
	v_dual_mov_b32 v1, s8 :: v_dual_mov_b32 v2, s9
	v_dual_mov_b32 v8, v10 :: v_dual_mov_b32 v9, v11
	s_and_b32 exec_lo, exec_lo, s4
	s_cbranch_execz .LBB45_10
.LBB45_15:
	s_load_b256 s[4:11], s[0:1], 0x28
	s_delay_alu instid0(VALU_DEP_1) | instskip(SKIP_2) | instid1(VALU_DEP_2)
	v_lshlrev_b64_e32 v[10:11], 3, v[8:9]
	v_and_b32_e32 v28, 3, v0
	s_wait_kmcnt 0x0
	v_add_co_u32 v12, vcc_lo, s4, v10
	s_wait_alu 0xfffd
	s_delay_alu instid0(VALU_DEP_3)
	v_add_co_ci_u32_e64 v13, null, s5, v11, vcc_lo
	v_add_co_u32 v3, vcc_lo, s6, v10
	s_wait_alu 0xfffd
	v_add_co_ci_u32_e64 v10, null, s7, v11, vcc_lo
	global_load_b64 v[14:15], v[12:13], off
	v_add_co_u32 v12, vcc_lo, v12, 8
	s_wait_alu 0xfffd
	v_add_co_ci_u32_e64 v11, null, 0, v13, vcc_lo
	s_cmp_eq_u64 s[6:7], 0
	s_cselect_b32 vcc_lo, -1, 0
	s_wait_alu 0xfffe
	v_dual_cndmask_b32 v11, v10, v11 :: v_dual_cndmask_b32 v10, v3, v12
	global_load_b64 v[10:11], v[10:11], off
	s_clause 0x1
	s_load_b32 s3, s[0:1], 0x8
	s_load_b64 s[4:5], s[0:1], 0x48
	s_wait_kmcnt 0x0
	s_cmp_eq_u32 s3, 1
	s_wait_loadcnt 0x1
	v_sub_co_u32 v0, vcc_lo, v14, v1
	s_wait_alu 0xfffd
	v_sub_co_ci_u32_e64 v3, null, v15, v2, vcc_lo
	s_delay_alu instid0(VALU_DEP_2) | instskip(SKIP_1) | instid1(VALU_DEP_2)
	v_add_co_u32 v12, vcc_lo, v0, v28
	s_wait_alu 0xfffd
	v_add_co_ci_u32_e64 v13, null, 0, v3, vcc_lo
	s_delay_alu instid0(VALU_DEP_2) | instskip(NEXT) | instid1(VALU_DEP_1)
	v_mad_co_u64_u32 v[14:15], null, 0x48, v12, s[10:11]
	v_mov_b32_e32 v0, v15
	s_delay_alu instid0(VALU_DEP_1) | instskip(SKIP_4) | instid1(VALU_DEP_1)
	v_mad_co_u64_u32 v[15:16], null, 0x48, v13, v[0:1]
	s_wait_loadcnt 0x0
	v_sub_co_u32 v16, vcc_lo, v10, v1
	s_wait_alu 0xfffd
	v_sub_co_ci_u32_e64 v17, null, v11, v2, vcc_lo
	v_cmp_lt_i64_e64 s2, v[12:13], v[16:17]
	s_cbranch_scc1 .LBB45_21
; %bb.16:
	v_mov_b32_e32 v10, 0
	v_dual_mov_b32 v11, 0 :: v_dual_mov_b32 v18, 0
	v_dual_mov_b32 v20, 0 :: v_dual_mov_b32 v19, 0
	v_mov_b32_e32 v21, 0
	s_and_saveexec_b32 s6, s2
	s_cbranch_execz .LBB45_20
; %bb.17:
	v_lshlrev_b64_e32 v[18:19], 3, v[12:13]
	v_dual_mov_b32 v10, 0 :: v_dual_mov_b32 v23, v15
	v_dual_mov_b32 v11, 0 :: v_dual_mov_b32 v22, v14
	;; [unrolled: 1-line block ×3, first 2 shown]
	s_delay_alu instid0(VALU_DEP_4)
	v_add_co_u32 v24, vcc_lo, s8, v18
	s_wait_alu 0xfffd
	v_add_co_ci_u32_e64 v25, null, s9, v19, vcc_lo
	v_mov_b32_e32 v18, 0
	v_dual_mov_b32 v19, 0 :: v_dual_mov_b32 v20, 0
	v_mov_b32_e32 v21, 0
	s_mov_b32 s7, 0
.LBB45_18:                              ; =>This Inner Loop Header: Depth=1
	global_load_b64 v[29:30], v[24:25], off
	v_add_co_u32 v24, s3, v24, 32
	s_wait_alu 0xf1ff
	v_add_co_ci_u32_e64 v25, null, 0, v25, s3
	s_wait_loadcnt 0x0
	v_sub_co_u32 v0, vcc_lo, v29, v1
	s_wait_alu 0xfffd
	v_sub_co_ci_u32_e64 v3, null, v30, v2, vcc_lo
	global_load_b128 v[29:32], v[22:23], off offset:48
	v_mad_co_u64_u32 v[45:46], null, v0, 24, s[4:5]
	v_add_co_u32 v26, vcc_lo, v26, 4
	s_wait_alu 0xfffd
	v_add_co_ci_u32_e64 v27, null, 0, v27, vcc_lo
	s_delay_alu instid0(VALU_DEP_3) | instskip(NEXT) | instid1(VALU_DEP_1)
	v_mov_b32_e32 v0, v46
	v_mad_co_u64_u32 v[33:34], null, v3, 24, v[0:1]
	s_delay_alu instid0(VALU_DEP_1)
	v_mov_b32_e32 v46, v33
	s_clause 0x1
	global_load_b128 v[33:36], v[22:23], off offset:16
	global_load_b128 v[37:40], v[22:23], off
	s_clause 0x1
	global_load_b128 v[41:44], v[45:46], off
	global_load_b64 v[49:50], v[45:46], off offset:16
	s_clause 0x1
	global_load_b128 v[45:48], v[22:23], off offset:32
	global_load_b64 v[51:52], v[22:23], off offset:64
	v_add_co_u32 v22, vcc_lo, 0x120, v22
	s_wait_alu 0xfffd
	v_add_co_ci_u32_e64 v23, null, 0, v23, vcc_lo
	v_cmp_ge_i64_e32 vcc_lo, v[26:27], v[16:17]
	s_wait_alu 0xfffe
	s_or_b32 s7, vcc_lo, s7
	s_wait_loadcnt 0x3
	v_fma_f64 v[20:21], v[37:38], v[41:42], v[20:21]
	v_fma_f64 v[18:19], v[35:36], v[41:42], v[18:19]
	;; [unrolled: 1-line block ×3, first 2 shown]
	s_delay_alu instid0(VALU_DEP_3) | instskip(SKIP_1) | instid1(VALU_DEP_3)
	v_fma_f64 v[20:21], v[39:40], v[43:44], v[20:21]
	s_wait_loadcnt 0x1
	v_fma_f64 v[18:19], v[45:46], v[43:44], v[18:19]
	s_delay_alu instid0(VALU_DEP_3) | instskip(NEXT) | instid1(VALU_DEP_3)
	v_fma_f64 v[10:11], v[31:32], v[43:44], v[10:11]
	v_fma_f64 v[20:21], v[33:34], v[49:50], v[20:21]
	s_delay_alu instid0(VALU_DEP_3) | instskip(SKIP_1) | instid1(VALU_DEP_3)
	v_fma_f64 v[18:19], v[47:48], v[49:50], v[18:19]
	s_wait_loadcnt 0x0
	v_fma_f64 v[10:11], v[51:52], v[49:50], v[10:11]
	s_wait_alu 0xfffe
	s_and_not1_b32 exec_lo, exec_lo, s7
	s_cbranch_execnz .LBB45_18
; %bb.19:
	s_or_b32 exec_lo, exec_lo, s7
.LBB45_20:
	s_wait_alu 0xfffe
	s_or_b32 exec_lo, exec_lo, s6
	s_cbranch_execz .LBB45_22
	s_branch .LBB45_27
.LBB45_21:
                                        ; implicit-def: $vgpr10_vgpr11
                                        ; implicit-def: $vgpr18_vgpr19
                                        ; implicit-def: $vgpr20_vgpr21
.LBB45_22:
	v_mov_b32_e32 v10, 0
	v_dual_mov_b32 v11, 0 :: v_dual_mov_b32 v18, 0
	v_dual_mov_b32 v20, 0 :: v_dual_mov_b32 v19, 0
	v_mov_b32_e32 v21, 0
	s_and_saveexec_b32 s3, s2
	s_cbranch_execz .LBB45_26
; %bb.23:
	v_lshlrev_b64_e32 v[22:23], 3, v[12:13]
	v_mov_b32_e32 v10, 0
	v_dual_mov_b32 v11, 0 :: v_dual_mov_b32 v18, 0
	v_dual_mov_b32 v20, 0 :: v_dual_mov_b32 v19, 0
	s_delay_alu instid0(VALU_DEP_4)
	v_add_co_u32 v22, vcc_lo, s8, v22
	v_mov_b32_e32 v21, 0
	s_wait_alu 0xfffd
	v_add_co_ci_u32_e64 v23, null, s9, v23, vcc_lo
	s_mov_b32 s6, 0
.LBB45_24:                              ; =>This Inner Loop Header: Depth=1
	global_load_b64 v[24:25], v[22:23], off
	v_add_co_u32 v22, s2, v22, 32
	s_wait_alu 0xf1ff
	v_add_co_ci_u32_e64 v23, null, 0, v23, s2
	s_wait_loadcnt 0x0
	v_sub_co_u32 v0, vcc_lo, v24, v1
	s_wait_alu 0xfffd
	v_sub_co_ci_u32_e64 v3, null, v25, v2, vcc_lo
	v_add_co_u32 v12, vcc_lo, v12, 4
	s_delay_alu instid0(VALU_DEP_3) | instskip(SKIP_2) | instid1(VALU_DEP_2)
	v_mad_co_u64_u32 v[37:38], null, v0, 24, s[4:5]
	s_wait_alu 0xfffd
	v_add_co_ci_u32_e64 v13, null, 0, v13, vcc_lo
	v_mov_b32_e32 v0, v38
	s_delay_alu instid0(VALU_DEP_1) | instskip(NEXT) | instid1(VALU_DEP_1)
	v_mad_co_u64_u32 v[24:25], null, v3, 24, v[0:1]
	v_mov_b32_e32 v38, v24
	s_clause 0x1
	global_load_b128 v[24:27], v[14:15], off offset:16
	global_load_b128 v[29:32], v[14:15], off
	s_clause 0x1
	global_load_b128 v[33:36], v[37:38], off
	global_load_b64 v[45:46], v[37:38], off offset:16
	s_clause 0x2
	global_load_b128 v[37:40], v[14:15], off offset:32
	global_load_b128 v[41:44], v[14:15], off offset:48
	global_load_b64 v[47:48], v[14:15], off offset:64
	v_add_co_u32 v14, vcc_lo, 0x120, v14
	s_wait_alu 0xfffd
	v_add_co_ci_u32_e64 v15, null, 0, v15, vcc_lo
	v_cmp_ge_i64_e32 vcc_lo, v[12:13], v[16:17]
	s_wait_alu 0xfffe
	s_or_b32 s6, vcc_lo, s6
	s_wait_loadcnt 0x4
	v_fma_f64 v[20:21], v[29:30], v[33:34], v[20:21]
	v_fma_f64 v[18:19], v[31:32], v[33:34], v[18:19]
	;; [unrolled: 1-line block ×3, first 2 shown]
	s_delay_alu instid0(VALU_DEP_3) | instskip(SKIP_1) | instid1(VALU_DEP_3)
	v_fma_f64 v[20:21], v[26:27], v[35:36], v[20:21]
	s_wait_loadcnt 0x2
	v_fma_f64 v[18:19], v[37:38], v[35:36], v[18:19]
	s_delay_alu instid0(VALU_DEP_3) | instskip(SKIP_1) | instid1(VALU_DEP_3)
	v_fma_f64 v[10:11], v[39:40], v[35:36], v[10:11]
	s_wait_loadcnt 0x1
	v_fma_f64 v[20:21], v[41:42], v[45:46], v[20:21]
	;; [unrolled: 4-line block ×3, first 2 shown]
	s_wait_alu 0xfffe
	s_and_not1_b32 exec_lo, exec_lo, s6
	s_cbranch_execnz .LBB45_24
; %bb.25:
	s_or_b32 exec_lo, exec_lo, s6
.LBB45_26:
	s_wait_alu 0xfffe
	s_or_b32 exec_lo, exec_lo, s3
.LBB45_27:
	v_mbcnt_lo_u32_b32 v16, -1, 0
	s_delay_alu instid0(VALU_DEP_1) | instskip(NEXT) | instid1(VALU_DEP_1)
	v_xor_b32_e32 v0, 2, v16
	v_cmp_gt_i32_e32 vcc_lo, 32, v0
	s_wait_alu 0xfffd
	v_cndmask_b32_e32 v0, v16, v0, vcc_lo
	s_delay_alu instid0(VALU_DEP_1)
	v_lshlrev_b32_e32 v12, 2, v0
	ds_bpermute_b32 v0, v12, v20
	ds_bpermute_b32 v1, v12, v21
	;; [unrolled: 1-line block ×6, first 2 shown]
	s_wait_dscnt 0x4
	v_add_f64_e32 v[12:13], v[20:21], v[0:1]
	s_wait_dscnt 0x2
	v_add_f64_e32 v[0:1], v[18:19], v[2:3]
	;; [unrolled: 2-line block ×3, first 2 shown]
	v_xor_b32_e32 v10, 1, v16
	s_delay_alu instid0(VALU_DEP_1) | instskip(SKIP_3) | instid1(VALU_DEP_2)
	v_cmp_gt_i32_e32 vcc_lo, 32, v10
	s_wait_alu 0xfffd
	v_cndmask_b32_e32 v10, v16, v10, vcc_lo
	v_cmp_eq_u32_e32 vcc_lo, 3, v28
	v_lshlrev_b32_e32 v11, 2, v10
	ds_bpermute_b32 v16, v11, v12
	ds_bpermute_b32 v17, v11, v13
	;; [unrolled: 1-line block ×6, first 2 shown]
	s_and_b32 exec_lo, exec_lo, vcc_lo
	s_cbranch_execz .LBB45_10
; %bb.28:
	s_wait_dscnt 0x4
	v_add_f64_e32 v[12:13], v[12:13], v[16:17]
	s_wait_dscnt 0x2
	v_add_f64_e32 v[14:15], v[0:1], v[14:15]
	;; [unrolled: 2-line block ×3, first 2 shown]
	s_load_b64 s[0:1], s[0:1], 0x58
	s_mov_b32 s2, exec_lo
	s_delay_alu instid0(VALU_DEP_3) | instskip(NEXT) | instid1(VALU_DEP_3)
	v_mul_f64_e32 v[0:1], v[6:7], v[12:13]
	v_mul_f64_e32 v[2:3], v[6:7], v[14:15]
	s_delay_alu instid0(VALU_DEP_3)
	v_mul_f64_e32 v[6:7], v[6:7], v[10:11]
	v_cmpx_eq_f64_e32 0, v[4:5]
	s_wait_alu 0xfffe
	s_xor_b32 s2, exec_lo, s2
	s_cbranch_execz .LBB45_30
; %bb.29:
	s_wait_kmcnt 0x0
	v_mad_co_u64_u32 v[4:5], null, v8, 24, s[0:1]
	s_delay_alu instid0(VALU_DEP_1) | instskip(NEXT) | instid1(VALU_DEP_1)
	v_mad_co_u64_u32 v[8:9], null, v9, 24, v[5:6]
	v_mov_b32_e32 v5, v8
                                        ; implicit-def: $vgpr8_vgpr9
	s_clause 0x1
	global_store_b128 v[4:5], v[0:3], off
	global_store_b64 v[4:5], v[6:7], off offset:16
                                        ; implicit-def: $vgpr4_vgpr5
                                        ; implicit-def: $vgpr0_vgpr1
                                        ; implicit-def: $vgpr6_vgpr7
.LBB45_30:
	s_wait_alu 0xfffe
	s_and_not1_saveexec_b32 s2, s2
	s_cbranch_execz .LBB45_10
; %bb.31:
	s_wait_kmcnt 0x0
	v_mad_co_u64_u32 v[12:13], null, v8, 24, s[0:1]
	s_delay_alu instid0(VALU_DEP_1) | instskip(NEXT) | instid1(VALU_DEP_1)
	v_mov_b32_e32 v8, v13
	v_mad_co_u64_u32 v[8:9], null, v9, 24, v[8:9]
	s_delay_alu instid0(VALU_DEP_1)
	v_mov_b32_e32 v13, v8
	s_clause 0x1
	global_load_b128 v[8:11], v[12:13], off
	global_load_b64 v[14:15], v[12:13], off offset:16
	s_wait_loadcnt 0x1
	v_fma_f64 v[0:1], v[4:5], v[8:9], v[0:1]
	v_fma_f64 v[2:3], v[4:5], v[10:11], v[2:3]
	s_wait_loadcnt 0x0
	v_fma_f64 v[4:5], v[4:5], v[14:15], v[6:7]
	s_clause 0x1
	global_store_b128 v[12:13], v[0:3], off
	global_store_b64 v[12:13], v[4:5], off offset:16
	s_endpgm
	.section	.rodata,"a",@progbits
	.p2align	6, 0x0
	.amdhsa_kernel _ZN9rocsparseL18bsrxmvn_3x3_kernelILj256ELj4EdlldddEEvT3_20rocsparse_direction_NS_24const_host_device_scalarIT1_EES1_PKS1_PKT2_SA_S7_PKT4_PKT5_S5_PT6_21rocsparse_index_base_b
		.amdhsa_group_segment_fixed_size 0
		.amdhsa_private_segment_fixed_size 0
		.amdhsa_kernarg_size 104
		.amdhsa_user_sgpr_count 2
		.amdhsa_user_sgpr_dispatch_ptr 0
		.amdhsa_user_sgpr_queue_ptr 0
		.amdhsa_user_sgpr_kernarg_segment_ptr 1
		.amdhsa_user_sgpr_dispatch_id 0
		.amdhsa_user_sgpr_private_segment_size 0
		.amdhsa_wavefront_size32 1
		.amdhsa_uses_dynamic_stack 0
		.amdhsa_enable_private_segment 0
		.amdhsa_system_sgpr_workgroup_id_x 1
		.amdhsa_system_sgpr_workgroup_id_y 0
		.amdhsa_system_sgpr_workgroup_id_z 0
		.amdhsa_system_sgpr_workgroup_info 0
		.amdhsa_system_vgpr_workitem_id 0
		.amdhsa_next_free_vgpr 53
		.amdhsa_next_free_sgpr 12
		.amdhsa_reserve_vcc 1
		.amdhsa_float_round_mode_32 0
		.amdhsa_float_round_mode_16_64 0
		.amdhsa_float_denorm_mode_32 3
		.amdhsa_float_denorm_mode_16_64 3
		.amdhsa_fp16_overflow 0
		.amdhsa_workgroup_processor_mode 1
		.amdhsa_memory_ordered 1
		.amdhsa_forward_progress 1
		.amdhsa_inst_pref_size 17
		.amdhsa_round_robin_scheduling 0
		.amdhsa_exception_fp_ieee_invalid_op 0
		.amdhsa_exception_fp_denorm_src 0
		.amdhsa_exception_fp_ieee_div_zero 0
		.amdhsa_exception_fp_ieee_overflow 0
		.amdhsa_exception_fp_ieee_underflow 0
		.amdhsa_exception_fp_ieee_inexact 0
		.amdhsa_exception_int_div_zero 0
	.end_amdhsa_kernel
	.section	.text._ZN9rocsparseL18bsrxmvn_3x3_kernelILj256ELj4EdlldddEEvT3_20rocsparse_direction_NS_24const_host_device_scalarIT1_EES1_PKS1_PKT2_SA_S7_PKT4_PKT5_S5_PT6_21rocsparse_index_base_b,"axG",@progbits,_ZN9rocsparseL18bsrxmvn_3x3_kernelILj256ELj4EdlldddEEvT3_20rocsparse_direction_NS_24const_host_device_scalarIT1_EES1_PKS1_PKT2_SA_S7_PKT4_PKT5_S5_PT6_21rocsparse_index_base_b,comdat
.Lfunc_end45:
	.size	_ZN9rocsparseL18bsrxmvn_3x3_kernelILj256ELj4EdlldddEEvT3_20rocsparse_direction_NS_24const_host_device_scalarIT1_EES1_PKS1_PKT2_SA_S7_PKT4_PKT5_S5_PT6_21rocsparse_index_base_b, .Lfunc_end45-_ZN9rocsparseL18bsrxmvn_3x3_kernelILj256ELj4EdlldddEEvT3_20rocsparse_direction_NS_24const_host_device_scalarIT1_EES1_PKS1_PKT2_SA_S7_PKT4_PKT5_S5_PT6_21rocsparse_index_base_b
                                        ; -- End function
	.set _ZN9rocsparseL18bsrxmvn_3x3_kernelILj256ELj4EdlldddEEvT3_20rocsparse_direction_NS_24const_host_device_scalarIT1_EES1_PKS1_PKT2_SA_S7_PKT4_PKT5_S5_PT6_21rocsparse_index_base_b.num_vgpr, 53
	.set _ZN9rocsparseL18bsrxmvn_3x3_kernelILj256ELj4EdlldddEEvT3_20rocsparse_direction_NS_24const_host_device_scalarIT1_EES1_PKS1_PKT2_SA_S7_PKT4_PKT5_S5_PT6_21rocsparse_index_base_b.num_agpr, 0
	.set _ZN9rocsparseL18bsrxmvn_3x3_kernelILj256ELj4EdlldddEEvT3_20rocsparse_direction_NS_24const_host_device_scalarIT1_EES1_PKS1_PKT2_SA_S7_PKT4_PKT5_S5_PT6_21rocsparse_index_base_b.numbered_sgpr, 12
	.set _ZN9rocsparseL18bsrxmvn_3x3_kernelILj256ELj4EdlldddEEvT3_20rocsparse_direction_NS_24const_host_device_scalarIT1_EES1_PKS1_PKT2_SA_S7_PKT4_PKT5_S5_PT6_21rocsparse_index_base_b.num_named_barrier, 0
	.set _ZN9rocsparseL18bsrxmvn_3x3_kernelILj256ELj4EdlldddEEvT3_20rocsparse_direction_NS_24const_host_device_scalarIT1_EES1_PKS1_PKT2_SA_S7_PKT4_PKT5_S5_PT6_21rocsparse_index_base_b.private_seg_size, 0
	.set _ZN9rocsparseL18bsrxmvn_3x3_kernelILj256ELj4EdlldddEEvT3_20rocsparse_direction_NS_24const_host_device_scalarIT1_EES1_PKS1_PKT2_SA_S7_PKT4_PKT5_S5_PT6_21rocsparse_index_base_b.uses_vcc, 1
	.set _ZN9rocsparseL18bsrxmvn_3x3_kernelILj256ELj4EdlldddEEvT3_20rocsparse_direction_NS_24const_host_device_scalarIT1_EES1_PKS1_PKT2_SA_S7_PKT4_PKT5_S5_PT6_21rocsparse_index_base_b.uses_flat_scratch, 0
	.set _ZN9rocsparseL18bsrxmvn_3x3_kernelILj256ELj4EdlldddEEvT3_20rocsparse_direction_NS_24const_host_device_scalarIT1_EES1_PKS1_PKT2_SA_S7_PKT4_PKT5_S5_PT6_21rocsparse_index_base_b.has_dyn_sized_stack, 0
	.set _ZN9rocsparseL18bsrxmvn_3x3_kernelILj256ELj4EdlldddEEvT3_20rocsparse_direction_NS_24const_host_device_scalarIT1_EES1_PKS1_PKT2_SA_S7_PKT4_PKT5_S5_PT6_21rocsparse_index_base_b.has_recursion, 0
	.set _ZN9rocsparseL18bsrxmvn_3x3_kernelILj256ELj4EdlldddEEvT3_20rocsparse_direction_NS_24const_host_device_scalarIT1_EES1_PKS1_PKT2_SA_S7_PKT4_PKT5_S5_PT6_21rocsparse_index_base_b.has_indirect_call, 0
	.section	.AMDGPU.csdata,"",@progbits
; Kernel info:
; codeLenInByte = 2072
; TotalNumSgprs: 14
; NumVgprs: 53
; ScratchSize: 0
; MemoryBound: 1
; FloatMode: 240
; IeeeMode: 1
; LDSByteSize: 0 bytes/workgroup (compile time only)
; SGPRBlocks: 0
; VGPRBlocks: 6
; NumSGPRsForWavesPerEU: 14
; NumVGPRsForWavesPerEU: 53
; Occupancy: 16
; WaveLimiterHint : 1
; COMPUTE_PGM_RSRC2:SCRATCH_EN: 0
; COMPUTE_PGM_RSRC2:USER_SGPR: 2
; COMPUTE_PGM_RSRC2:TRAP_HANDLER: 0
; COMPUTE_PGM_RSRC2:TGID_X_EN: 1
; COMPUTE_PGM_RSRC2:TGID_Y_EN: 0
; COMPUTE_PGM_RSRC2:TGID_Z_EN: 0
; COMPUTE_PGM_RSRC2:TIDIG_COMP_CNT: 0
	.section	.text._ZN9rocsparseL18bsrxmvn_3x3_kernelILj256ELj8EdlldddEEvT3_20rocsparse_direction_NS_24const_host_device_scalarIT1_EES1_PKS1_PKT2_SA_S7_PKT4_PKT5_S5_PT6_21rocsparse_index_base_b,"axG",@progbits,_ZN9rocsparseL18bsrxmvn_3x3_kernelILj256ELj8EdlldddEEvT3_20rocsparse_direction_NS_24const_host_device_scalarIT1_EES1_PKS1_PKT2_SA_S7_PKT4_PKT5_S5_PT6_21rocsparse_index_base_b,comdat
	.globl	_ZN9rocsparseL18bsrxmvn_3x3_kernelILj256ELj8EdlldddEEvT3_20rocsparse_direction_NS_24const_host_device_scalarIT1_EES1_PKS1_PKT2_SA_S7_PKT4_PKT5_S5_PT6_21rocsparse_index_base_b ; -- Begin function _ZN9rocsparseL18bsrxmvn_3x3_kernelILj256ELj8EdlldddEEvT3_20rocsparse_direction_NS_24const_host_device_scalarIT1_EES1_PKS1_PKT2_SA_S7_PKT4_PKT5_S5_PT6_21rocsparse_index_base_b
	.p2align	8
	.type	_ZN9rocsparseL18bsrxmvn_3x3_kernelILj256ELj8EdlldddEEvT3_20rocsparse_direction_NS_24const_host_device_scalarIT1_EES1_PKS1_PKT2_SA_S7_PKT4_PKT5_S5_PT6_21rocsparse_index_base_b,@function
_ZN9rocsparseL18bsrxmvn_3x3_kernelILj256ELj8EdlldddEEvT3_20rocsparse_direction_NS_24const_host_device_scalarIT1_EES1_PKS1_PKT2_SA_S7_PKT4_PKT5_S5_PT6_21rocsparse_index_base_b: ; @_ZN9rocsparseL18bsrxmvn_3x3_kernelILj256ELj8EdlldddEEvT3_20rocsparse_direction_NS_24const_host_device_scalarIT1_EES1_PKS1_PKT2_SA_S7_PKT4_PKT5_S5_PT6_21rocsparse_index_base_b
; %bb.0:
	s_clause 0x2
	s_load_b64 s[8:9], s[0:1], 0x60
	s_load_b128 s[4:7], s[0:1], 0x10
	s_load_b64 s[2:3], s[0:1], 0x50
	s_wait_kmcnt 0x0
	s_bitcmp1_b32 s9, 0
	v_dual_mov_b32 v7, s5 :: v_dual_mov_b32 v6, s4
	s_cselect_b32 s9, -1, 0
	s_delay_alu instid0(SALU_CYCLE_1)
	s_and_b32 vcc_lo, exec_lo, s9
	s_xor_b32 s9, s9, -1
	s_cbranch_vccnz .LBB46_2
; %bb.1:
	v_dual_mov_b32 v1, s4 :: v_dual_mov_b32 v2, s5
	flat_load_b64 v[6:7], v[1:2]
.LBB46_2:
	v_dual_mov_b32 v5, s3 :: v_dual_mov_b32 v4, s2
	s_and_not1_b32 vcc_lo, exec_lo, s9
	s_cbranch_vccnz .LBB46_4
; %bb.3:
	v_dual_mov_b32 v1, s2 :: v_dual_mov_b32 v2, s3
	flat_load_b64 v[4:5], v[1:2]
.LBB46_4:
	s_wait_loadcnt_dscnt 0x0
	v_cmp_neq_f64_e32 vcc_lo, 0, v[6:7]
	v_cmp_neq_f64_e64 s2, 1.0, v[4:5]
	s_or_b32 s2, vcc_lo, s2
	s_wait_alu 0xfffe
	s_and_saveexec_b32 s3, s2
	s_cbranch_execz .LBB46_10
; %bb.5:
	s_load_b64 s[2:3], s[0:1], 0x20
	v_lshrrev_b32_e32 v1, 3, v0
	v_mov_b32_e32 v11, 0
	s_delay_alu instid0(VALU_DEP_2)
	v_lshl_or_b32 v10, ttmp9, 5, v1
	s_wait_kmcnt 0x0
	s_cmp_lg_u64 s[2:3], 0
	s_cbranch_scc0 .LBB46_11
; %bb.6:
	s_delay_alu instid0(VALU_DEP_1)
	v_cmp_gt_i64_e32 vcc_lo, s[6:7], v[10:11]
	s_mov_b32 s5, 0
	s_mov_b32 s4, 0
                                        ; implicit-def: $vgpr8_vgpr9
                                        ; implicit-def: $vgpr1_vgpr2
	s_and_saveexec_b32 s6, vcc_lo
	s_wait_alu 0xfffe
	s_xor_b32 s6, exec_lo, s6
	s_cbranch_execz .LBB46_8
; %bb.7:
	v_lshlrev_b64_e32 v[1:2], 3, v[10:11]
	s_mov_b32 s9, 0
	s_mov_b32 s4, exec_lo
	s_delay_alu instid0(VALU_DEP_1) | instskip(NEXT) | instid1(VALU_DEP_1)
	v_add_co_u32 v1, vcc_lo, s2, v1
	v_add_co_ci_u32_e64 v2, null, s3, v2, vcc_lo
	global_load_b64 v[1:2], v[1:2], off
	s_wait_loadcnt 0x0
	v_sub_co_u32 v8, vcc_lo, v1, s8
	s_wait_alu 0xfffd
	v_subrev_co_ci_u32_e64 v9, null, 0, v2, vcc_lo
	v_dual_mov_b32 v1, s8 :: v_dual_mov_b32 v2, s9
.LBB46_8:
	s_wait_alu 0xfffe
	s_or_b32 exec_lo, exec_lo, s6
	s_delay_alu instid0(SALU_CYCLE_1)
	s_and_b32 vcc_lo, exec_lo, s5
	s_wait_alu 0xfffe
	s_cbranch_vccnz .LBB46_12
.LBB46_9:
	s_wait_alu 0xfffe
	s_and_b32 exec_lo, exec_lo, s4
	s_cbranch_execnz .LBB46_15
.LBB46_10:
	s_endpgm
.LBB46_11:
	s_mov_b32 s4, 0
                                        ; implicit-def: $vgpr8_vgpr9
                                        ; implicit-def: $vgpr1_vgpr2
	s_cbranch_execz .LBB46_9
.LBB46_12:
	s_load_b64 s[2:3], s[0:1], 0x0
	s_wait_kmcnt 0x0
	v_cmp_gt_i64_e32 vcc_lo, s[2:3], v[10:11]
	s_and_saveexec_b32 s2, vcc_lo
; %bb.13:
	s_mov_b32 s9, 0
	s_or_b32 s4, s4, exec_lo
; %bb.14:
	s_wait_alu 0xfffe
	s_or_b32 exec_lo, exec_lo, s2
	v_dual_mov_b32 v1, s8 :: v_dual_mov_b32 v2, s9
	v_dual_mov_b32 v8, v10 :: v_dual_mov_b32 v9, v11
	s_and_b32 exec_lo, exec_lo, s4
	s_cbranch_execz .LBB46_10
.LBB46_15:
	s_load_b256 s[4:11], s[0:1], 0x28
	s_delay_alu instid0(VALU_DEP_1) | instskip(SKIP_2) | instid1(VALU_DEP_2)
	v_lshlrev_b64_e32 v[10:11], 3, v[8:9]
	v_and_b32_e32 v28, 7, v0
	s_wait_kmcnt 0x0
	v_add_co_u32 v12, vcc_lo, s4, v10
	s_wait_alu 0xfffd
	s_delay_alu instid0(VALU_DEP_3)
	v_add_co_ci_u32_e64 v13, null, s5, v11, vcc_lo
	v_add_co_u32 v3, vcc_lo, s6, v10
	s_wait_alu 0xfffd
	v_add_co_ci_u32_e64 v10, null, s7, v11, vcc_lo
	global_load_b64 v[14:15], v[12:13], off
	v_add_co_u32 v12, vcc_lo, v12, 8
	s_wait_alu 0xfffd
	v_add_co_ci_u32_e64 v11, null, 0, v13, vcc_lo
	s_cmp_eq_u64 s[6:7], 0
	s_cselect_b32 vcc_lo, -1, 0
	s_wait_alu 0xfffe
	v_dual_cndmask_b32 v11, v10, v11 :: v_dual_cndmask_b32 v10, v3, v12
	global_load_b64 v[10:11], v[10:11], off
	s_clause 0x1
	s_load_b32 s3, s[0:1], 0x8
	s_load_b64 s[4:5], s[0:1], 0x48
	s_wait_kmcnt 0x0
	s_cmp_eq_u32 s3, 1
	s_wait_loadcnt 0x1
	v_sub_co_u32 v0, vcc_lo, v14, v1
	s_wait_alu 0xfffd
	v_sub_co_ci_u32_e64 v3, null, v15, v2, vcc_lo
	s_delay_alu instid0(VALU_DEP_2) | instskip(SKIP_1) | instid1(VALU_DEP_2)
	v_add_co_u32 v12, vcc_lo, v0, v28
	s_wait_alu 0xfffd
	v_add_co_ci_u32_e64 v13, null, 0, v3, vcc_lo
	s_delay_alu instid0(VALU_DEP_2) | instskip(SKIP_4) | instid1(VALU_DEP_3)
	v_mad_co_u64_u32 v[14:15], null, 0x48, v12, s[10:11]
	s_wait_loadcnt 0x0
	v_sub_co_u32 v18, vcc_lo, v10, v1
	s_wait_alu 0xfffd
	v_sub_co_ci_u32_e64 v19, null, v11, v2, vcc_lo
	v_mov_b32_e32 v0, v15
	s_delay_alu instid0(VALU_DEP_2) | instskip(NEXT) | instid1(VALU_DEP_2)
	v_cmp_lt_i64_e64 s2, v[12:13], v[18:19]
	v_mad_co_u64_u32 v[15:16], null, 0x48, v13, v[0:1]
	s_cbranch_scc1 .LBB46_21
; %bb.16:
	v_mov_b32_e32 v10, 0
	v_dual_mov_b32 v11, 0 :: v_dual_mov_b32 v16, 0
	v_dual_mov_b32 v20, 0 :: v_dual_mov_b32 v17, 0
	v_mov_b32_e32 v21, 0
	s_and_saveexec_b32 s6, s2
	s_cbranch_execz .LBB46_20
; %bb.17:
	v_lshlrev_b64_e32 v[16:17], 3, v[12:13]
	v_dual_mov_b32 v10, 0 :: v_dual_mov_b32 v23, v15
	v_dual_mov_b32 v11, 0 :: v_dual_mov_b32 v22, v14
	;; [unrolled: 1-line block ×3, first 2 shown]
	s_delay_alu instid0(VALU_DEP_4)
	v_add_co_u32 v24, vcc_lo, s8, v16
	s_wait_alu 0xfffd
	v_add_co_ci_u32_e64 v25, null, s9, v17, vcc_lo
	v_mov_b32_e32 v16, 0
	v_dual_mov_b32 v17, 0 :: v_dual_mov_b32 v20, 0
	v_mov_b32_e32 v21, 0
	s_mov_b32 s7, 0
.LBB46_18:                              ; =>This Inner Loop Header: Depth=1
	global_load_b64 v[29:30], v[24:25], off
	v_add_co_u32 v24, s3, v24, 64
	s_wait_alu 0xf1ff
	v_add_co_ci_u32_e64 v25, null, 0, v25, s3
	s_wait_loadcnt 0x0
	v_sub_co_u32 v0, vcc_lo, v29, v1
	s_wait_alu 0xfffd
	v_sub_co_ci_u32_e64 v3, null, v30, v2, vcc_lo
	global_load_b128 v[29:32], v[22:23], off offset:48
	v_mad_co_u64_u32 v[45:46], null, v0, 24, s[4:5]
	v_add_co_u32 v26, vcc_lo, v26, 8
	s_wait_alu 0xfffd
	v_add_co_ci_u32_e64 v27, null, 0, v27, vcc_lo
	s_delay_alu instid0(VALU_DEP_3) | instskip(NEXT) | instid1(VALU_DEP_1)
	v_mov_b32_e32 v0, v46
	v_mad_co_u64_u32 v[33:34], null, v3, 24, v[0:1]
	s_delay_alu instid0(VALU_DEP_1)
	v_mov_b32_e32 v46, v33
	s_clause 0x1
	global_load_b128 v[33:36], v[22:23], off offset:16
	global_load_b128 v[37:40], v[22:23], off
	s_clause 0x1
	global_load_b128 v[41:44], v[45:46], off
	global_load_b64 v[49:50], v[45:46], off offset:16
	s_clause 0x1
	global_load_b128 v[45:48], v[22:23], off offset:32
	global_load_b64 v[51:52], v[22:23], off offset:64
	v_add_co_u32 v22, vcc_lo, 0x240, v22
	s_wait_alu 0xfffd
	v_add_co_ci_u32_e64 v23, null, 0, v23, vcc_lo
	v_cmp_ge_i64_e32 vcc_lo, v[26:27], v[18:19]
	s_wait_alu 0xfffe
	s_or_b32 s7, vcc_lo, s7
	s_wait_loadcnt 0x3
	v_fma_f64 v[20:21], v[37:38], v[41:42], v[20:21]
	v_fma_f64 v[16:17], v[35:36], v[41:42], v[16:17]
	v_fma_f64 v[10:11], v[29:30], v[41:42], v[10:11]
	s_delay_alu instid0(VALU_DEP_3) | instskip(SKIP_1) | instid1(VALU_DEP_3)
	v_fma_f64 v[20:21], v[39:40], v[43:44], v[20:21]
	s_wait_loadcnt 0x1
	v_fma_f64 v[16:17], v[45:46], v[43:44], v[16:17]
	s_delay_alu instid0(VALU_DEP_3) | instskip(NEXT) | instid1(VALU_DEP_3)
	v_fma_f64 v[10:11], v[31:32], v[43:44], v[10:11]
	v_fma_f64 v[20:21], v[33:34], v[49:50], v[20:21]
	s_delay_alu instid0(VALU_DEP_3) | instskip(SKIP_1) | instid1(VALU_DEP_3)
	v_fma_f64 v[16:17], v[47:48], v[49:50], v[16:17]
	s_wait_loadcnt 0x0
	v_fma_f64 v[10:11], v[51:52], v[49:50], v[10:11]
	s_wait_alu 0xfffe
	s_and_not1_b32 exec_lo, exec_lo, s7
	s_cbranch_execnz .LBB46_18
; %bb.19:
	s_or_b32 exec_lo, exec_lo, s7
.LBB46_20:
	s_wait_alu 0xfffe
	s_or_b32 exec_lo, exec_lo, s6
	s_cbranch_execz .LBB46_22
	s_branch .LBB46_27
.LBB46_21:
                                        ; implicit-def: $vgpr10_vgpr11
                                        ; implicit-def: $vgpr16_vgpr17
                                        ; implicit-def: $vgpr20_vgpr21
.LBB46_22:
	v_mov_b32_e32 v10, 0
	v_dual_mov_b32 v11, 0 :: v_dual_mov_b32 v16, 0
	v_dual_mov_b32 v20, 0 :: v_dual_mov_b32 v17, 0
	v_mov_b32_e32 v21, 0
	s_and_saveexec_b32 s3, s2
	s_cbranch_execz .LBB46_26
; %bb.23:
	v_lshlrev_b64_e32 v[22:23], 3, v[12:13]
	v_mov_b32_e32 v10, 0
	v_dual_mov_b32 v11, 0 :: v_dual_mov_b32 v16, 0
	v_dual_mov_b32 v20, 0 :: v_dual_mov_b32 v17, 0
	s_delay_alu instid0(VALU_DEP_4)
	v_add_co_u32 v22, vcc_lo, s8, v22
	v_mov_b32_e32 v21, 0
	s_wait_alu 0xfffd
	v_add_co_ci_u32_e64 v23, null, s9, v23, vcc_lo
	s_mov_b32 s6, 0
.LBB46_24:                              ; =>This Inner Loop Header: Depth=1
	global_load_b64 v[24:25], v[22:23], off
	v_add_co_u32 v22, s2, v22, 64
	s_wait_alu 0xf1ff
	v_add_co_ci_u32_e64 v23, null, 0, v23, s2
	s_wait_loadcnt 0x0
	v_sub_co_u32 v0, vcc_lo, v24, v1
	s_wait_alu 0xfffd
	v_sub_co_ci_u32_e64 v3, null, v25, v2, vcc_lo
	v_add_co_u32 v12, vcc_lo, v12, 8
	s_delay_alu instid0(VALU_DEP_3) | instskip(SKIP_2) | instid1(VALU_DEP_2)
	v_mad_co_u64_u32 v[37:38], null, v0, 24, s[4:5]
	s_wait_alu 0xfffd
	v_add_co_ci_u32_e64 v13, null, 0, v13, vcc_lo
	v_mov_b32_e32 v0, v38
	s_delay_alu instid0(VALU_DEP_1) | instskip(NEXT) | instid1(VALU_DEP_1)
	v_mad_co_u64_u32 v[24:25], null, v3, 24, v[0:1]
	v_mov_b32_e32 v38, v24
	s_clause 0x1
	global_load_b128 v[24:27], v[14:15], off offset:16
	global_load_b128 v[29:32], v[14:15], off
	s_clause 0x1
	global_load_b128 v[33:36], v[37:38], off
	global_load_b64 v[45:46], v[37:38], off offset:16
	s_clause 0x2
	global_load_b128 v[37:40], v[14:15], off offset:32
	global_load_b128 v[41:44], v[14:15], off offset:48
	global_load_b64 v[47:48], v[14:15], off offset:64
	v_add_co_u32 v14, vcc_lo, 0x240, v14
	s_wait_alu 0xfffd
	v_add_co_ci_u32_e64 v15, null, 0, v15, vcc_lo
	v_cmp_ge_i64_e32 vcc_lo, v[12:13], v[18:19]
	s_wait_alu 0xfffe
	s_or_b32 s6, vcc_lo, s6
	s_wait_loadcnt 0x4
	v_fma_f64 v[20:21], v[29:30], v[33:34], v[20:21]
	v_fma_f64 v[16:17], v[31:32], v[33:34], v[16:17]
	;; [unrolled: 1-line block ×3, first 2 shown]
	s_delay_alu instid0(VALU_DEP_3) | instskip(SKIP_1) | instid1(VALU_DEP_3)
	v_fma_f64 v[20:21], v[26:27], v[35:36], v[20:21]
	s_wait_loadcnt 0x2
	v_fma_f64 v[16:17], v[37:38], v[35:36], v[16:17]
	s_delay_alu instid0(VALU_DEP_3) | instskip(SKIP_1) | instid1(VALU_DEP_3)
	v_fma_f64 v[10:11], v[39:40], v[35:36], v[10:11]
	s_wait_loadcnt 0x1
	v_fma_f64 v[20:21], v[41:42], v[45:46], v[20:21]
	;; [unrolled: 4-line block ×3, first 2 shown]
	s_wait_alu 0xfffe
	s_and_not1_b32 exec_lo, exec_lo, s6
	s_cbranch_execnz .LBB46_24
; %bb.25:
	s_or_b32 exec_lo, exec_lo, s6
.LBB46_26:
	s_wait_alu 0xfffe
	s_or_b32 exec_lo, exec_lo, s3
.LBB46_27:
	v_mbcnt_lo_u32_b32 v18, -1, 0
	s_delay_alu instid0(VALU_DEP_1) | instskip(NEXT) | instid1(VALU_DEP_1)
	v_xor_b32_e32 v0, 4, v18
	v_cmp_gt_i32_e32 vcc_lo, 32, v0
	s_wait_alu 0xfffd
	v_cndmask_b32_e32 v0, v18, v0, vcc_lo
	s_delay_alu instid0(VALU_DEP_1)
	v_lshlrev_b32_e32 v13, 2, v0
	ds_bpermute_b32 v0, v13, v20
	ds_bpermute_b32 v1, v13, v21
	;; [unrolled: 1-line block ×6, first 2 shown]
	s_wait_dscnt 0x4
	v_add_f64_e32 v[0:1], v[20:21], v[0:1]
	s_wait_dscnt 0x2
	v_add_f64_e32 v[2:3], v[16:17], v[2:3]
	;; [unrolled: 2-line block ×3, first 2 shown]
	v_xor_b32_e32 v10, 2, v18
	s_delay_alu instid0(VALU_DEP_1) | instskip(SKIP_2) | instid1(VALU_DEP_1)
	v_cmp_gt_i32_e32 vcc_lo, 32, v10
	s_wait_alu 0xfffd
	v_cndmask_b32_e32 v10, v18, v10, vcc_lo
	v_lshlrev_b32_e32 v17, 2, v10
	ds_bpermute_b32 v10, v17, v0
	ds_bpermute_b32 v11, v17, v1
	;; [unrolled: 1-line block ×6, first 2 shown]
	s_wait_dscnt 0x4
	v_add_f64_e32 v[10:11], v[0:1], v[10:11]
	s_wait_dscnt 0x2
	v_add_f64_e32 v[0:1], v[2:3], v[14:15]
	;; [unrolled: 2-line block ×3, first 2 shown]
	v_xor_b32_e32 v12, 1, v18
	s_delay_alu instid0(VALU_DEP_1) | instskip(SKIP_3) | instid1(VALU_DEP_2)
	v_cmp_gt_i32_e32 vcc_lo, 32, v12
	s_wait_alu 0xfffd
	v_cndmask_b32_e32 v12, v18, v12, vcc_lo
	v_cmp_eq_u32_e32 vcc_lo, 7, v28
	v_lshlrev_b32_e32 v13, 2, v12
	ds_bpermute_b32 v16, v13, v10
	ds_bpermute_b32 v17, v13, v11
	;; [unrolled: 1-line block ×6, first 2 shown]
	s_and_b32 exec_lo, exec_lo, vcc_lo
	s_cbranch_execz .LBB46_10
; %bb.28:
	s_wait_dscnt 0x4
	v_add_f64_e32 v[10:11], v[10:11], v[16:17]
	s_wait_dscnt 0x2
	v_add_f64_e32 v[14:15], v[0:1], v[14:15]
	;; [unrolled: 2-line block ×3, first 2 shown]
	s_load_b64 s[0:1], s[0:1], 0x58
	s_mov_b32 s2, exec_lo
	s_delay_alu instid0(VALU_DEP_3) | instskip(NEXT) | instid1(VALU_DEP_3)
	v_mul_f64_e32 v[0:1], v[6:7], v[10:11]
	v_mul_f64_e32 v[2:3], v[6:7], v[14:15]
	s_delay_alu instid0(VALU_DEP_3)
	v_mul_f64_e32 v[6:7], v[6:7], v[12:13]
	v_cmpx_eq_f64_e32 0, v[4:5]
	s_wait_alu 0xfffe
	s_xor_b32 s2, exec_lo, s2
	s_cbranch_execz .LBB46_30
; %bb.29:
	s_wait_kmcnt 0x0
	v_mad_co_u64_u32 v[4:5], null, v8, 24, s[0:1]
	s_delay_alu instid0(VALU_DEP_1) | instskip(NEXT) | instid1(VALU_DEP_1)
	v_mad_co_u64_u32 v[8:9], null, v9, 24, v[5:6]
	v_mov_b32_e32 v5, v8
                                        ; implicit-def: $vgpr8_vgpr9
	s_clause 0x1
	global_store_b128 v[4:5], v[0:3], off
	global_store_b64 v[4:5], v[6:7], off offset:16
                                        ; implicit-def: $vgpr4_vgpr5
                                        ; implicit-def: $vgpr0_vgpr1
                                        ; implicit-def: $vgpr6_vgpr7
.LBB46_30:
	s_wait_alu 0xfffe
	s_and_not1_saveexec_b32 s2, s2
	s_cbranch_execz .LBB46_10
; %bb.31:
	s_wait_kmcnt 0x0
	v_mad_co_u64_u32 v[12:13], null, v8, 24, s[0:1]
	s_delay_alu instid0(VALU_DEP_1) | instskip(NEXT) | instid1(VALU_DEP_1)
	v_mov_b32_e32 v8, v13
	v_mad_co_u64_u32 v[8:9], null, v9, 24, v[8:9]
	s_delay_alu instid0(VALU_DEP_1)
	v_mov_b32_e32 v13, v8
	s_clause 0x1
	global_load_b128 v[8:11], v[12:13], off
	global_load_b64 v[14:15], v[12:13], off offset:16
	s_wait_loadcnt 0x1
	v_fma_f64 v[0:1], v[4:5], v[8:9], v[0:1]
	v_fma_f64 v[2:3], v[4:5], v[10:11], v[2:3]
	s_wait_loadcnt 0x0
	v_fma_f64 v[4:5], v[4:5], v[14:15], v[6:7]
	s_clause 0x1
	global_store_b128 v[12:13], v[0:3], off
	global_store_b64 v[12:13], v[4:5], off offset:16
	s_endpgm
	.section	.rodata,"a",@progbits
	.p2align	6, 0x0
	.amdhsa_kernel _ZN9rocsparseL18bsrxmvn_3x3_kernelILj256ELj8EdlldddEEvT3_20rocsparse_direction_NS_24const_host_device_scalarIT1_EES1_PKS1_PKT2_SA_S7_PKT4_PKT5_S5_PT6_21rocsparse_index_base_b
		.amdhsa_group_segment_fixed_size 0
		.amdhsa_private_segment_fixed_size 0
		.amdhsa_kernarg_size 104
		.amdhsa_user_sgpr_count 2
		.amdhsa_user_sgpr_dispatch_ptr 0
		.amdhsa_user_sgpr_queue_ptr 0
		.amdhsa_user_sgpr_kernarg_segment_ptr 1
		.amdhsa_user_sgpr_dispatch_id 0
		.amdhsa_user_sgpr_private_segment_size 0
		.amdhsa_wavefront_size32 1
		.amdhsa_uses_dynamic_stack 0
		.amdhsa_enable_private_segment 0
		.amdhsa_system_sgpr_workgroup_id_x 1
		.amdhsa_system_sgpr_workgroup_id_y 0
		.amdhsa_system_sgpr_workgroup_id_z 0
		.amdhsa_system_sgpr_workgroup_info 0
		.amdhsa_system_vgpr_workitem_id 0
		.amdhsa_next_free_vgpr 53
		.amdhsa_next_free_sgpr 12
		.amdhsa_reserve_vcc 1
		.amdhsa_float_round_mode_32 0
		.amdhsa_float_round_mode_16_64 0
		.amdhsa_float_denorm_mode_32 3
		.amdhsa_float_denorm_mode_16_64 3
		.amdhsa_fp16_overflow 0
		.amdhsa_workgroup_processor_mode 1
		.amdhsa_memory_ordered 1
		.amdhsa_forward_progress 1
		.amdhsa_inst_pref_size 17
		.amdhsa_round_robin_scheduling 0
		.amdhsa_exception_fp_ieee_invalid_op 0
		.amdhsa_exception_fp_denorm_src 0
		.amdhsa_exception_fp_ieee_div_zero 0
		.amdhsa_exception_fp_ieee_overflow 0
		.amdhsa_exception_fp_ieee_underflow 0
		.amdhsa_exception_fp_ieee_inexact 0
		.amdhsa_exception_int_div_zero 0
	.end_amdhsa_kernel
	.section	.text._ZN9rocsparseL18bsrxmvn_3x3_kernelILj256ELj8EdlldddEEvT3_20rocsparse_direction_NS_24const_host_device_scalarIT1_EES1_PKS1_PKT2_SA_S7_PKT4_PKT5_S5_PT6_21rocsparse_index_base_b,"axG",@progbits,_ZN9rocsparseL18bsrxmvn_3x3_kernelILj256ELj8EdlldddEEvT3_20rocsparse_direction_NS_24const_host_device_scalarIT1_EES1_PKS1_PKT2_SA_S7_PKT4_PKT5_S5_PT6_21rocsparse_index_base_b,comdat
.Lfunc_end46:
	.size	_ZN9rocsparseL18bsrxmvn_3x3_kernelILj256ELj8EdlldddEEvT3_20rocsparse_direction_NS_24const_host_device_scalarIT1_EES1_PKS1_PKT2_SA_S7_PKT4_PKT5_S5_PT6_21rocsparse_index_base_b, .Lfunc_end46-_ZN9rocsparseL18bsrxmvn_3x3_kernelILj256ELj8EdlldddEEvT3_20rocsparse_direction_NS_24const_host_device_scalarIT1_EES1_PKS1_PKT2_SA_S7_PKT4_PKT5_S5_PT6_21rocsparse_index_base_b
                                        ; -- End function
	.set _ZN9rocsparseL18bsrxmvn_3x3_kernelILj256ELj8EdlldddEEvT3_20rocsparse_direction_NS_24const_host_device_scalarIT1_EES1_PKS1_PKT2_SA_S7_PKT4_PKT5_S5_PT6_21rocsparse_index_base_b.num_vgpr, 53
	.set _ZN9rocsparseL18bsrxmvn_3x3_kernelILj256ELj8EdlldddEEvT3_20rocsparse_direction_NS_24const_host_device_scalarIT1_EES1_PKS1_PKT2_SA_S7_PKT4_PKT5_S5_PT6_21rocsparse_index_base_b.num_agpr, 0
	.set _ZN9rocsparseL18bsrxmvn_3x3_kernelILj256ELj8EdlldddEEvT3_20rocsparse_direction_NS_24const_host_device_scalarIT1_EES1_PKS1_PKT2_SA_S7_PKT4_PKT5_S5_PT6_21rocsparse_index_base_b.numbered_sgpr, 12
	.set _ZN9rocsparseL18bsrxmvn_3x3_kernelILj256ELj8EdlldddEEvT3_20rocsparse_direction_NS_24const_host_device_scalarIT1_EES1_PKS1_PKT2_SA_S7_PKT4_PKT5_S5_PT6_21rocsparse_index_base_b.num_named_barrier, 0
	.set _ZN9rocsparseL18bsrxmvn_3x3_kernelILj256ELj8EdlldddEEvT3_20rocsparse_direction_NS_24const_host_device_scalarIT1_EES1_PKS1_PKT2_SA_S7_PKT4_PKT5_S5_PT6_21rocsparse_index_base_b.private_seg_size, 0
	.set _ZN9rocsparseL18bsrxmvn_3x3_kernelILj256ELj8EdlldddEEvT3_20rocsparse_direction_NS_24const_host_device_scalarIT1_EES1_PKS1_PKT2_SA_S7_PKT4_PKT5_S5_PT6_21rocsparse_index_base_b.uses_vcc, 1
	.set _ZN9rocsparseL18bsrxmvn_3x3_kernelILj256ELj8EdlldddEEvT3_20rocsparse_direction_NS_24const_host_device_scalarIT1_EES1_PKS1_PKT2_SA_S7_PKT4_PKT5_S5_PT6_21rocsparse_index_base_b.uses_flat_scratch, 0
	.set _ZN9rocsparseL18bsrxmvn_3x3_kernelILj256ELj8EdlldddEEvT3_20rocsparse_direction_NS_24const_host_device_scalarIT1_EES1_PKS1_PKT2_SA_S7_PKT4_PKT5_S5_PT6_21rocsparse_index_base_b.has_dyn_sized_stack, 0
	.set _ZN9rocsparseL18bsrxmvn_3x3_kernelILj256ELj8EdlldddEEvT3_20rocsparse_direction_NS_24const_host_device_scalarIT1_EES1_PKS1_PKT2_SA_S7_PKT4_PKT5_S5_PT6_21rocsparse_index_base_b.has_recursion, 0
	.set _ZN9rocsparseL18bsrxmvn_3x3_kernelILj256ELj8EdlldddEEvT3_20rocsparse_direction_NS_24const_host_device_scalarIT1_EES1_PKS1_PKT2_SA_S7_PKT4_PKT5_S5_PT6_21rocsparse_index_base_b.has_indirect_call, 0
	.section	.AMDGPU.csdata,"",@progbits
; Kernel info:
; codeLenInByte = 2168
; TotalNumSgprs: 14
; NumVgprs: 53
; ScratchSize: 0
; MemoryBound: 1
; FloatMode: 240
; IeeeMode: 1
; LDSByteSize: 0 bytes/workgroup (compile time only)
; SGPRBlocks: 0
; VGPRBlocks: 6
; NumSGPRsForWavesPerEU: 14
; NumVGPRsForWavesPerEU: 53
; Occupancy: 16
; WaveLimiterHint : 1
; COMPUTE_PGM_RSRC2:SCRATCH_EN: 0
; COMPUTE_PGM_RSRC2:USER_SGPR: 2
; COMPUTE_PGM_RSRC2:TRAP_HANDLER: 0
; COMPUTE_PGM_RSRC2:TGID_X_EN: 1
; COMPUTE_PGM_RSRC2:TGID_Y_EN: 0
; COMPUTE_PGM_RSRC2:TGID_Z_EN: 0
; COMPUTE_PGM_RSRC2:TIDIG_COMP_CNT: 0
	.section	.text._ZN9rocsparseL18bsrxmvn_3x3_kernelILj256ELj16EdlldddEEvT3_20rocsparse_direction_NS_24const_host_device_scalarIT1_EES1_PKS1_PKT2_SA_S7_PKT4_PKT5_S5_PT6_21rocsparse_index_base_b,"axG",@progbits,_ZN9rocsparseL18bsrxmvn_3x3_kernelILj256ELj16EdlldddEEvT3_20rocsparse_direction_NS_24const_host_device_scalarIT1_EES1_PKS1_PKT2_SA_S7_PKT4_PKT5_S5_PT6_21rocsparse_index_base_b,comdat
	.globl	_ZN9rocsparseL18bsrxmvn_3x3_kernelILj256ELj16EdlldddEEvT3_20rocsparse_direction_NS_24const_host_device_scalarIT1_EES1_PKS1_PKT2_SA_S7_PKT4_PKT5_S5_PT6_21rocsparse_index_base_b ; -- Begin function _ZN9rocsparseL18bsrxmvn_3x3_kernelILj256ELj16EdlldddEEvT3_20rocsparse_direction_NS_24const_host_device_scalarIT1_EES1_PKS1_PKT2_SA_S7_PKT4_PKT5_S5_PT6_21rocsparse_index_base_b
	.p2align	8
	.type	_ZN9rocsparseL18bsrxmvn_3x3_kernelILj256ELj16EdlldddEEvT3_20rocsparse_direction_NS_24const_host_device_scalarIT1_EES1_PKS1_PKT2_SA_S7_PKT4_PKT5_S5_PT6_21rocsparse_index_base_b,@function
_ZN9rocsparseL18bsrxmvn_3x3_kernelILj256ELj16EdlldddEEvT3_20rocsparse_direction_NS_24const_host_device_scalarIT1_EES1_PKS1_PKT2_SA_S7_PKT4_PKT5_S5_PT6_21rocsparse_index_base_b: ; @_ZN9rocsparseL18bsrxmvn_3x3_kernelILj256ELj16EdlldddEEvT3_20rocsparse_direction_NS_24const_host_device_scalarIT1_EES1_PKS1_PKT2_SA_S7_PKT4_PKT5_S5_PT6_21rocsparse_index_base_b
; %bb.0:
	s_clause 0x2
	s_load_b64 s[8:9], s[0:1], 0x60
	s_load_b128 s[4:7], s[0:1], 0x10
	s_load_b64 s[2:3], s[0:1], 0x50
	s_wait_kmcnt 0x0
	s_bitcmp1_b32 s9, 0
	v_dual_mov_b32 v7, s5 :: v_dual_mov_b32 v6, s4
	s_cselect_b32 s9, -1, 0
	s_delay_alu instid0(SALU_CYCLE_1)
	s_and_b32 vcc_lo, exec_lo, s9
	s_xor_b32 s9, s9, -1
	s_cbranch_vccnz .LBB47_2
; %bb.1:
	v_dual_mov_b32 v1, s4 :: v_dual_mov_b32 v2, s5
	flat_load_b64 v[6:7], v[1:2]
.LBB47_2:
	v_dual_mov_b32 v5, s3 :: v_dual_mov_b32 v4, s2
	s_and_not1_b32 vcc_lo, exec_lo, s9
	s_cbranch_vccnz .LBB47_4
; %bb.3:
	v_dual_mov_b32 v1, s2 :: v_dual_mov_b32 v2, s3
	flat_load_b64 v[4:5], v[1:2]
.LBB47_4:
	s_wait_loadcnt_dscnt 0x0
	v_cmp_neq_f64_e32 vcc_lo, 0, v[6:7]
	v_cmp_neq_f64_e64 s2, 1.0, v[4:5]
	s_or_b32 s2, vcc_lo, s2
	s_wait_alu 0xfffe
	s_and_saveexec_b32 s3, s2
	s_cbranch_execz .LBB47_10
; %bb.5:
	s_load_b64 s[2:3], s[0:1], 0x20
	v_lshrrev_b32_e32 v1, 4, v0
	v_mov_b32_e32 v11, 0
	s_delay_alu instid0(VALU_DEP_2)
	v_lshl_or_b32 v10, ttmp9, 4, v1
	s_wait_kmcnt 0x0
	s_cmp_lg_u64 s[2:3], 0
	s_cbranch_scc0 .LBB47_11
; %bb.6:
	s_delay_alu instid0(VALU_DEP_1)
	v_cmp_gt_i64_e32 vcc_lo, s[6:7], v[10:11]
	s_mov_b32 s5, 0
	s_mov_b32 s4, 0
                                        ; implicit-def: $vgpr8_vgpr9
                                        ; implicit-def: $vgpr1_vgpr2
	s_and_saveexec_b32 s6, vcc_lo
	s_wait_alu 0xfffe
	s_xor_b32 s6, exec_lo, s6
	s_cbranch_execz .LBB47_8
; %bb.7:
	v_lshlrev_b64_e32 v[1:2], 3, v[10:11]
	s_mov_b32 s9, 0
	s_mov_b32 s4, exec_lo
	s_delay_alu instid0(VALU_DEP_1) | instskip(NEXT) | instid1(VALU_DEP_1)
	v_add_co_u32 v1, vcc_lo, s2, v1
	v_add_co_ci_u32_e64 v2, null, s3, v2, vcc_lo
	global_load_b64 v[1:2], v[1:2], off
	s_wait_loadcnt 0x0
	v_sub_co_u32 v8, vcc_lo, v1, s8
	s_wait_alu 0xfffd
	v_subrev_co_ci_u32_e64 v9, null, 0, v2, vcc_lo
	v_dual_mov_b32 v1, s8 :: v_dual_mov_b32 v2, s9
.LBB47_8:
	s_wait_alu 0xfffe
	s_or_b32 exec_lo, exec_lo, s6
	s_delay_alu instid0(SALU_CYCLE_1)
	s_and_b32 vcc_lo, exec_lo, s5
	s_wait_alu 0xfffe
	s_cbranch_vccnz .LBB47_12
.LBB47_9:
	s_wait_alu 0xfffe
	s_and_b32 exec_lo, exec_lo, s4
	s_cbranch_execnz .LBB47_15
.LBB47_10:
	s_endpgm
.LBB47_11:
	s_mov_b32 s4, 0
                                        ; implicit-def: $vgpr8_vgpr9
                                        ; implicit-def: $vgpr1_vgpr2
	s_cbranch_execz .LBB47_9
.LBB47_12:
	s_load_b64 s[2:3], s[0:1], 0x0
	s_wait_kmcnt 0x0
	v_cmp_gt_i64_e32 vcc_lo, s[2:3], v[10:11]
	s_and_saveexec_b32 s2, vcc_lo
; %bb.13:
	s_mov_b32 s9, 0
	s_or_b32 s4, s4, exec_lo
; %bb.14:
	s_wait_alu 0xfffe
	s_or_b32 exec_lo, exec_lo, s2
	v_dual_mov_b32 v1, s8 :: v_dual_mov_b32 v2, s9
	v_dual_mov_b32 v8, v10 :: v_dual_mov_b32 v9, v11
	s_and_b32 exec_lo, exec_lo, s4
	s_cbranch_execz .LBB47_10
.LBB47_15:
	s_load_b256 s[4:11], s[0:1], 0x28
	s_delay_alu instid0(VALU_DEP_1) | instskip(SKIP_2) | instid1(VALU_DEP_2)
	v_lshlrev_b64_e32 v[10:11], 3, v[8:9]
	v_and_b32_e32 v28, 15, v0
	s_wait_kmcnt 0x0
	v_add_co_u32 v12, vcc_lo, s4, v10
	s_wait_alu 0xfffd
	s_delay_alu instid0(VALU_DEP_3)
	v_add_co_ci_u32_e64 v13, null, s5, v11, vcc_lo
	v_add_co_u32 v3, vcc_lo, s6, v10
	s_wait_alu 0xfffd
	v_add_co_ci_u32_e64 v10, null, s7, v11, vcc_lo
	global_load_b64 v[14:15], v[12:13], off
	v_add_co_u32 v12, vcc_lo, v12, 8
	s_wait_alu 0xfffd
	v_add_co_ci_u32_e64 v11, null, 0, v13, vcc_lo
	s_cmp_eq_u64 s[6:7], 0
	s_cselect_b32 vcc_lo, -1, 0
	s_wait_alu 0xfffe
	v_dual_cndmask_b32 v11, v10, v11 :: v_dual_cndmask_b32 v10, v3, v12
	global_load_b64 v[10:11], v[10:11], off
	s_clause 0x1
	s_load_b32 s3, s[0:1], 0x8
	s_load_b64 s[4:5], s[0:1], 0x48
	s_wait_kmcnt 0x0
	s_cmp_eq_u32 s3, 1
	s_wait_loadcnt 0x1
	v_sub_co_u32 v0, vcc_lo, v14, v1
	s_wait_alu 0xfffd
	v_sub_co_ci_u32_e64 v3, null, v15, v2, vcc_lo
	s_delay_alu instid0(VALU_DEP_2) | instskip(SKIP_1) | instid1(VALU_DEP_2)
	v_add_co_u32 v14, vcc_lo, v0, v28
	s_wait_alu 0xfffd
	v_add_co_ci_u32_e64 v15, null, 0, v3, vcc_lo
	s_delay_alu instid0(VALU_DEP_2) | instskip(SKIP_4) | instid1(VALU_DEP_3)
	v_mad_co_u64_u32 v[18:19], null, 0x48, v14, s[10:11]
	s_wait_loadcnt 0x0
	v_sub_co_u32 v20, vcc_lo, v10, v1
	s_wait_alu 0xfffd
	v_sub_co_ci_u32_e64 v21, null, v11, v2, vcc_lo
	v_mov_b32_e32 v0, v19
	s_delay_alu instid0(VALU_DEP_2) | instskip(NEXT) | instid1(VALU_DEP_2)
	v_cmp_lt_i64_e64 s2, v[14:15], v[20:21]
	v_mad_co_u64_u32 v[12:13], null, 0x48, v15, v[0:1]
	s_delay_alu instid0(VALU_DEP_1)
	v_mov_b32_e32 v19, v12
	s_cbranch_scc1 .LBB47_21
; %bb.16:
	v_mov_b32_e32 v10, 0
	v_dual_mov_b32 v11, 0 :: v_dual_mov_b32 v12, 0
	v_dual_mov_b32 v16, 0 :: v_dual_mov_b32 v13, 0
	v_mov_b32_e32 v17, 0
	s_and_saveexec_b32 s6, s2
	s_cbranch_execz .LBB47_20
; %bb.17:
	v_lshlrev_b64_e32 v[12:13], 3, v[14:15]
	v_dual_mov_b32 v10, 0 :: v_dual_mov_b32 v23, v19
	v_dual_mov_b32 v11, 0 :: v_dual_mov_b32 v22, v18
	;; [unrolled: 1-line block ×3, first 2 shown]
	s_delay_alu instid0(VALU_DEP_4)
	v_add_co_u32 v24, vcc_lo, s8, v12
	s_wait_alu 0xfffd
	v_add_co_ci_u32_e64 v25, null, s9, v13, vcc_lo
	v_mov_b32_e32 v12, 0
	v_dual_mov_b32 v13, 0 :: v_dual_mov_b32 v16, 0
	v_mov_b32_e32 v17, 0
	s_mov_b32 s7, 0
.LBB47_18:                              ; =>This Inner Loop Header: Depth=1
	global_load_b64 v[29:30], v[24:25], off
	v_add_co_u32 v24, s3, 0x80, v24
	s_wait_alu 0xf1ff
	v_add_co_ci_u32_e64 v25, null, 0, v25, s3
	s_wait_loadcnt 0x0
	v_sub_co_u32 v0, vcc_lo, v29, v1
	s_wait_alu 0xfffd
	v_sub_co_ci_u32_e64 v3, null, v30, v2, vcc_lo
	global_load_b128 v[29:32], v[22:23], off offset:48
	v_mad_co_u64_u32 v[45:46], null, v0, 24, s[4:5]
	v_add_co_u32 v26, vcc_lo, v26, 16
	s_wait_alu 0xfffd
	v_add_co_ci_u32_e64 v27, null, 0, v27, vcc_lo
	s_delay_alu instid0(VALU_DEP_3) | instskip(NEXT) | instid1(VALU_DEP_1)
	v_mov_b32_e32 v0, v46
	v_mad_co_u64_u32 v[33:34], null, v3, 24, v[0:1]
	s_delay_alu instid0(VALU_DEP_1)
	v_mov_b32_e32 v46, v33
	s_clause 0x1
	global_load_b128 v[33:36], v[22:23], off offset:16
	global_load_b128 v[37:40], v[22:23], off
	s_clause 0x1
	global_load_b128 v[41:44], v[45:46], off
	global_load_b64 v[49:50], v[45:46], off offset:16
	s_clause 0x1
	global_load_b128 v[45:48], v[22:23], off offset:32
	global_load_b64 v[51:52], v[22:23], off offset:64
	v_add_co_u32 v22, vcc_lo, 0x480, v22
	s_wait_alu 0xfffd
	v_add_co_ci_u32_e64 v23, null, 0, v23, vcc_lo
	v_cmp_ge_i64_e32 vcc_lo, v[26:27], v[20:21]
	s_wait_alu 0xfffe
	s_or_b32 s7, vcc_lo, s7
	s_wait_loadcnt 0x3
	v_fma_f64 v[16:17], v[37:38], v[41:42], v[16:17]
	v_fma_f64 v[12:13], v[35:36], v[41:42], v[12:13]
	;; [unrolled: 1-line block ×3, first 2 shown]
	s_delay_alu instid0(VALU_DEP_3) | instskip(SKIP_1) | instid1(VALU_DEP_3)
	v_fma_f64 v[16:17], v[39:40], v[43:44], v[16:17]
	s_wait_loadcnt 0x1
	v_fma_f64 v[12:13], v[45:46], v[43:44], v[12:13]
	s_delay_alu instid0(VALU_DEP_3) | instskip(NEXT) | instid1(VALU_DEP_3)
	v_fma_f64 v[10:11], v[31:32], v[43:44], v[10:11]
	v_fma_f64 v[16:17], v[33:34], v[49:50], v[16:17]
	s_delay_alu instid0(VALU_DEP_3) | instskip(SKIP_1) | instid1(VALU_DEP_3)
	v_fma_f64 v[12:13], v[47:48], v[49:50], v[12:13]
	s_wait_loadcnt 0x0
	v_fma_f64 v[10:11], v[51:52], v[49:50], v[10:11]
	s_wait_alu 0xfffe
	s_and_not1_b32 exec_lo, exec_lo, s7
	s_cbranch_execnz .LBB47_18
; %bb.19:
	s_or_b32 exec_lo, exec_lo, s7
.LBB47_20:
	s_wait_alu 0xfffe
	s_or_b32 exec_lo, exec_lo, s6
	s_cbranch_execz .LBB47_22
	s_branch .LBB47_27
.LBB47_21:
                                        ; implicit-def: $vgpr10_vgpr11
                                        ; implicit-def: $vgpr12_vgpr13
                                        ; implicit-def: $vgpr16_vgpr17
.LBB47_22:
	v_mov_b32_e32 v10, 0
	v_dual_mov_b32 v11, 0 :: v_dual_mov_b32 v12, 0
	v_dual_mov_b32 v16, 0 :: v_dual_mov_b32 v13, 0
	v_mov_b32_e32 v17, 0
	s_and_saveexec_b32 s3, s2
	s_cbranch_execz .LBB47_26
; %bb.23:
	v_lshlrev_b64_e32 v[22:23], 3, v[14:15]
	v_mov_b32_e32 v10, 0
	v_dual_mov_b32 v11, 0 :: v_dual_mov_b32 v12, 0
	v_dual_mov_b32 v16, 0 :: v_dual_mov_b32 v13, 0
	s_delay_alu instid0(VALU_DEP_4)
	v_add_co_u32 v22, vcc_lo, s8, v22
	v_mov_b32_e32 v17, 0
	s_wait_alu 0xfffd
	v_add_co_ci_u32_e64 v23, null, s9, v23, vcc_lo
	s_mov_b32 s6, 0
.LBB47_24:                              ; =>This Inner Loop Header: Depth=1
	global_load_b64 v[24:25], v[22:23], off
	v_add_co_u32 v22, s2, 0x80, v22
	s_wait_alu 0xf1ff
	v_add_co_ci_u32_e64 v23, null, 0, v23, s2
	s_wait_loadcnt 0x0
	v_sub_co_u32 v0, vcc_lo, v24, v1
	s_wait_alu 0xfffd
	v_sub_co_ci_u32_e64 v3, null, v25, v2, vcc_lo
	v_add_co_u32 v14, vcc_lo, v14, 16
	s_delay_alu instid0(VALU_DEP_3) | instskip(SKIP_2) | instid1(VALU_DEP_2)
	v_mad_co_u64_u32 v[37:38], null, v0, 24, s[4:5]
	s_wait_alu 0xfffd
	v_add_co_ci_u32_e64 v15, null, 0, v15, vcc_lo
	v_mov_b32_e32 v0, v38
	s_delay_alu instid0(VALU_DEP_1) | instskip(NEXT) | instid1(VALU_DEP_1)
	v_mad_co_u64_u32 v[24:25], null, v3, 24, v[0:1]
	v_mov_b32_e32 v38, v24
	s_clause 0x1
	global_load_b128 v[24:27], v[18:19], off offset:16
	global_load_b128 v[29:32], v[18:19], off
	s_clause 0x1
	global_load_b128 v[33:36], v[37:38], off
	global_load_b64 v[45:46], v[37:38], off offset:16
	s_clause 0x2
	global_load_b128 v[37:40], v[18:19], off offset:32
	global_load_b128 v[41:44], v[18:19], off offset:48
	global_load_b64 v[47:48], v[18:19], off offset:64
	v_add_co_u32 v18, vcc_lo, 0x480, v18
	s_wait_alu 0xfffd
	v_add_co_ci_u32_e64 v19, null, 0, v19, vcc_lo
	v_cmp_ge_i64_e32 vcc_lo, v[14:15], v[20:21]
	s_wait_alu 0xfffe
	s_or_b32 s6, vcc_lo, s6
	s_wait_loadcnt 0x4
	v_fma_f64 v[16:17], v[29:30], v[33:34], v[16:17]
	v_fma_f64 v[12:13], v[31:32], v[33:34], v[12:13]
	;; [unrolled: 1-line block ×3, first 2 shown]
	s_delay_alu instid0(VALU_DEP_3) | instskip(SKIP_1) | instid1(VALU_DEP_3)
	v_fma_f64 v[16:17], v[26:27], v[35:36], v[16:17]
	s_wait_loadcnt 0x2
	v_fma_f64 v[12:13], v[37:38], v[35:36], v[12:13]
	s_delay_alu instid0(VALU_DEP_3) | instskip(SKIP_1) | instid1(VALU_DEP_3)
	v_fma_f64 v[10:11], v[39:40], v[35:36], v[10:11]
	s_wait_loadcnt 0x1
	v_fma_f64 v[16:17], v[41:42], v[45:46], v[16:17]
	;; [unrolled: 4-line block ×3, first 2 shown]
	s_wait_alu 0xfffe
	s_and_not1_b32 exec_lo, exec_lo, s6
	s_cbranch_execnz .LBB47_24
; %bb.25:
	s_or_b32 exec_lo, exec_lo, s6
.LBB47_26:
	s_wait_alu 0xfffe
	s_or_b32 exec_lo, exec_lo, s3
.LBB47_27:
	v_mbcnt_lo_u32_b32 v18, -1, 0
	s_delay_alu instid0(VALU_DEP_1) | instskip(NEXT) | instid1(VALU_DEP_1)
	v_xor_b32_e32 v0, 8, v18
	v_cmp_gt_i32_e32 vcc_lo, 32, v0
	s_wait_alu 0xfffd
	v_cndmask_b32_e32 v0, v18, v0, vcc_lo
	s_delay_alu instid0(VALU_DEP_1)
	v_lshlrev_b32_e32 v15, 2, v0
	ds_bpermute_b32 v0, v15, v16
	ds_bpermute_b32 v1, v15, v17
	;; [unrolled: 1-line block ×6, first 2 shown]
	s_wait_dscnt 0x4
	v_add_f64_e32 v[0:1], v[16:17], v[0:1]
	s_wait_dscnt 0x2
	v_add_f64_e32 v[2:3], v[12:13], v[2:3]
	v_xor_b32_e32 v12, 4, v18
	s_wait_dscnt 0x0
	v_add_f64_e32 v[10:11], v[10:11], v[14:15]
	s_delay_alu instid0(VALU_DEP_2) | instskip(SKIP_2) | instid1(VALU_DEP_1)
	v_cmp_gt_i32_e32 vcc_lo, 32, v12
	s_wait_alu 0xfffd
	v_cndmask_b32_e32 v12, v18, v12, vcc_lo
	v_lshlrev_b32_e32 v17, 2, v12
	ds_bpermute_b32 v12, v17, v0
	ds_bpermute_b32 v13, v17, v1
	;; [unrolled: 1-line block ×6, first 2 shown]
	s_wait_dscnt 0x4
	v_add_f64_e32 v[0:1], v[0:1], v[12:13]
	s_wait_dscnt 0x2
	v_add_f64_e32 v[2:3], v[2:3], v[14:15]
	;; [unrolled: 2-line block ×3, first 2 shown]
	v_xor_b32_e32 v10, 2, v18
	s_delay_alu instid0(VALU_DEP_1) | instskip(SKIP_2) | instid1(VALU_DEP_1)
	v_cmp_gt_i32_e32 vcc_lo, 32, v10
	s_wait_alu 0xfffd
	v_cndmask_b32_e32 v10, v18, v10, vcc_lo
	v_lshlrev_b32_e32 v17, 2, v10
	ds_bpermute_b32 v10, v17, v0
	ds_bpermute_b32 v11, v17, v1
	;; [unrolled: 1-line block ×6, first 2 shown]
	s_wait_dscnt 0x4
	v_add_f64_e32 v[10:11], v[0:1], v[10:11]
	s_wait_dscnt 0x2
	v_add_f64_e32 v[0:1], v[2:3], v[14:15]
	s_wait_dscnt 0x0
	v_add_f64_e32 v[2:3], v[12:13], v[16:17]
	v_xor_b32_e32 v12, 1, v18
	s_delay_alu instid0(VALU_DEP_1) | instskip(SKIP_3) | instid1(VALU_DEP_2)
	v_cmp_gt_i32_e32 vcc_lo, 32, v12
	s_wait_alu 0xfffd
	v_cndmask_b32_e32 v12, v18, v12, vcc_lo
	v_cmp_eq_u32_e32 vcc_lo, 15, v28
	v_lshlrev_b32_e32 v13, 2, v12
	ds_bpermute_b32 v16, v13, v10
	ds_bpermute_b32 v17, v13, v11
	;; [unrolled: 1-line block ×6, first 2 shown]
	s_and_b32 exec_lo, exec_lo, vcc_lo
	s_cbranch_execz .LBB47_10
; %bb.28:
	s_wait_dscnt 0x4
	v_add_f64_e32 v[10:11], v[10:11], v[16:17]
	s_wait_dscnt 0x2
	v_add_f64_e32 v[14:15], v[0:1], v[14:15]
	;; [unrolled: 2-line block ×3, first 2 shown]
	s_load_b64 s[0:1], s[0:1], 0x58
	s_mov_b32 s2, exec_lo
	s_delay_alu instid0(VALU_DEP_3) | instskip(NEXT) | instid1(VALU_DEP_3)
	v_mul_f64_e32 v[0:1], v[6:7], v[10:11]
	v_mul_f64_e32 v[2:3], v[6:7], v[14:15]
	s_delay_alu instid0(VALU_DEP_3)
	v_mul_f64_e32 v[6:7], v[6:7], v[12:13]
	v_cmpx_eq_f64_e32 0, v[4:5]
	s_wait_alu 0xfffe
	s_xor_b32 s2, exec_lo, s2
	s_cbranch_execz .LBB47_30
; %bb.29:
	s_wait_kmcnt 0x0
	v_mad_co_u64_u32 v[4:5], null, v8, 24, s[0:1]
	s_delay_alu instid0(VALU_DEP_1) | instskip(NEXT) | instid1(VALU_DEP_1)
	v_mad_co_u64_u32 v[8:9], null, v9, 24, v[5:6]
	v_mov_b32_e32 v5, v8
                                        ; implicit-def: $vgpr8_vgpr9
	s_clause 0x1
	global_store_b128 v[4:5], v[0:3], off
	global_store_b64 v[4:5], v[6:7], off offset:16
                                        ; implicit-def: $vgpr4_vgpr5
                                        ; implicit-def: $vgpr0_vgpr1
                                        ; implicit-def: $vgpr6_vgpr7
.LBB47_30:
	s_wait_alu 0xfffe
	s_and_not1_saveexec_b32 s2, s2
	s_cbranch_execz .LBB47_10
; %bb.31:
	s_wait_kmcnt 0x0
	v_mad_co_u64_u32 v[12:13], null, v8, 24, s[0:1]
	s_delay_alu instid0(VALU_DEP_1) | instskip(NEXT) | instid1(VALU_DEP_1)
	v_mov_b32_e32 v8, v13
	v_mad_co_u64_u32 v[8:9], null, v9, 24, v[8:9]
	s_delay_alu instid0(VALU_DEP_1)
	v_mov_b32_e32 v13, v8
	s_clause 0x1
	global_load_b128 v[8:11], v[12:13], off
	global_load_b64 v[14:15], v[12:13], off offset:16
	s_wait_loadcnt 0x1
	v_fma_f64 v[0:1], v[4:5], v[8:9], v[0:1]
	v_fma_f64 v[2:3], v[4:5], v[10:11], v[2:3]
	s_wait_loadcnt 0x0
	v_fma_f64 v[4:5], v[4:5], v[14:15], v[6:7]
	s_clause 0x1
	global_store_b128 v[12:13], v[0:3], off
	global_store_b64 v[12:13], v[4:5], off offset:16
	s_endpgm
	.section	.rodata,"a",@progbits
	.p2align	6, 0x0
	.amdhsa_kernel _ZN9rocsparseL18bsrxmvn_3x3_kernelILj256ELj16EdlldddEEvT3_20rocsparse_direction_NS_24const_host_device_scalarIT1_EES1_PKS1_PKT2_SA_S7_PKT4_PKT5_S5_PT6_21rocsparse_index_base_b
		.amdhsa_group_segment_fixed_size 0
		.amdhsa_private_segment_fixed_size 0
		.amdhsa_kernarg_size 104
		.amdhsa_user_sgpr_count 2
		.amdhsa_user_sgpr_dispatch_ptr 0
		.amdhsa_user_sgpr_queue_ptr 0
		.amdhsa_user_sgpr_kernarg_segment_ptr 1
		.amdhsa_user_sgpr_dispatch_id 0
		.amdhsa_user_sgpr_private_segment_size 0
		.amdhsa_wavefront_size32 1
		.amdhsa_uses_dynamic_stack 0
		.amdhsa_enable_private_segment 0
		.amdhsa_system_sgpr_workgroup_id_x 1
		.amdhsa_system_sgpr_workgroup_id_y 0
		.amdhsa_system_sgpr_workgroup_id_z 0
		.amdhsa_system_sgpr_workgroup_info 0
		.amdhsa_system_vgpr_workitem_id 0
		.amdhsa_next_free_vgpr 53
		.amdhsa_next_free_sgpr 12
		.amdhsa_reserve_vcc 1
		.amdhsa_float_round_mode_32 0
		.amdhsa_float_round_mode_16_64 0
		.amdhsa_float_denorm_mode_32 3
		.amdhsa_float_denorm_mode_16_64 3
		.amdhsa_fp16_overflow 0
		.amdhsa_workgroup_processor_mode 1
		.amdhsa_memory_ordered 1
		.amdhsa_forward_progress 1
		.amdhsa_inst_pref_size 18
		.amdhsa_round_robin_scheduling 0
		.amdhsa_exception_fp_ieee_invalid_op 0
		.amdhsa_exception_fp_denorm_src 0
		.amdhsa_exception_fp_ieee_div_zero 0
		.amdhsa_exception_fp_ieee_overflow 0
		.amdhsa_exception_fp_ieee_underflow 0
		.amdhsa_exception_fp_ieee_inexact 0
		.amdhsa_exception_int_div_zero 0
	.end_amdhsa_kernel
	.section	.text._ZN9rocsparseL18bsrxmvn_3x3_kernelILj256ELj16EdlldddEEvT3_20rocsparse_direction_NS_24const_host_device_scalarIT1_EES1_PKS1_PKT2_SA_S7_PKT4_PKT5_S5_PT6_21rocsparse_index_base_b,"axG",@progbits,_ZN9rocsparseL18bsrxmvn_3x3_kernelILj256ELj16EdlldddEEvT3_20rocsparse_direction_NS_24const_host_device_scalarIT1_EES1_PKS1_PKT2_SA_S7_PKT4_PKT5_S5_PT6_21rocsparse_index_base_b,comdat
.Lfunc_end47:
	.size	_ZN9rocsparseL18bsrxmvn_3x3_kernelILj256ELj16EdlldddEEvT3_20rocsparse_direction_NS_24const_host_device_scalarIT1_EES1_PKS1_PKT2_SA_S7_PKT4_PKT5_S5_PT6_21rocsparse_index_base_b, .Lfunc_end47-_ZN9rocsparseL18bsrxmvn_3x3_kernelILj256ELj16EdlldddEEvT3_20rocsparse_direction_NS_24const_host_device_scalarIT1_EES1_PKS1_PKT2_SA_S7_PKT4_PKT5_S5_PT6_21rocsparse_index_base_b
                                        ; -- End function
	.set _ZN9rocsparseL18bsrxmvn_3x3_kernelILj256ELj16EdlldddEEvT3_20rocsparse_direction_NS_24const_host_device_scalarIT1_EES1_PKS1_PKT2_SA_S7_PKT4_PKT5_S5_PT6_21rocsparse_index_base_b.num_vgpr, 53
	.set _ZN9rocsparseL18bsrxmvn_3x3_kernelILj256ELj16EdlldddEEvT3_20rocsparse_direction_NS_24const_host_device_scalarIT1_EES1_PKS1_PKT2_SA_S7_PKT4_PKT5_S5_PT6_21rocsparse_index_base_b.num_agpr, 0
	.set _ZN9rocsparseL18bsrxmvn_3x3_kernelILj256ELj16EdlldddEEvT3_20rocsparse_direction_NS_24const_host_device_scalarIT1_EES1_PKS1_PKT2_SA_S7_PKT4_PKT5_S5_PT6_21rocsparse_index_base_b.numbered_sgpr, 12
	.set _ZN9rocsparseL18bsrxmvn_3x3_kernelILj256ELj16EdlldddEEvT3_20rocsparse_direction_NS_24const_host_device_scalarIT1_EES1_PKS1_PKT2_SA_S7_PKT4_PKT5_S5_PT6_21rocsparse_index_base_b.num_named_barrier, 0
	.set _ZN9rocsparseL18bsrxmvn_3x3_kernelILj256ELj16EdlldddEEvT3_20rocsparse_direction_NS_24const_host_device_scalarIT1_EES1_PKS1_PKT2_SA_S7_PKT4_PKT5_S5_PT6_21rocsparse_index_base_b.private_seg_size, 0
	.set _ZN9rocsparseL18bsrxmvn_3x3_kernelILj256ELj16EdlldddEEvT3_20rocsparse_direction_NS_24const_host_device_scalarIT1_EES1_PKS1_PKT2_SA_S7_PKT4_PKT5_S5_PT6_21rocsparse_index_base_b.uses_vcc, 1
	.set _ZN9rocsparseL18bsrxmvn_3x3_kernelILj256ELj16EdlldddEEvT3_20rocsparse_direction_NS_24const_host_device_scalarIT1_EES1_PKS1_PKT2_SA_S7_PKT4_PKT5_S5_PT6_21rocsparse_index_base_b.uses_flat_scratch, 0
	.set _ZN9rocsparseL18bsrxmvn_3x3_kernelILj256ELj16EdlldddEEvT3_20rocsparse_direction_NS_24const_host_device_scalarIT1_EES1_PKS1_PKT2_SA_S7_PKT4_PKT5_S5_PT6_21rocsparse_index_base_b.has_dyn_sized_stack, 0
	.set _ZN9rocsparseL18bsrxmvn_3x3_kernelILj256ELj16EdlldddEEvT3_20rocsparse_direction_NS_24const_host_device_scalarIT1_EES1_PKS1_PKT2_SA_S7_PKT4_PKT5_S5_PT6_21rocsparse_index_base_b.has_recursion, 0
	.set _ZN9rocsparseL18bsrxmvn_3x3_kernelILj256ELj16EdlldddEEvT3_20rocsparse_direction_NS_24const_host_device_scalarIT1_EES1_PKS1_PKT2_SA_S7_PKT4_PKT5_S5_PT6_21rocsparse_index_base_b.has_indirect_call, 0
	.section	.AMDGPU.csdata,"",@progbits
; Kernel info:
; codeLenInByte = 2280
; TotalNumSgprs: 14
; NumVgprs: 53
; ScratchSize: 0
; MemoryBound: 1
; FloatMode: 240
; IeeeMode: 1
; LDSByteSize: 0 bytes/workgroup (compile time only)
; SGPRBlocks: 0
; VGPRBlocks: 6
; NumSGPRsForWavesPerEU: 14
; NumVGPRsForWavesPerEU: 53
; Occupancy: 16
; WaveLimiterHint : 1
; COMPUTE_PGM_RSRC2:SCRATCH_EN: 0
; COMPUTE_PGM_RSRC2:USER_SGPR: 2
; COMPUTE_PGM_RSRC2:TRAP_HANDLER: 0
; COMPUTE_PGM_RSRC2:TGID_X_EN: 1
; COMPUTE_PGM_RSRC2:TGID_Y_EN: 0
; COMPUTE_PGM_RSRC2:TGID_Z_EN: 0
; COMPUTE_PGM_RSRC2:TIDIG_COMP_CNT: 0
	.section	.text._ZN9rocsparseL18bsrxmvn_3x3_kernelILj256ELj32EdlldddEEvT3_20rocsparse_direction_NS_24const_host_device_scalarIT1_EES1_PKS1_PKT2_SA_S7_PKT4_PKT5_S5_PT6_21rocsparse_index_base_b,"axG",@progbits,_ZN9rocsparseL18bsrxmvn_3x3_kernelILj256ELj32EdlldddEEvT3_20rocsparse_direction_NS_24const_host_device_scalarIT1_EES1_PKS1_PKT2_SA_S7_PKT4_PKT5_S5_PT6_21rocsparse_index_base_b,comdat
	.globl	_ZN9rocsparseL18bsrxmvn_3x3_kernelILj256ELj32EdlldddEEvT3_20rocsparse_direction_NS_24const_host_device_scalarIT1_EES1_PKS1_PKT2_SA_S7_PKT4_PKT5_S5_PT6_21rocsparse_index_base_b ; -- Begin function _ZN9rocsparseL18bsrxmvn_3x3_kernelILj256ELj32EdlldddEEvT3_20rocsparse_direction_NS_24const_host_device_scalarIT1_EES1_PKS1_PKT2_SA_S7_PKT4_PKT5_S5_PT6_21rocsparse_index_base_b
	.p2align	8
	.type	_ZN9rocsparseL18bsrxmvn_3x3_kernelILj256ELj32EdlldddEEvT3_20rocsparse_direction_NS_24const_host_device_scalarIT1_EES1_PKS1_PKT2_SA_S7_PKT4_PKT5_S5_PT6_21rocsparse_index_base_b,@function
_ZN9rocsparseL18bsrxmvn_3x3_kernelILj256ELj32EdlldddEEvT3_20rocsparse_direction_NS_24const_host_device_scalarIT1_EES1_PKS1_PKT2_SA_S7_PKT4_PKT5_S5_PT6_21rocsparse_index_base_b: ; @_ZN9rocsparseL18bsrxmvn_3x3_kernelILj256ELj32EdlldddEEvT3_20rocsparse_direction_NS_24const_host_device_scalarIT1_EES1_PKS1_PKT2_SA_S7_PKT4_PKT5_S5_PT6_21rocsparse_index_base_b
; %bb.0:
	s_clause 0x2
	s_load_b64 s[8:9], s[0:1], 0x60
	s_load_b128 s[4:7], s[0:1], 0x10
	s_load_b64 s[2:3], s[0:1], 0x50
	s_wait_kmcnt 0x0
	s_bitcmp1_b32 s9, 0
	v_dual_mov_b32 v7, s5 :: v_dual_mov_b32 v6, s4
	s_cselect_b32 s9, -1, 0
	s_delay_alu instid0(SALU_CYCLE_1)
	s_and_b32 vcc_lo, exec_lo, s9
	s_xor_b32 s9, s9, -1
	s_cbranch_vccnz .LBB48_2
; %bb.1:
	v_dual_mov_b32 v1, s4 :: v_dual_mov_b32 v2, s5
	flat_load_b64 v[6:7], v[1:2]
.LBB48_2:
	v_dual_mov_b32 v5, s3 :: v_dual_mov_b32 v4, s2
	s_and_not1_b32 vcc_lo, exec_lo, s9
	s_cbranch_vccnz .LBB48_4
; %bb.3:
	v_dual_mov_b32 v1, s2 :: v_dual_mov_b32 v2, s3
	flat_load_b64 v[4:5], v[1:2]
.LBB48_4:
	s_wait_loadcnt_dscnt 0x0
	v_cmp_neq_f64_e32 vcc_lo, 0, v[6:7]
	v_cmp_neq_f64_e64 s2, 1.0, v[4:5]
	s_or_b32 s2, vcc_lo, s2
	s_wait_alu 0xfffe
	s_and_saveexec_b32 s3, s2
	s_cbranch_execz .LBB48_10
; %bb.5:
	s_load_b64 s[2:3], s[0:1], 0x20
	v_lshrrev_b32_e32 v1, 5, v0
	v_mov_b32_e32 v11, 0
	s_delay_alu instid0(VALU_DEP_2)
	v_lshl_or_b32 v10, ttmp9, 3, v1
	s_wait_kmcnt 0x0
	s_cmp_lg_u64 s[2:3], 0
	s_cbranch_scc0 .LBB48_11
; %bb.6:
	s_delay_alu instid0(VALU_DEP_1)
	v_cmp_gt_i64_e32 vcc_lo, s[6:7], v[10:11]
	s_mov_b32 s5, 0
	s_mov_b32 s4, 0
                                        ; implicit-def: $vgpr8_vgpr9
                                        ; implicit-def: $vgpr1_vgpr2
	s_and_saveexec_b32 s6, vcc_lo
	s_wait_alu 0xfffe
	s_xor_b32 s6, exec_lo, s6
	s_cbranch_execz .LBB48_8
; %bb.7:
	v_lshlrev_b64_e32 v[1:2], 3, v[10:11]
	s_mov_b32 s9, 0
	s_mov_b32 s4, exec_lo
	s_delay_alu instid0(VALU_DEP_1) | instskip(NEXT) | instid1(VALU_DEP_1)
	v_add_co_u32 v1, vcc_lo, s2, v1
	v_add_co_ci_u32_e64 v2, null, s3, v2, vcc_lo
	global_load_b64 v[1:2], v[1:2], off
	s_wait_loadcnt 0x0
	v_sub_co_u32 v8, vcc_lo, v1, s8
	s_wait_alu 0xfffd
	v_subrev_co_ci_u32_e64 v9, null, 0, v2, vcc_lo
	v_dual_mov_b32 v1, s8 :: v_dual_mov_b32 v2, s9
.LBB48_8:
	s_wait_alu 0xfffe
	s_or_b32 exec_lo, exec_lo, s6
	s_delay_alu instid0(SALU_CYCLE_1)
	s_and_b32 vcc_lo, exec_lo, s5
	s_wait_alu 0xfffe
	s_cbranch_vccnz .LBB48_12
.LBB48_9:
	s_wait_alu 0xfffe
	s_and_b32 exec_lo, exec_lo, s4
	s_cbranch_execnz .LBB48_15
.LBB48_10:
	s_endpgm
.LBB48_11:
	s_mov_b32 s4, 0
                                        ; implicit-def: $vgpr8_vgpr9
                                        ; implicit-def: $vgpr1_vgpr2
	s_cbranch_execz .LBB48_9
.LBB48_12:
	s_load_b64 s[2:3], s[0:1], 0x0
	s_wait_kmcnt 0x0
	v_cmp_gt_i64_e32 vcc_lo, s[2:3], v[10:11]
	s_and_saveexec_b32 s2, vcc_lo
; %bb.13:
	s_mov_b32 s9, 0
	s_or_b32 s4, s4, exec_lo
; %bb.14:
	s_wait_alu 0xfffe
	s_or_b32 exec_lo, exec_lo, s2
	v_dual_mov_b32 v1, s8 :: v_dual_mov_b32 v2, s9
	v_dual_mov_b32 v8, v10 :: v_dual_mov_b32 v9, v11
	s_and_b32 exec_lo, exec_lo, s4
	s_cbranch_execz .LBB48_10
.LBB48_15:
	s_load_b256 s[4:11], s[0:1], 0x28
	s_delay_alu instid0(VALU_DEP_1) | instskip(SKIP_2) | instid1(VALU_DEP_2)
	v_lshlrev_b64_e32 v[10:11], 3, v[8:9]
	v_and_b32_e32 v28, 31, v0
	s_wait_kmcnt 0x0
	v_add_co_u32 v12, vcc_lo, s4, v10
	s_wait_alu 0xfffd
	s_delay_alu instid0(VALU_DEP_3)
	v_add_co_ci_u32_e64 v13, null, s5, v11, vcc_lo
	v_add_co_u32 v3, vcc_lo, s6, v10
	s_wait_alu 0xfffd
	v_add_co_ci_u32_e64 v10, null, s7, v11, vcc_lo
	global_load_b64 v[14:15], v[12:13], off
	v_add_co_u32 v12, vcc_lo, v12, 8
	s_wait_alu 0xfffd
	v_add_co_ci_u32_e64 v11, null, 0, v13, vcc_lo
	s_cmp_eq_u64 s[6:7], 0
	s_cselect_b32 vcc_lo, -1, 0
	s_wait_alu 0xfffe
	v_dual_cndmask_b32 v11, v10, v11 :: v_dual_cndmask_b32 v10, v3, v12
	global_load_b64 v[10:11], v[10:11], off
	s_clause 0x1
	s_load_b32 s3, s[0:1], 0x8
	s_load_b64 s[4:5], s[0:1], 0x48
	s_wait_kmcnt 0x0
	s_cmp_eq_u32 s3, 1
	s_wait_loadcnt 0x1
	v_sub_co_u32 v0, vcc_lo, v14, v1
	s_wait_alu 0xfffd
	v_sub_co_ci_u32_e64 v3, null, v15, v2, vcc_lo
	s_delay_alu instid0(VALU_DEP_2) | instskip(SKIP_1) | instid1(VALU_DEP_2)
	v_add_co_u32 v16, vcc_lo, v0, v28
	s_wait_alu 0xfffd
	v_add_co_ci_u32_e64 v17, null, 0, v3, vcc_lo
	s_delay_alu instid0(VALU_DEP_2) | instskip(SKIP_4) | instid1(VALU_DEP_3)
	v_mad_co_u64_u32 v[18:19], null, 0x48, v16, s[10:11]
	s_wait_loadcnt 0x0
	v_sub_co_u32 v20, vcc_lo, v10, v1
	s_wait_alu 0xfffd
	v_sub_co_ci_u32_e64 v21, null, v11, v2, vcc_lo
	v_mov_b32_e32 v0, v19
	s_delay_alu instid0(VALU_DEP_2) | instskip(NEXT) | instid1(VALU_DEP_2)
	v_cmp_lt_i64_e64 s2, v[16:17], v[20:21]
	v_mad_co_u64_u32 v[12:13], null, 0x48, v17, v[0:1]
	s_delay_alu instid0(VALU_DEP_1)
	v_mov_b32_e32 v19, v12
	s_cbranch_scc1 .LBB48_21
; %bb.16:
	v_mov_b32_e32 v10, 0
	v_dual_mov_b32 v11, 0 :: v_dual_mov_b32 v12, 0
	v_dual_mov_b32 v14, 0 :: v_dual_mov_b32 v13, 0
	v_mov_b32_e32 v15, 0
	s_and_saveexec_b32 s6, s2
	s_cbranch_execz .LBB48_20
; %bb.17:
	v_lshlrev_b64_e32 v[12:13], 3, v[16:17]
	v_dual_mov_b32 v10, 0 :: v_dual_mov_b32 v23, v19
	v_dual_mov_b32 v11, 0 :: v_dual_mov_b32 v22, v18
	;; [unrolled: 1-line block ×3, first 2 shown]
	s_delay_alu instid0(VALU_DEP_4)
	v_add_co_u32 v24, vcc_lo, s8, v12
	s_wait_alu 0xfffd
	v_add_co_ci_u32_e64 v25, null, s9, v13, vcc_lo
	v_mov_b32_e32 v12, 0
	v_dual_mov_b32 v13, 0 :: v_dual_mov_b32 v14, 0
	v_mov_b32_e32 v15, 0
	s_mov_b32 s7, 0
.LBB48_18:                              ; =>This Inner Loop Header: Depth=1
	global_load_b64 v[29:30], v[24:25], off
	v_add_co_u32 v24, s3, 0x100, v24
	s_wait_alu 0xf1ff
	v_add_co_ci_u32_e64 v25, null, 0, v25, s3
	s_wait_loadcnt 0x0
	v_sub_co_u32 v0, vcc_lo, v29, v1
	s_wait_alu 0xfffd
	v_sub_co_ci_u32_e64 v3, null, v30, v2, vcc_lo
	global_load_b128 v[29:32], v[22:23], off offset:48
	v_mad_co_u64_u32 v[45:46], null, v0, 24, s[4:5]
	v_add_co_u32 v26, vcc_lo, v26, 32
	s_wait_alu 0xfffd
	v_add_co_ci_u32_e64 v27, null, 0, v27, vcc_lo
	s_delay_alu instid0(VALU_DEP_3) | instskip(NEXT) | instid1(VALU_DEP_1)
	v_mov_b32_e32 v0, v46
	v_mad_co_u64_u32 v[33:34], null, v3, 24, v[0:1]
	s_delay_alu instid0(VALU_DEP_1)
	v_mov_b32_e32 v46, v33
	s_clause 0x1
	global_load_b128 v[33:36], v[22:23], off offset:16
	global_load_b128 v[37:40], v[22:23], off
	s_clause 0x1
	global_load_b128 v[41:44], v[45:46], off
	global_load_b64 v[49:50], v[45:46], off offset:16
	s_clause 0x1
	global_load_b128 v[45:48], v[22:23], off offset:32
	global_load_b64 v[51:52], v[22:23], off offset:64
	v_add_co_u32 v22, vcc_lo, 0x900, v22
	s_wait_alu 0xfffd
	v_add_co_ci_u32_e64 v23, null, 0, v23, vcc_lo
	v_cmp_ge_i64_e32 vcc_lo, v[26:27], v[20:21]
	s_wait_alu 0xfffe
	s_or_b32 s7, vcc_lo, s7
	s_wait_loadcnt 0x3
	v_fma_f64 v[14:15], v[37:38], v[41:42], v[14:15]
	v_fma_f64 v[12:13], v[35:36], v[41:42], v[12:13]
	;; [unrolled: 1-line block ×3, first 2 shown]
	s_delay_alu instid0(VALU_DEP_3) | instskip(SKIP_1) | instid1(VALU_DEP_3)
	v_fma_f64 v[14:15], v[39:40], v[43:44], v[14:15]
	s_wait_loadcnt 0x1
	v_fma_f64 v[12:13], v[45:46], v[43:44], v[12:13]
	s_delay_alu instid0(VALU_DEP_3) | instskip(NEXT) | instid1(VALU_DEP_3)
	v_fma_f64 v[10:11], v[31:32], v[43:44], v[10:11]
	v_fma_f64 v[14:15], v[33:34], v[49:50], v[14:15]
	s_delay_alu instid0(VALU_DEP_3) | instskip(SKIP_1) | instid1(VALU_DEP_3)
	v_fma_f64 v[12:13], v[47:48], v[49:50], v[12:13]
	s_wait_loadcnt 0x0
	v_fma_f64 v[10:11], v[51:52], v[49:50], v[10:11]
	s_wait_alu 0xfffe
	s_and_not1_b32 exec_lo, exec_lo, s7
	s_cbranch_execnz .LBB48_18
; %bb.19:
	s_or_b32 exec_lo, exec_lo, s7
.LBB48_20:
	s_wait_alu 0xfffe
	s_or_b32 exec_lo, exec_lo, s6
	s_cbranch_execz .LBB48_22
	s_branch .LBB48_27
.LBB48_21:
                                        ; implicit-def: $vgpr10_vgpr11
                                        ; implicit-def: $vgpr12_vgpr13
                                        ; implicit-def: $vgpr14_vgpr15
.LBB48_22:
	v_mov_b32_e32 v10, 0
	v_dual_mov_b32 v11, 0 :: v_dual_mov_b32 v12, 0
	v_dual_mov_b32 v14, 0 :: v_dual_mov_b32 v13, 0
	v_mov_b32_e32 v15, 0
	s_and_saveexec_b32 s3, s2
	s_cbranch_execz .LBB48_26
; %bb.23:
	v_lshlrev_b64_e32 v[22:23], 3, v[16:17]
	v_mov_b32_e32 v10, 0
	v_dual_mov_b32 v11, 0 :: v_dual_mov_b32 v12, 0
	v_dual_mov_b32 v14, 0 :: v_dual_mov_b32 v13, 0
	s_delay_alu instid0(VALU_DEP_4)
	v_add_co_u32 v22, vcc_lo, s8, v22
	v_mov_b32_e32 v15, 0
	s_wait_alu 0xfffd
	v_add_co_ci_u32_e64 v23, null, s9, v23, vcc_lo
	s_mov_b32 s6, 0
.LBB48_24:                              ; =>This Inner Loop Header: Depth=1
	global_load_b64 v[24:25], v[22:23], off
	v_add_co_u32 v22, s2, 0x100, v22
	s_wait_alu 0xf1ff
	v_add_co_ci_u32_e64 v23, null, 0, v23, s2
	s_wait_loadcnt 0x0
	v_sub_co_u32 v0, vcc_lo, v24, v1
	s_wait_alu 0xfffd
	v_sub_co_ci_u32_e64 v3, null, v25, v2, vcc_lo
	v_add_co_u32 v16, vcc_lo, v16, 32
	s_delay_alu instid0(VALU_DEP_3) | instskip(SKIP_2) | instid1(VALU_DEP_2)
	v_mad_co_u64_u32 v[37:38], null, v0, 24, s[4:5]
	s_wait_alu 0xfffd
	v_add_co_ci_u32_e64 v17, null, 0, v17, vcc_lo
	v_mov_b32_e32 v0, v38
	s_delay_alu instid0(VALU_DEP_1) | instskip(NEXT) | instid1(VALU_DEP_1)
	v_mad_co_u64_u32 v[24:25], null, v3, 24, v[0:1]
	v_mov_b32_e32 v38, v24
	s_clause 0x1
	global_load_b128 v[24:27], v[18:19], off offset:16
	global_load_b128 v[29:32], v[18:19], off
	s_clause 0x1
	global_load_b128 v[33:36], v[37:38], off
	global_load_b64 v[45:46], v[37:38], off offset:16
	s_clause 0x2
	global_load_b128 v[37:40], v[18:19], off offset:32
	global_load_b128 v[41:44], v[18:19], off offset:48
	global_load_b64 v[47:48], v[18:19], off offset:64
	v_add_co_u32 v18, vcc_lo, 0x900, v18
	s_wait_alu 0xfffd
	v_add_co_ci_u32_e64 v19, null, 0, v19, vcc_lo
	v_cmp_ge_i64_e32 vcc_lo, v[16:17], v[20:21]
	s_wait_alu 0xfffe
	s_or_b32 s6, vcc_lo, s6
	s_wait_loadcnt 0x4
	v_fma_f64 v[14:15], v[29:30], v[33:34], v[14:15]
	v_fma_f64 v[12:13], v[31:32], v[33:34], v[12:13]
	;; [unrolled: 1-line block ×3, first 2 shown]
	s_delay_alu instid0(VALU_DEP_3) | instskip(SKIP_1) | instid1(VALU_DEP_3)
	v_fma_f64 v[14:15], v[26:27], v[35:36], v[14:15]
	s_wait_loadcnt 0x2
	v_fma_f64 v[12:13], v[37:38], v[35:36], v[12:13]
	s_delay_alu instid0(VALU_DEP_3) | instskip(SKIP_1) | instid1(VALU_DEP_3)
	v_fma_f64 v[10:11], v[39:40], v[35:36], v[10:11]
	s_wait_loadcnt 0x1
	v_fma_f64 v[14:15], v[41:42], v[45:46], v[14:15]
	s_delay_alu instid0(VALU_DEP_3) | instskip(SKIP_1) | instid1(VALU_DEP_3)
	v_fma_f64 v[12:13], v[43:44], v[45:46], v[12:13]
	s_wait_loadcnt 0x0
	v_fma_f64 v[10:11], v[47:48], v[45:46], v[10:11]
	s_wait_alu 0xfffe
	s_and_not1_b32 exec_lo, exec_lo, s6
	s_cbranch_execnz .LBB48_24
; %bb.25:
	s_or_b32 exec_lo, exec_lo, s6
.LBB48_26:
	s_wait_alu 0xfffe
	s_or_b32 exec_lo, exec_lo, s3
.LBB48_27:
	v_mbcnt_lo_u32_b32 v18, -1, 0
	s_delay_alu instid0(VALU_DEP_1) | instskip(NEXT) | instid1(VALU_DEP_1)
	v_xor_b32_e32 v0, 16, v18
	v_cmp_gt_i32_e32 vcc_lo, 32, v0
	s_wait_alu 0xfffd
	v_cndmask_b32_e32 v0, v18, v0, vcc_lo
	s_delay_alu instid0(VALU_DEP_1)
	v_lshlrev_b32_e32 v17, 2, v0
	ds_bpermute_b32 v0, v17, v14
	ds_bpermute_b32 v1, v17, v15
	;; [unrolled: 1-line block ×6, first 2 shown]
	s_wait_dscnt 0x4
	v_add_f64_e32 v[0:1], v[14:15], v[0:1]
	s_wait_dscnt 0x2
	v_add_f64_e32 v[2:3], v[12:13], v[2:3]
	v_xor_b32_e32 v12, 8, v18
	s_wait_dscnt 0x0
	v_add_f64_e32 v[10:11], v[10:11], v[16:17]
	s_delay_alu instid0(VALU_DEP_2) | instskip(SKIP_2) | instid1(VALU_DEP_1)
	v_cmp_gt_i32_e32 vcc_lo, 32, v12
	s_wait_alu 0xfffd
	v_cndmask_b32_e32 v12, v18, v12, vcc_lo
	v_lshlrev_b32_e32 v17, 2, v12
	ds_bpermute_b32 v12, v17, v0
	ds_bpermute_b32 v13, v17, v1
	;; [unrolled: 1-line block ×6, first 2 shown]
	s_wait_dscnt 0x4
	v_add_f64_e32 v[0:1], v[0:1], v[12:13]
	v_xor_b32_e32 v12, 4, v18
	s_wait_dscnt 0x2
	v_add_f64_e32 v[2:3], v[2:3], v[14:15]
	s_wait_dscnt 0x0
	v_add_f64_e32 v[10:11], v[10:11], v[16:17]
	v_cmp_gt_i32_e32 vcc_lo, 32, v12
	s_wait_alu 0xfffd
	v_cndmask_b32_e32 v12, v18, v12, vcc_lo
	s_delay_alu instid0(VALU_DEP_1)
	v_lshlrev_b32_e32 v17, 2, v12
	ds_bpermute_b32 v12, v17, v0
	ds_bpermute_b32 v13, v17, v1
	;; [unrolled: 1-line block ×6, first 2 shown]
	s_wait_dscnt 0x4
	v_add_f64_e32 v[0:1], v[0:1], v[12:13]
	s_wait_dscnt 0x2
	v_add_f64_e32 v[2:3], v[2:3], v[14:15]
	;; [unrolled: 2-line block ×3, first 2 shown]
	v_xor_b32_e32 v10, 2, v18
	s_delay_alu instid0(VALU_DEP_1) | instskip(SKIP_2) | instid1(VALU_DEP_1)
	v_cmp_gt_i32_e32 vcc_lo, 32, v10
	s_wait_alu 0xfffd
	v_cndmask_b32_e32 v10, v18, v10, vcc_lo
	v_lshlrev_b32_e32 v17, 2, v10
	ds_bpermute_b32 v10, v17, v0
	ds_bpermute_b32 v11, v17, v1
	;; [unrolled: 1-line block ×6, first 2 shown]
	s_wait_dscnt 0x4
	v_add_f64_e32 v[10:11], v[0:1], v[10:11]
	s_wait_dscnt 0x2
	v_add_f64_e32 v[0:1], v[2:3], v[14:15]
	;; [unrolled: 2-line block ×3, first 2 shown]
	v_xor_b32_e32 v12, 1, v18
	s_delay_alu instid0(VALU_DEP_1) | instskip(SKIP_3) | instid1(VALU_DEP_2)
	v_cmp_gt_i32_e32 vcc_lo, 32, v12
	s_wait_alu 0xfffd
	v_cndmask_b32_e32 v12, v18, v12, vcc_lo
	v_cmp_eq_u32_e32 vcc_lo, 31, v28
	v_lshlrev_b32_e32 v13, 2, v12
	ds_bpermute_b32 v16, v13, v10
	ds_bpermute_b32 v17, v13, v11
	;; [unrolled: 1-line block ×6, first 2 shown]
	s_and_b32 exec_lo, exec_lo, vcc_lo
	s_cbranch_execz .LBB48_10
; %bb.28:
	s_wait_dscnt 0x4
	v_add_f64_e32 v[10:11], v[10:11], v[16:17]
	s_wait_dscnt 0x2
	v_add_f64_e32 v[14:15], v[0:1], v[14:15]
	;; [unrolled: 2-line block ×3, first 2 shown]
	s_load_b64 s[0:1], s[0:1], 0x58
	s_mov_b32 s2, exec_lo
	s_delay_alu instid0(VALU_DEP_3) | instskip(NEXT) | instid1(VALU_DEP_3)
	v_mul_f64_e32 v[0:1], v[6:7], v[10:11]
	v_mul_f64_e32 v[2:3], v[6:7], v[14:15]
	s_delay_alu instid0(VALU_DEP_3)
	v_mul_f64_e32 v[6:7], v[6:7], v[12:13]
	v_cmpx_eq_f64_e32 0, v[4:5]
	s_wait_alu 0xfffe
	s_xor_b32 s2, exec_lo, s2
	s_cbranch_execz .LBB48_30
; %bb.29:
	s_wait_kmcnt 0x0
	v_mad_co_u64_u32 v[4:5], null, v8, 24, s[0:1]
	s_delay_alu instid0(VALU_DEP_1) | instskip(NEXT) | instid1(VALU_DEP_1)
	v_mad_co_u64_u32 v[8:9], null, v9, 24, v[5:6]
	v_mov_b32_e32 v5, v8
                                        ; implicit-def: $vgpr8_vgpr9
	s_clause 0x1
	global_store_b128 v[4:5], v[0:3], off
	global_store_b64 v[4:5], v[6:7], off offset:16
                                        ; implicit-def: $vgpr4_vgpr5
                                        ; implicit-def: $vgpr0_vgpr1
                                        ; implicit-def: $vgpr6_vgpr7
.LBB48_30:
	s_wait_alu 0xfffe
	s_and_not1_saveexec_b32 s2, s2
	s_cbranch_execz .LBB48_10
; %bb.31:
	s_wait_kmcnt 0x0
	v_mad_co_u64_u32 v[12:13], null, v8, 24, s[0:1]
	s_delay_alu instid0(VALU_DEP_1) | instskip(NEXT) | instid1(VALU_DEP_1)
	v_mov_b32_e32 v8, v13
	v_mad_co_u64_u32 v[8:9], null, v9, 24, v[8:9]
	s_delay_alu instid0(VALU_DEP_1)
	v_mov_b32_e32 v13, v8
	s_clause 0x1
	global_load_b128 v[8:11], v[12:13], off
	global_load_b64 v[14:15], v[12:13], off offset:16
	s_wait_loadcnt 0x1
	v_fma_f64 v[0:1], v[4:5], v[8:9], v[0:1]
	v_fma_f64 v[2:3], v[4:5], v[10:11], v[2:3]
	s_wait_loadcnt 0x0
	v_fma_f64 v[4:5], v[4:5], v[14:15], v[6:7]
	s_clause 0x1
	global_store_b128 v[12:13], v[0:3], off
	global_store_b64 v[12:13], v[4:5], off offset:16
	s_endpgm
	.section	.rodata,"a",@progbits
	.p2align	6, 0x0
	.amdhsa_kernel _ZN9rocsparseL18bsrxmvn_3x3_kernelILj256ELj32EdlldddEEvT3_20rocsparse_direction_NS_24const_host_device_scalarIT1_EES1_PKS1_PKT2_SA_S7_PKT4_PKT5_S5_PT6_21rocsparse_index_base_b
		.amdhsa_group_segment_fixed_size 0
		.amdhsa_private_segment_fixed_size 0
		.amdhsa_kernarg_size 104
		.amdhsa_user_sgpr_count 2
		.amdhsa_user_sgpr_dispatch_ptr 0
		.amdhsa_user_sgpr_queue_ptr 0
		.amdhsa_user_sgpr_kernarg_segment_ptr 1
		.amdhsa_user_sgpr_dispatch_id 0
		.amdhsa_user_sgpr_private_segment_size 0
		.amdhsa_wavefront_size32 1
		.amdhsa_uses_dynamic_stack 0
		.amdhsa_enable_private_segment 0
		.amdhsa_system_sgpr_workgroup_id_x 1
		.amdhsa_system_sgpr_workgroup_id_y 0
		.amdhsa_system_sgpr_workgroup_id_z 0
		.amdhsa_system_sgpr_workgroup_info 0
		.amdhsa_system_vgpr_workitem_id 0
		.amdhsa_next_free_vgpr 53
		.amdhsa_next_free_sgpr 12
		.amdhsa_reserve_vcc 1
		.amdhsa_float_round_mode_32 0
		.amdhsa_float_round_mode_16_64 0
		.amdhsa_float_denorm_mode_32 3
		.amdhsa_float_denorm_mode_16_64 3
		.amdhsa_fp16_overflow 0
		.amdhsa_workgroup_processor_mode 1
		.amdhsa_memory_ordered 1
		.amdhsa_forward_progress 1
		.amdhsa_inst_pref_size 19
		.amdhsa_round_robin_scheduling 0
		.amdhsa_exception_fp_ieee_invalid_op 0
		.amdhsa_exception_fp_denorm_src 0
		.amdhsa_exception_fp_ieee_div_zero 0
		.amdhsa_exception_fp_ieee_overflow 0
		.amdhsa_exception_fp_ieee_underflow 0
		.amdhsa_exception_fp_ieee_inexact 0
		.amdhsa_exception_int_div_zero 0
	.end_amdhsa_kernel
	.section	.text._ZN9rocsparseL18bsrxmvn_3x3_kernelILj256ELj32EdlldddEEvT3_20rocsparse_direction_NS_24const_host_device_scalarIT1_EES1_PKS1_PKT2_SA_S7_PKT4_PKT5_S5_PT6_21rocsparse_index_base_b,"axG",@progbits,_ZN9rocsparseL18bsrxmvn_3x3_kernelILj256ELj32EdlldddEEvT3_20rocsparse_direction_NS_24const_host_device_scalarIT1_EES1_PKS1_PKT2_SA_S7_PKT4_PKT5_S5_PT6_21rocsparse_index_base_b,comdat
.Lfunc_end48:
	.size	_ZN9rocsparseL18bsrxmvn_3x3_kernelILj256ELj32EdlldddEEvT3_20rocsparse_direction_NS_24const_host_device_scalarIT1_EES1_PKS1_PKT2_SA_S7_PKT4_PKT5_S5_PT6_21rocsparse_index_base_b, .Lfunc_end48-_ZN9rocsparseL18bsrxmvn_3x3_kernelILj256ELj32EdlldddEEvT3_20rocsparse_direction_NS_24const_host_device_scalarIT1_EES1_PKS1_PKT2_SA_S7_PKT4_PKT5_S5_PT6_21rocsparse_index_base_b
                                        ; -- End function
	.set _ZN9rocsparseL18bsrxmvn_3x3_kernelILj256ELj32EdlldddEEvT3_20rocsparse_direction_NS_24const_host_device_scalarIT1_EES1_PKS1_PKT2_SA_S7_PKT4_PKT5_S5_PT6_21rocsparse_index_base_b.num_vgpr, 53
	.set _ZN9rocsparseL18bsrxmvn_3x3_kernelILj256ELj32EdlldddEEvT3_20rocsparse_direction_NS_24const_host_device_scalarIT1_EES1_PKS1_PKT2_SA_S7_PKT4_PKT5_S5_PT6_21rocsparse_index_base_b.num_agpr, 0
	.set _ZN9rocsparseL18bsrxmvn_3x3_kernelILj256ELj32EdlldddEEvT3_20rocsparse_direction_NS_24const_host_device_scalarIT1_EES1_PKS1_PKT2_SA_S7_PKT4_PKT5_S5_PT6_21rocsparse_index_base_b.numbered_sgpr, 12
	.set _ZN9rocsparseL18bsrxmvn_3x3_kernelILj256ELj32EdlldddEEvT3_20rocsparse_direction_NS_24const_host_device_scalarIT1_EES1_PKS1_PKT2_SA_S7_PKT4_PKT5_S5_PT6_21rocsparse_index_base_b.num_named_barrier, 0
	.set _ZN9rocsparseL18bsrxmvn_3x3_kernelILj256ELj32EdlldddEEvT3_20rocsparse_direction_NS_24const_host_device_scalarIT1_EES1_PKS1_PKT2_SA_S7_PKT4_PKT5_S5_PT6_21rocsparse_index_base_b.private_seg_size, 0
	.set _ZN9rocsparseL18bsrxmvn_3x3_kernelILj256ELj32EdlldddEEvT3_20rocsparse_direction_NS_24const_host_device_scalarIT1_EES1_PKS1_PKT2_SA_S7_PKT4_PKT5_S5_PT6_21rocsparse_index_base_b.uses_vcc, 1
	.set _ZN9rocsparseL18bsrxmvn_3x3_kernelILj256ELj32EdlldddEEvT3_20rocsparse_direction_NS_24const_host_device_scalarIT1_EES1_PKS1_PKT2_SA_S7_PKT4_PKT5_S5_PT6_21rocsparse_index_base_b.uses_flat_scratch, 0
	.set _ZN9rocsparseL18bsrxmvn_3x3_kernelILj256ELj32EdlldddEEvT3_20rocsparse_direction_NS_24const_host_device_scalarIT1_EES1_PKS1_PKT2_SA_S7_PKT4_PKT5_S5_PT6_21rocsparse_index_base_b.has_dyn_sized_stack, 0
	.set _ZN9rocsparseL18bsrxmvn_3x3_kernelILj256ELj32EdlldddEEvT3_20rocsparse_direction_NS_24const_host_device_scalarIT1_EES1_PKS1_PKT2_SA_S7_PKT4_PKT5_S5_PT6_21rocsparse_index_base_b.has_recursion, 0
	.set _ZN9rocsparseL18bsrxmvn_3x3_kernelILj256ELj32EdlldddEEvT3_20rocsparse_direction_NS_24const_host_device_scalarIT1_EES1_PKS1_PKT2_SA_S7_PKT4_PKT5_S5_PT6_21rocsparse_index_base_b.has_indirect_call, 0
	.section	.AMDGPU.csdata,"",@progbits
; Kernel info:
; codeLenInByte = 2376
; TotalNumSgprs: 14
; NumVgprs: 53
; ScratchSize: 0
; MemoryBound: 1
; FloatMode: 240
; IeeeMode: 1
; LDSByteSize: 0 bytes/workgroup (compile time only)
; SGPRBlocks: 0
; VGPRBlocks: 6
; NumSGPRsForWavesPerEU: 14
; NumVGPRsForWavesPerEU: 53
; Occupancy: 16
; WaveLimiterHint : 1
; COMPUTE_PGM_RSRC2:SCRATCH_EN: 0
; COMPUTE_PGM_RSRC2:USER_SGPR: 2
; COMPUTE_PGM_RSRC2:TRAP_HANDLER: 0
; COMPUTE_PGM_RSRC2:TGID_X_EN: 1
; COMPUTE_PGM_RSRC2:TGID_Y_EN: 0
; COMPUTE_PGM_RSRC2:TGID_Z_EN: 0
; COMPUTE_PGM_RSRC2:TIDIG_COMP_CNT: 0
	.section	.text._ZN9rocsparseL18bsrxmvn_3x3_kernelILj256ELj64EdlldddEEvT3_20rocsparse_direction_NS_24const_host_device_scalarIT1_EES1_PKS1_PKT2_SA_S7_PKT4_PKT5_S5_PT6_21rocsparse_index_base_b,"axG",@progbits,_ZN9rocsparseL18bsrxmvn_3x3_kernelILj256ELj64EdlldddEEvT3_20rocsparse_direction_NS_24const_host_device_scalarIT1_EES1_PKS1_PKT2_SA_S7_PKT4_PKT5_S5_PT6_21rocsparse_index_base_b,comdat
	.globl	_ZN9rocsparseL18bsrxmvn_3x3_kernelILj256ELj64EdlldddEEvT3_20rocsparse_direction_NS_24const_host_device_scalarIT1_EES1_PKS1_PKT2_SA_S7_PKT4_PKT5_S5_PT6_21rocsparse_index_base_b ; -- Begin function _ZN9rocsparseL18bsrxmvn_3x3_kernelILj256ELj64EdlldddEEvT3_20rocsparse_direction_NS_24const_host_device_scalarIT1_EES1_PKS1_PKT2_SA_S7_PKT4_PKT5_S5_PT6_21rocsparse_index_base_b
	.p2align	8
	.type	_ZN9rocsparseL18bsrxmvn_3x3_kernelILj256ELj64EdlldddEEvT3_20rocsparse_direction_NS_24const_host_device_scalarIT1_EES1_PKS1_PKT2_SA_S7_PKT4_PKT5_S5_PT6_21rocsparse_index_base_b,@function
_ZN9rocsparseL18bsrxmvn_3x3_kernelILj256ELj64EdlldddEEvT3_20rocsparse_direction_NS_24const_host_device_scalarIT1_EES1_PKS1_PKT2_SA_S7_PKT4_PKT5_S5_PT6_21rocsparse_index_base_b: ; @_ZN9rocsparseL18bsrxmvn_3x3_kernelILj256ELj64EdlldddEEvT3_20rocsparse_direction_NS_24const_host_device_scalarIT1_EES1_PKS1_PKT2_SA_S7_PKT4_PKT5_S5_PT6_21rocsparse_index_base_b
; %bb.0:
	s_clause 0x2
	s_load_b64 s[8:9], s[0:1], 0x60
	s_load_b128 s[4:7], s[0:1], 0x10
	s_load_b64 s[2:3], s[0:1], 0x50
	s_wait_kmcnt 0x0
	s_bitcmp1_b32 s9, 0
	v_dual_mov_b32 v7, s5 :: v_dual_mov_b32 v6, s4
	s_cselect_b32 s9, -1, 0
	s_delay_alu instid0(SALU_CYCLE_1)
	s_and_b32 vcc_lo, exec_lo, s9
	s_xor_b32 s9, s9, -1
	s_cbranch_vccnz .LBB49_2
; %bb.1:
	v_dual_mov_b32 v1, s4 :: v_dual_mov_b32 v2, s5
	flat_load_b64 v[6:7], v[1:2]
.LBB49_2:
	v_dual_mov_b32 v5, s3 :: v_dual_mov_b32 v4, s2
	s_and_not1_b32 vcc_lo, exec_lo, s9
	s_cbranch_vccnz .LBB49_4
; %bb.3:
	v_dual_mov_b32 v1, s2 :: v_dual_mov_b32 v2, s3
	flat_load_b64 v[4:5], v[1:2]
.LBB49_4:
	s_wait_loadcnt_dscnt 0x0
	v_cmp_neq_f64_e32 vcc_lo, 0, v[6:7]
	v_cmp_neq_f64_e64 s2, 1.0, v[4:5]
	s_or_b32 s2, vcc_lo, s2
	s_wait_alu 0xfffe
	s_and_saveexec_b32 s3, s2
	s_cbranch_execz .LBB49_10
; %bb.5:
	s_load_b64 s[2:3], s[0:1], 0x20
	v_lshrrev_b32_e32 v1, 6, v0
	v_mov_b32_e32 v11, 0
	s_delay_alu instid0(VALU_DEP_2)
	v_lshl_or_b32 v10, ttmp9, 2, v1
	s_wait_kmcnt 0x0
	s_cmp_lg_u64 s[2:3], 0
	s_cbranch_scc0 .LBB49_11
; %bb.6:
	s_delay_alu instid0(VALU_DEP_1)
	v_cmp_gt_i64_e32 vcc_lo, s[6:7], v[10:11]
	s_mov_b32 s5, 0
	s_mov_b32 s4, 0
                                        ; implicit-def: $vgpr8_vgpr9
                                        ; implicit-def: $vgpr1_vgpr2
	s_and_saveexec_b32 s6, vcc_lo
	s_wait_alu 0xfffe
	s_xor_b32 s6, exec_lo, s6
	s_cbranch_execz .LBB49_8
; %bb.7:
	v_lshlrev_b64_e32 v[1:2], 3, v[10:11]
	s_mov_b32 s9, 0
	s_mov_b32 s4, exec_lo
	s_delay_alu instid0(VALU_DEP_1) | instskip(NEXT) | instid1(VALU_DEP_1)
	v_add_co_u32 v1, vcc_lo, s2, v1
	v_add_co_ci_u32_e64 v2, null, s3, v2, vcc_lo
	global_load_b64 v[1:2], v[1:2], off
	s_wait_loadcnt 0x0
	v_sub_co_u32 v8, vcc_lo, v1, s8
	s_wait_alu 0xfffd
	v_subrev_co_ci_u32_e64 v9, null, 0, v2, vcc_lo
	v_dual_mov_b32 v1, s8 :: v_dual_mov_b32 v2, s9
.LBB49_8:
	s_wait_alu 0xfffe
	s_or_b32 exec_lo, exec_lo, s6
	s_delay_alu instid0(SALU_CYCLE_1)
	s_and_b32 vcc_lo, exec_lo, s5
	s_wait_alu 0xfffe
	s_cbranch_vccnz .LBB49_12
.LBB49_9:
	s_wait_alu 0xfffe
	s_and_b32 exec_lo, exec_lo, s4
	s_cbranch_execnz .LBB49_15
.LBB49_10:
	s_endpgm
.LBB49_11:
	s_mov_b32 s4, 0
                                        ; implicit-def: $vgpr8_vgpr9
                                        ; implicit-def: $vgpr1_vgpr2
	s_cbranch_execz .LBB49_9
.LBB49_12:
	s_load_b64 s[2:3], s[0:1], 0x0
	s_wait_kmcnt 0x0
	v_cmp_gt_i64_e32 vcc_lo, s[2:3], v[10:11]
	s_and_saveexec_b32 s2, vcc_lo
; %bb.13:
	s_mov_b32 s9, 0
	s_or_b32 s4, s4, exec_lo
; %bb.14:
	s_wait_alu 0xfffe
	s_or_b32 exec_lo, exec_lo, s2
	v_dual_mov_b32 v1, s8 :: v_dual_mov_b32 v2, s9
	v_dual_mov_b32 v8, v10 :: v_dual_mov_b32 v9, v11
	s_and_b32 exec_lo, exec_lo, s4
	s_cbranch_execz .LBB49_10
.LBB49_15:
	s_load_b256 s[4:11], s[0:1], 0x28
	s_delay_alu instid0(VALU_DEP_1) | instskip(SKIP_2) | instid1(VALU_DEP_2)
	v_lshlrev_b64_e32 v[10:11], 3, v[8:9]
	v_and_b32_e32 v28, 63, v0
	s_wait_kmcnt 0x0
	v_add_co_u32 v12, vcc_lo, s4, v10
	s_wait_alu 0xfffd
	s_delay_alu instid0(VALU_DEP_3)
	v_add_co_ci_u32_e64 v13, null, s5, v11, vcc_lo
	v_add_co_u32 v3, vcc_lo, s6, v10
	s_wait_alu 0xfffd
	v_add_co_ci_u32_e64 v10, null, s7, v11, vcc_lo
	global_load_b64 v[14:15], v[12:13], off
	v_add_co_u32 v12, vcc_lo, v12, 8
	s_wait_alu 0xfffd
	v_add_co_ci_u32_e64 v11, null, 0, v13, vcc_lo
	s_cmp_eq_u64 s[6:7], 0
	s_cselect_b32 vcc_lo, -1, 0
	s_wait_alu 0xfffe
	v_dual_cndmask_b32 v11, v10, v11 :: v_dual_cndmask_b32 v10, v3, v12
	global_load_b64 v[10:11], v[10:11], off
	s_clause 0x1
	s_load_b32 s3, s[0:1], 0x8
	s_load_b64 s[4:5], s[0:1], 0x48
	s_wait_kmcnt 0x0
	s_cmp_eq_u32 s3, 1
	s_wait_loadcnt 0x1
	v_sub_co_u32 v0, vcc_lo, v14, v1
	s_wait_alu 0xfffd
	v_sub_co_ci_u32_e64 v3, null, v15, v2, vcc_lo
	s_delay_alu instid0(VALU_DEP_2) | instskip(SKIP_1) | instid1(VALU_DEP_2)
	v_add_co_u32 v16, vcc_lo, v0, v28
	s_wait_alu 0xfffd
	v_add_co_ci_u32_e64 v17, null, 0, v3, vcc_lo
	s_delay_alu instid0(VALU_DEP_2) | instskip(SKIP_4) | instid1(VALU_DEP_3)
	v_mad_co_u64_u32 v[18:19], null, 0x48, v16, s[10:11]
	s_wait_loadcnt 0x0
	v_sub_co_u32 v20, vcc_lo, v10, v1
	s_wait_alu 0xfffd
	v_sub_co_ci_u32_e64 v21, null, v11, v2, vcc_lo
	v_mov_b32_e32 v0, v19
	s_delay_alu instid0(VALU_DEP_2) | instskip(NEXT) | instid1(VALU_DEP_2)
	v_cmp_lt_i64_e64 s2, v[16:17], v[20:21]
	v_mad_co_u64_u32 v[12:13], null, 0x48, v17, v[0:1]
	s_delay_alu instid0(VALU_DEP_1)
	v_mov_b32_e32 v19, v12
	s_cbranch_scc1 .LBB49_21
; %bb.16:
	v_mov_b32_e32 v10, 0
	v_dual_mov_b32 v11, 0 :: v_dual_mov_b32 v12, 0
	v_dual_mov_b32 v14, 0 :: v_dual_mov_b32 v13, 0
	v_mov_b32_e32 v15, 0
	s_and_saveexec_b32 s6, s2
	s_cbranch_execz .LBB49_20
; %bb.17:
	v_lshlrev_b64_e32 v[12:13], 3, v[16:17]
	v_dual_mov_b32 v10, 0 :: v_dual_mov_b32 v23, v19
	v_dual_mov_b32 v11, 0 :: v_dual_mov_b32 v22, v18
	;; [unrolled: 1-line block ×3, first 2 shown]
	s_delay_alu instid0(VALU_DEP_4)
	v_add_co_u32 v24, vcc_lo, s8, v12
	s_wait_alu 0xfffd
	v_add_co_ci_u32_e64 v25, null, s9, v13, vcc_lo
	v_mov_b32_e32 v12, 0
	v_dual_mov_b32 v13, 0 :: v_dual_mov_b32 v14, 0
	v_mov_b32_e32 v15, 0
	s_mov_b32 s7, 0
.LBB49_18:                              ; =>This Inner Loop Header: Depth=1
	global_load_b64 v[29:30], v[24:25], off
	v_add_co_u32 v24, s3, 0x200, v24
	s_wait_alu 0xf1ff
	v_add_co_ci_u32_e64 v25, null, 0, v25, s3
	s_wait_loadcnt 0x0
	v_sub_co_u32 v0, vcc_lo, v29, v1
	s_wait_alu 0xfffd
	v_sub_co_ci_u32_e64 v3, null, v30, v2, vcc_lo
	global_load_b128 v[29:32], v[22:23], off offset:48
	v_mad_co_u64_u32 v[45:46], null, v0, 24, s[4:5]
	v_add_co_u32 v26, vcc_lo, v26, 64
	s_wait_alu 0xfffd
	v_add_co_ci_u32_e64 v27, null, 0, v27, vcc_lo
	s_delay_alu instid0(VALU_DEP_3) | instskip(NEXT) | instid1(VALU_DEP_1)
	v_mov_b32_e32 v0, v46
	v_mad_co_u64_u32 v[33:34], null, v3, 24, v[0:1]
	s_delay_alu instid0(VALU_DEP_1)
	v_mov_b32_e32 v46, v33
	s_clause 0x1
	global_load_b128 v[33:36], v[22:23], off offset:16
	global_load_b128 v[37:40], v[22:23], off
	s_clause 0x1
	global_load_b128 v[41:44], v[45:46], off
	global_load_b64 v[49:50], v[45:46], off offset:16
	s_clause 0x1
	global_load_b128 v[45:48], v[22:23], off offset:32
	global_load_b64 v[51:52], v[22:23], off offset:64
	v_add_co_u32 v22, vcc_lo, 0x1200, v22
	s_wait_alu 0xfffd
	v_add_co_ci_u32_e64 v23, null, 0, v23, vcc_lo
	v_cmp_ge_i64_e32 vcc_lo, v[26:27], v[20:21]
	s_wait_alu 0xfffe
	s_or_b32 s7, vcc_lo, s7
	s_wait_loadcnt 0x3
	v_fma_f64 v[14:15], v[37:38], v[41:42], v[14:15]
	v_fma_f64 v[12:13], v[35:36], v[41:42], v[12:13]
	;; [unrolled: 1-line block ×3, first 2 shown]
	s_delay_alu instid0(VALU_DEP_3) | instskip(SKIP_1) | instid1(VALU_DEP_3)
	v_fma_f64 v[14:15], v[39:40], v[43:44], v[14:15]
	s_wait_loadcnt 0x1
	v_fma_f64 v[12:13], v[45:46], v[43:44], v[12:13]
	s_delay_alu instid0(VALU_DEP_3) | instskip(NEXT) | instid1(VALU_DEP_3)
	v_fma_f64 v[10:11], v[31:32], v[43:44], v[10:11]
	v_fma_f64 v[14:15], v[33:34], v[49:50], v[14:15]
	s_delay_alu instid0(VALU_DEP_3) | instskip(SKIP_1) | instid1(VALU_DEP_3)
	v_fma_f64 v[12:13], v[47:48], v[49:50], v[12:13]
	s_wait_loadcnt 0x0
	v_fma_f64 v[10:11], v[51:52], v[49:50], v[10:11]
	s_wait_alu 0xfffe
	s_and_not1_b32 exec_lo, exec_lo, s7
	s_cbranch_execnz .LBB49_18
; %bb.19:
	s_or_b32 exec_lo, exec_lo, s7
.LBB49_20:
	s_wait_alu 0xfffe
	s_or_b32 exec_lo, exec_lo, s6
	s_cbranch_execz .LBB49_22
	s_branch .LBB49_27
.LBB49_21:
                                        ; implicit-def: $vgpr10_vgpr11
                                        ; implicit-def: $vgpr12_vgpr13
                                        ; implicit-def: $vgpr14_vgpr15
.LBB49_22:
	v_mov_b32_e32 v10, 0
	v_dual_mov_b32 v11, 0 :: v_dual_mov_b32 v12, 0
	v_dual_mov_b32 v14, 0 :: v_dual_mov_b32 v13, 0
	v_mov_b32_e32 v15, 0
	s_and_saveexec_b32 s3, s2
	s_cbranch_execz .LBB49_26
; %bb.23:
	v_lshlrev_b64_e32 v[22:23], 3, v[16:17]
	v_mov_b32_e32 v10, 0
	v_dual_mov_b32 v11, 0 :: v_dual_mov_b32 v12, 0
	v_dual_mov_b32 v14, 0 :: v_dual_mov_b32 v13, 0
	s_delay_alu instid0(VALU_DEP_4)
	v_add_co_u32 v22, vcc_lo, s8, v22
	v_mov_b32_e32 v15, 0
	s_wait_alu 0xfffd
	v_add_co_ci_u32_e64 v23, null, s9, v23, vcc_lo
	s_mov_b32 s6, 0
.LBB49_24:                              ; =>This Inner Loop Header: Depth=1
	global_load_b64 v[24:25], v[22:23], off
	v_add_co_u32 v22, s2, 0x200, v22
	s_wait_alu 0xf1ff
	v_add_co_ci_u32_e64 v23, null, 0, v23, s2
	s_wait_loadcnt 0x0
	v_sub_co_u32 v0, vcc_lo, v24, v1
	s_wait_alu 0xfffd
	v_sub_co_ci_u32_e64 v3, null, v25, v2, vcc_lo
	v_add_co_u32 v16, vcc_lo, v16, 64
	s_delay_alu instid0(VALU_DEP_3) | instskip(SKIP_2) | instid1(VALU_DEP_2)
	v_mad_co_u64_u32 v[37:38], null, v0, 24, s[4:5]
	s_wait_alu 0xfffd
	v_add_co_ci_u32_e64 v17, null, 0, v17, vcc_lo
	v_mov_b32_e32 v0, v38
	s_delay_alu instid0(VALU_DEP_1) | instskip(NEXT) | instid1(VALU_DEP_1)
	v_mad_co_u64_u32 v[24:25], null, v3, 24, v[0:1]
	v_mov_b32_e32 v38, v24
	s_clause 0x1
	global_load_b128 v[24:27], v[18:19], off offset:16
	global_load_b128 v[29:32], v[18:19], off
	s_clause 0x1
	global_load_b128 v[33:36], v[37:38], off
	global_load_b64 v[45:46], v[37:38], off offset:16
	s_clause 0x2
	global_load_b128 v[37:40], v[18:19], off offset:32
	global_load_b128 v[41:44], v[18:19], off offset:48
	global_load_b64 v[47:48], v[18:19], off offset:64
	v_add_co_u32 v18, vcc_lo, 0x1200, v18
	s_wait_alu 0xfffd
	v_add_co_ci_u32_e64 v19, null, 0, v19, vcc_lo
	v_cmp_ge_i64_e32 vcc_lo, v[16:17], v[20:21]
	s_wait_alu 0xfffe
	s_or_b32 s6, vcc_lo, s6
	s_wait_loadcnt 0x4
	v_fma_f64 v[14:15], v[29:30], v[33:34], v[14:15]
	v_fma_f64 v[12:13], v[31:32], v[33:34], v[12:13]
	;; [unrolled: 1-line block ×3, first 2 shown]
	s_delay_alu instid0(VALU_DEP_3) | instskip(SKIP_1) | instid1(VALU_DEP_3)
	v_fma_f64 v[14:15], v[26:27], v[35:36], v[14:15]
	s_wait_loadcnt 0x2
	v_fma_f64 v[12:13], v[37:38], v[35:36], v[12:13]
	s_delay_alu instid0(VALU_DEP_3) | instskip(SKIP_1) | instid1(VALU_DEP_3)
	v_fma_f64 v[10:11], v[39:40], v[35:36], v[10:11]
	s_wait_loadcnt 0x1
	v_fma_f64 v[14:15], v[41:42], v[45:46], v[14:15]
	;; [unrolled: 4-line block ×3, first 2 shown]
	s_wait_alu 0xfffe
	s_and_not1_b32 exec_lo, exec_lo, s6
	s_cbranch_execnz .LBB49_24
; %bb.25:
	s_or_b32 exec_lo, exec_lo, s6
.LBB49_26:
	s_wait_alu 0xfffe
	s_or_b32 exec_lo, exec_lo, s3
.LBB49_27:
	v_mbcnt_lo_u32_b32 v18, -1, 0
	s_delay_alu instid0(VALU_DEP_1) | instskip(NEXT) | instid1(VALU_DEP_1)
	v_or_b32_e32 v0, 32, v18
	v_cmp_gt_i32_e32 vcc_lo, 32, v0
	s_wait_alu 0xfffd
	v_cndmask_b32_e32 v0, v18, v0, vcc_lo
	s_delay_alu instid0(VALU_DEP_1)
	v_lshlrev_b32_e32 v17, 2, v0
	ds_bpermute_b32 v0, v17, v14
	ds_bpermute_b32 v1, v17, v15
	;; [unrolled: 1-line block ×6, first 2 shown]
	s_wait_dscnt 0x4
	v_add_f64_e32 v[0:1], v[14:15], v[0:1]
	s_wait_dscnt 0x2
	v_add_f64_e32 v[2:3], v[12:13], v[2:3]
	v_xor_b32_e32 v12, 16, v18
	s_wait_dscnt 0x0
	v_add_f64_e32 v[10:11], v[10:11], v[16:17]
	s_delay_alu instid0(VALU_DEP_2) | instskip(SKIP_2) | instid1(VALU_DEP_1)
	v_cmp_gt_i32_e32 vcc_lo, 32, v12
	s_wait_alu 0xfffd
	v_cndmask_b32_e32 v12, v18, v12, vcc_lo
	v_lshlrev_b32_e32 v17, 2, v12
	ds_bpermute_b32 v12, v17, v0
	ds_bpermute_b32 v13, v17, v1
	;; [unrolled: 1-line block ×6, first 2 shown]
	s_wait_dscnt 0x4
	v_add_f64_e32 v[0:1], v[0:1], v[12:13]
	v_xor_b32_e32 v12, 8, v18
	s_wait_dscnt 0x2
	v_add_f64_e32 v[2:3], v[2:3], v[14:15]
	s_wait_dscnt 0x0
	v_add_f64_e32 v[10:11], v[10:11], v[16:17]
	v_cmp_gt_i32_e32 vcc_lo, 32, v12
	s_wait_alu 0xfffd
	v_cndmask_b32_e32 v12, v18, v12, vcc_lo
	s_delay_alu instid0(VALU_DEP_1)
	v_lshlrev_b32_e32 v17, 2, v12
	ds_bpermute_b32 v12, v17, v0
	ds_bpermute_b32 v13, v17, v1
	;; [unrolled: 1-line block ×6, first 2 shown]
	s_wait_dscnt 0x4
	v_add_f64_e32 v[0:1], v[0:1], v[12:13]
	v_xor_b32_e32 v12, 4, v18
	s_wait_dscnt 0x2
	v_add_f64_e32 v[2:3], v[2:3], v[14:15]
	s_wait_dscnt 0x0
	v_add_f64_e32 v[10:11], v[10:11], v[16:17]
	v_cmp_gt_i32_e32 vcc_lo, 32, v12
	s_wait_alu 0xfffd
	v_cndmask_b32_e32 v12, v18, v12, vcc_lo
	s_delay_alu instid0(VALU_DEP_1)
	v_lshlrev_b32_e32 v17, 2, v12
	ds_bpermute_b32 v12, v17, v0
	ds_bpermute_b32 v13, v17, v1
	;; [unrolled: 1-line block ×6, first 2 shown]
	s_wait_dscnt 0x4
	v_add_f64_e32 v[0:1], v[0:1], v[12:13]
	s_wait_dscnt 0x2
	v_add_f64_e32 v[2:3], v[2:3], v[14:15]
	s_wait_dscnt 0x0
	v_add_f64_e32 v[12:13], v[10:11], v[16:17]
	v_xor_b32_e32 v10, 2, v18
	s_delay_alu instid0(VALU_DEP_1) | instskip(SKIP_2) | instid1(VALU_DEP_1)
	v_cmp_gt_i32_e32 vcc_lo, 32, v10
	s_wait_alu 0xfffd
	v_cndmask_b32_e32 v10, v18, v10, vcc_lo
	v_lshlrev_b32_e32 v17, 2, v10
	ds_bpermute_b32 v10, v17, v0
	ds_bpermute_b32 v11, v17, v1
	;; [unrolled: 1-line block ×6, first 2 shown]
	s_wait_dscnt 0x4
	v_add_f64_e32 v[10:11], v[0:1], v[10:11]
	s_wait_dscnt 0x2
	v_add_f64_e32 v[0:1], v[2:3], v[14:15]
	;; [unrolled: 2-line block ×3, first 2 shown]
	v_xor_b32_e32 v12, 1, v18
	s_delay_alu instid0(VALU_DEP_1) | instskip(SKIP_3) | instid1(VALU_DEP_2)
	v_cmp_gt_i32_e32 vcc_lo, 32, v12
	s_wait_alu 0xfffd
	v_cndmask_b32_e32 v12, v18, v12, vcc_lo
	v_cmp_eq_u32_e32 vcc_lo, 63, v28
	v_lshlrev_b32_e32 v13, 2, v12
	ds_bpermute_b32 v16, v13, v10
	ds_bpermute_b32 v17, v13, v11
	;; [unrolled: 1-line block ×6, first 2 shown]
	s_and_b32 exec_lo, exec_lo, vcc_lo
	s_cbranch_execz .LBB49_10
; %bb.28:
	s_wait_dscnt 0x4
	v_add_f64_e32 v[10:11], v[10:11], v[16:17]
	s_wait_dscnt 0x2
	v_add_f64_e32 v[14:15], v[0:1], v[14:15]
	;; [unrolled: 2-line block ×3, first 2 shown]
	s_load_b64 s[0:1], s[0:1], 0x58
	s_mov_b32 s2, exec_lo
	s_delay_alu instid0(VALU_DEP_3) | instskip(NEXT) | instid1(VALU_DEP_3)
	v_mul_f64_e32 v[0:1], v[6:7], v[10:11]
	v_mul_f64_e32 v[2:3], v[6:7], v[14:15]
	s_delay_alu instid0(VALU_DEP_3)
	v_mul_f64_e32 v[6:7], v[6:7], v[12:13]
	v_cmpx_eq_f64_e32 0, v[4:5]
	s_wait_alu 0xfffe
	s_xor_b32 s2, exec_lo, s2
	s_cbranch_execz .LBB49_30
; %bb.29:
	s_wait_kmcnt 0x0
	v_mad_co_u64_u32 v[4:5], null, v8, 24, s[0:1]
	s_delay_alu instid0(VALU_DEP_1) | instskip(NEXT) | instid1(VALU_DEP_1)
	v_mad_co_u64_u32 v[8:9], null, v9, 24, v[5:6]
	v_mov_b32_e32 v5, v8
                                        ; implicit-def: $vgpr8_vgpr9
	s_clause 0x1
	global_store_b128 v[4:5], v[0:3], off
	global_store_b64 v[4:5], v[6:7], off offset:16
                                        ; implicit-def: $vgpr4_vgpr5
                                        ; implicit-def: $vgpr0_vgpr1
                                        ; implicit-def: $vgpr6_vgpr7
.LBB49_30:
	s_wait_alu 0xfffe
	s_and_not1_saveexec_b32 s2, s2
	s_cbranch_execz .LBB49_10
; %bb.31:
	s_wait_kmcnt 0x0
	v_mad_co_u64_u32 v[12:13], null, v8, 24, s[0:1]
	s_delay_alu instid0(VALU_DEP_1) | instskip(NEXT) | instid1(VALU_DEP_1)
	v_mov_b32_e32 v8, v13
	v_mad_co_u64_u32 v[8:9], null, v9, 24, v[8:9]
	s_delay_alu instid0(VALU_DEP_1)
	v_mov_b32_e32 v13, v8
	s_clause 0x1
	global_load_b128 v[8:11], v[12:13], off
	global_load_b64 v[14:15], v[12:13], off offset:16
	s_wait_loadcnt 0x1
	v_fma_f64 v[0:1], v[4:5], v[8:9], v[0:1]
	v_fma_f64 v[2:3], v[4:5], v[10:11], v[2:3]
	s_wait_loadcnt 0x0
	v_fma_f64 v[4:5], v[4:5], v[14:15], v[6:7]
	s_clause 0x1
	global_store_b128 v[12:13], v[0:3], off
	global_store_b64 v[12:13], v[4:5], off offset:16
	s_endpgm
	.section	.rodata,"a",@progbits
	.p2align	6, 0x0
	.amdhsa_kernel _ZN9rocsparseL18bsrxmvn_3x3_kernelILj256ELj64EdlldddEEvT3_20rocsparse_direction_NS_24const_host_device_scalarIT1_EES1_PKS1_PKT2_SA_S7_PKT4_PKT5_S5_PT6_21rocsparse_index_base_b
		.amdhsa_group_segment_fixed_size 0
		.amdhsa_private_segment_fixed_size 0
		.amdhsa_kernarg_size 104
		.amdhsa_user_sgpr_count 2
		.amdhsa_user_sgpr_dispatch_ptr 0
		.amdhsa_user_sgpr_queue_ptr 0
		.amdhsa_user_sgpr_kernarg_segment_ptr 1
		.amdhsa_user_sgpr_dispatch_id 0
		.amdhsa_user_sgpr_private_segment_size 0
		.amdhsa_wavefront_size32 1
		.amdhsa_uses_dynamic_stack 0
		.amdhsa_enable_private_segment 0
		.amdhsa_system_sgpr_workgroup_id_x 1
		.amdhsa_system_sgpr_workgroup_id_y 0
		.amdhsa_system_sgpr_workgroup_id_z 0
		.amdhsa_system_sgpr_workgroup_info 0
		.amdhsa_system_vgpr_workitem_id 0
		.amdhsa_next_free_vgpr 53
		.amdhsa_next_free_sgpr 12
		.amdhsa_reserve_vcc 1
		.amdhsa_float_round_mode_32 0
		.amdhsa_float_round_mode_16_64 0
		.amdhsa_float_denorm_mode_32 3
		.amdhsa_float_denorm_mode_16_64 3
		.amdhsa_fp16_overflow 0
		.amdhsa_workgroup_processor_mode 1
		.amdhsa_memory_ordered 1
		.amdhsa_forward_progress 1
		.amdhsa_inst_pref_size 20
		.amdhsa_round_robin_scheduling 0
		.amdhsa_exception_fp_ieee_invalid_op 0
		.amdhsa_exception_fp_denorm_src 0
		.amdhsa_exception_fp_ieee_div_zero 0
		.amdhsa_exception_fp_ieee_overflow 0
		.amdhsa_exception_fp_ieee_underflow 0
		.amdhsa_exception_fp_ieee_inexact 0
		.amdhsa_exception_int_div_zero 0
	.end_amdhsa_kernel
	.section	.text._ZN9rocsparseL18bsrxmvn_3x3_kernelILj256ELj64EdlldddEEvT3_20rocsparse_direction_NS_24const_host_device_scalarIT1_EES1_PKS1_PKT2_SA_S7_PKT4_PKT5_S5_PT6_21rocsparse_index_base_b,"axG",@progbits,_ZN9rocsparseL18bsrxmvn_3x3_kernelILj256ELj64EdlldddEEvT3_20rocsparse_direction_NS_24const_host_device_scalarIT1_EES1_PKS1_PKT2_SA_S7_PKT4_PKT5_S5_PT6_21rocsparse_index_base_b,comdat
.Lfunc_end49:
	.size	_ZN9rocsparseL18bsrxmvn_3x3_kernelILj256ELj64EdlldddEEvT3_20rocsparse_direction_NS_24const_host_device_scalarIT1_EES1_PKS1_PKT2_SA_S7_PKT4_PKT5_S5_PT6_21rocsparse_index_base_b, .Lfunc_end49-_ZN9rocsparseL18bsrxmvn_3x3_kernelILj256ELj64EdlldddEEvT3_20rocsparse_direction_NS_24const_host_device_scalarIT1_EES1_PKS1_PKT2_SA_S7_PKT4_PKT5_S5_PT6_21rocsparse_index_base_b
                                        ; -- End function
	.set _ZN9rocsparseL18bsrxmvn_3x3_kernelILj256ELj64EdlldddEEvT3_20rocsparse_direction_NS_24const_host_device_scalarIT1_EES1_PKS1_PKT2_SA_S7_PKT4_PKT5_S5_PT6_21rocsparse_index_base_b.num_vgpr, 53
	.set _ZN9rocsparseL18bsrxmvn_3x3_kernelILj256ELj64EdlldddEEvT3_20rocsparse_direction_NS_24const_host_device_scalarIT1_EES1_PKS1_PKT2_SA_S7_PKT4_PKT5_S5_PT6_21rocsparse_index_base_b.num_agpr, 0
	.set _ZN9rocsparseL18bsrxmvn_3x3_kernelILj256ELj64EdlldddEEvT3_20rocsparse_direction_NS_24const_host_device_scalarIT1_EES1_PKS1_PKT2_SA_S7_PKT4_PKT5_S5_PT6_21rocsparse_index_base_b.numbered_sgpr, 12
	.set _ZN9rocsparseL18bsrxmvn_3x3_kernelILj256ELj64EdlldddEEvT3_20rocsparse_direction_NS_24const_host_device_scalarIT1_EES1_PKS1_PKT2_SA_S7_PKT4_PKT5_S5_PT6_21rocsparse_index_base_b.num_named_barrier, 0
	.set _ZN9rocsparseL18bsrxmvn_3x3_kernelILj256ELj64EdlldddEEvT3_20rocsparse_direction_NS_24const_host_device_scalarIT1_EES1_PKS1_PKT2_SA_S7_PKT4_PKT5_S5_PT6_21rocsparse_index_base_b.private_seg_size, 0
	.set _ZN9rocsparseL18bsrxmvn_3x3_kernelILj256ELj64EdlldddEEvT3_20rocsparse_direction_NS_24const_host_device_scalarIT1_EES1_PKS1_PKT2_SA_S7_PKT4_PKT5_S5_PT6_21rocsparse_index_base_b.uses_vcc, 1
	.set _ZN9rocsparseL18bsrxmvn_3x3_kernelILj256ELj64EdlldddEEvT3_20rocsparse_direction_NS_24const_host_device_scalarIT1_EES1_PKS1_PKT2_SA_S7_PKT4_PKT5_S5_PT6_21rocsparse_index_base_b.uses_flat_scratch, 0
	.set _ZN9rocsparseL18bsrxmvn_3x3_kernelILj256ELj64EdlldddEEvT3_20rocsparse_direction_NS_24const_host_device_scalarIT1_EES1_PKS1_PKT2_SA_S7_PKT4_PKT5_S5_PT6_21rocsparse_index_base_b.has_dyn_sized_stack, 0
	.set _ZN9rocsparseL18bsrxmvn_3x3_kernelILj256ELj64EdlldddEEvT3_20rocsparse_direction_NS_24const_host_device_scalarIT1_EES1_PKS1_PKT2_SA_S7_PKT4_PKT5_S5_PT6_21rocsparse_index_base_b.has_recursion, 0
	.set _ZN9rocsparseL18bsrxmvn_3x3_kernelILj256ELj64EdlldddEEvT3_20rocsparse_direction_NS_24const_host_device_scalarIT1_EES1_PKS1_PKT2_SA_S7_PKT4_PKT5_S5_PT6_21rocsparse_index_base_b.has_indirect_call, 0
	.section	.AMDGPU.csdata,"",@progbits
; Kernel info:
; codeLenInByte = 2472
; TotalNumSgprs: 14
; NumVgprs: 53
; ScratchSize: 0
; MemoryBound: 1
; FloatMode: 240
; IeeeMode: 1
; LDSByteSize: 0 bytes/workgroup (compile time only)
; SGPRBlocks: 0
; VGPRBlocks: 6
; NumSGPRsForWavesPerEU: 14
; NumVGPRsForWavesPerEU: 53
; Occupancy: 16
; WaveLimiterHint : 1
; COMPUTE_PGM_RSRC2:SCRATCH_EN: 0
; COMPUTE_PGM_RSRC2:USER_SGPR: 2
; COMPUTE_PGM_RSRC2:TRAP_HANDLER: 0
; COMPUTE_PGM_RSRC2:TGID_X_EN: 1
; COMPUTE_PGM_RSRC2:TGID_Y_EN: 0
; COMPUTE_PGM_RSRC2:TGID_Z_EN: 0
; COMPUTE_PGM_RSRC2:TIDIG_COMP_CNT: 0
	.section	.text._ZN9rocsparseL18bsrxmvn_3x3_kernelILj256ELj4E21rocsparse_complex_numIfEllS2_S2_S2_EEvT3_20rocsparse_direction_NS_24const_host_device_scalarIT1_EES3_PKS3_PKT2_SC_S9_PKT4_PKT5_S7_PT6_21rocsparse_index_base_b,"axG",@progbits,_ZN9rocsparseL18bsrxmvn_3x3_kernelILj256ELj4E21rocsparse_complex_numIfEllS2_S2_S2_EEvT3_20rocsparse_direction_NS_24const_host_device_scalarIT1_EES3_PKS3_PKT2_SC_S9_PKT4_PKT5_S7_PT6_21rocsparse_index_base_b,comdat
	.globl	_ZN9rocsparseL18bsrxmvn_3x3_kernelILj256ELj4E21rocsparse_complex_numIfEllS2_S2_S2_EEvT3_20rocsparse_direction_NS_24const_host_device_scalarIT1_EES3_PKS3_PKT2_SC_S9_PKT4_PKT5_S7_PT6_21rocsparse_index_base_b ; -- Begin function _ZN9rocsparseL18bsrxmvn_3x3_kernelILj256ELj4E21rocsparse_complex_numIfEllS2_S2_S2_EEvT3_20rocsparse_direction_NS_24const_host_device_scalarIT1_EES3_PKS3_PKT2_SC_S9_PKT4_PKT5_S7_PT6_21rocsparse_index_base_b
	.p2align	8
	.type	_ZN9rocsparseL18bsrxmvn_3x3_kernelILj256ELj4E21rocsparse_complex_numIfEllS2_S2_S2_EEvT3_20rocsparse_direction_NS_24const_host_device_scalarIT1_EES3_PKS3_PKT2_SC_S9_PKT4_PKT5_S7_PT6_21rocsparse_index_base_b,@function
_ZN9rocsparseL18bsrxmvn_3x3_kernelILj256ELj4E21rocsparse_complex_numIfEllS2_S2_S2_EEvT3_20rocsparse_direction_NS_24const_host_device_scalarIT1_EES3_PKS3_PKT2_SC_S9_PKT4_PKT5_S7_PT6_21rocsparse_index_base_b: ; @_ZN9rocsparseL18bsrxmvn_3x3_kernelILj256ELj4E21rocsparse_complex_numIfEllS2_S2_S2_EEvT3_20rocsparse_direction_NS_24const_host_device_scalarIT1_EES3_PKS3_PKT2_SC_S9_PKT4_PKT5_S7_PT6_21rocsparse_index_base_b
; %bb.0:
	s_clause 0x2
	s_load_b64 s[8:9], s[0:1], 0x60
	s_load_b128 s[4:7], s[0:1], 0x10
	s_load_b64 s[2:3], s[0:1], 0x50
	s_add_nc_u64 s[10:11], s[0:1], 16
	s_wait_kmcnt 0x0
	s_bitcmp1_b32 s9, 0
	s_cselect_b32 s4, s10, s4
	s_cselect_b32 s5, s11, s5
	s_delay_alu instid0(SALU_CYCLE_1)
	v_dual_mov_b32 v1, s4 :: v_dual_mov_b32 v2, s5
	s_add_nc_u64 s[4:5], s[0:1], 0x50
	s_wait_alu 0xfffe
	s_cselect_b32 s2, s4, s2
	s_cselect_b32 s3, s5, s3
	flat_load_b64 v[6:7], v[1:2]
	v_dual_mov_b32 v1, s2 :: v_dual_mov_b32 v2, s3
	flat_load_b64 v[4:5], v[1:2]
	s_wait_loadcnt_dscnt 0x101
	v_cmp_eq_f32_e32 vcc_lo, 0, v6
	v_cmp_eq_f32_e64 s2, 0, v7
	s_and_b32 s4, vcc_lo, s2
	s_mov_b32 s2, -1
	s_wait_alu 0xfffe
	s_and_saveexec_b32 s3, s4
	s_cbranch_execz .LBB50_2
; %bb.1:
	s_wait_loadcnt_dscnt 0x0
	v_cmp_neq_f32_e32 vcc_lo, 1.0, v4
	v_cmp_neq_f32_e64 s2, 0, v5
	s_or_b32 s2, vcc_lo, s2
	s_wait_alu 0xfffe
	s_or_not1_b32 s2, s2, exec_lo
.LBB50_2:
	s_wait_alu 0xfffe
	s_or_b32 exec_lo, exec_lo, s3
	s_and_saveexec_b32 s3, s2
	s_cbranch_execz .LBB50_8
; %bb.3:
	s_load_b64 s[2:3], s[0:1], 0x20
	v_lshrrev_b32_e32 v1, 2, v0
	v_mov_b32_e32 v11, 0
	s_delay_alu instid0(VALU_DEP_2)
	v_lshl_or_b32 v10, ttmp9, 6, v1
	s_wait_kmcnt 0x0
	s_cmp_lg_u64 s[2:3], 0
	s_cbranch_scc0 .LBB50_9
; %bb.4:
	s_delay_alu instid0(VALU_DEP_1)
	v_cmp_gt_i64_e32 vcc_lo, s[6:7], v[10:11]
	s_mov_b32 s5, 0
	s_mov_b32 s4, 0
                                        ; implicit-def: $vgpr8_vgpr9
                                        ; implicit-def: $vgpr1_vgpr2
	s_and_saveexec_b32 s6, vcc_lo
	s_wait_alu 0xfffe
	s_xor_b32 s6, exec_lo, s6
	s_cbranch_execz .LBB50_6
; %bb.5:
	v_lshlrev_b64_e32 v[1:2], 3, v[10:11]
	s_mov_b32 s9, 0
	s_mov_b32 s4, exec_lo
	s_delay_alu instid0(VALU_DEP_1) | instskip(NEXT) | instid1(VALU_DEP_1)
	v_add_co_u32 v1, vcc_lo, s2, v1
	v_add_co_ci_u32_e64 v2, null, s3, v2, vcc_lo
	global_load_b64 v[1:2], v[1:2], off
	s_wait_loadcnt 0x0
	v_sub_co_u32 v8, vcc_lo, v1, s8
	s_wait_alu 0xfffd
	v_subrev_co_ci_u32_e64 v9, null, 0, v2, vcc_lo
	v_dual_mov_b32 v1, s8 :: v_dual_mov_b32 v2, s9
.LBB50_6:
	s_wait_alu 0xfffe
	s_or_b32 exec_lo, exec_lo, s6
	s_delay_alu instid0(SALU_CYCLE_1)
	s_and_b32 vcc_lo, exec_lo, s5
	s_wait_alu 0xfffe
	s_cbranch_vccnz .LBB50_10
.LBB50_7:
	s_wait_alu 0xfffe
	s_and_b32 exec_lo, exec_lo, s4
	s_cbranch_execnz .LBB50_13
.LBB50_8:
	s_endpgm
.LBB50_9:
	s_mov_b32 s4, 0
                                        ; implicit-def: $vgpr8_vgpr9
                                        ; implicit-def: $vgpr1_vgpr2
	s_cbranch_execz .LBB50_7
.LBB50_10:
	s_load_b64 s[2:3], s[0:1], 0x0
	s_wait_kmcnt 0x0
	v_cmp_gt_i64_e32 vcc_lo, s[2:3], v[10:11]
	s_and_saveexec_b32 s2, vcc_lo
; %bb.11:
	s_mov_b32 s9, 0
	s_or_b32 s4, s4, exec_lo
; %bb.12:
	s_wait_alu 0xfffe
	s_or_b32 exec_lo, exec_lo, s2
	v_dual_mov_b32 v1, s8 :: v_dual_mov_b32 v2, s9
	v_dual_mov_b32 v8, v10 :: v_dual_mov_b32 v9, v11
	s_and_b32 exec_lo, exec_lo, s4
	s_cbranch_execz .LBB50_8
.LBB50_13:
	s_load_b256 s[4:11], s[0:1], 0x28
	s_delay_alu instid0(VALU_DEP_1) | instskip(SKIP_2) | instid1(VALU_DEP_2)
	v_lshlrev_b64_e32 v[10:11], 3, v[8:9]
	v_and_b32_e32 v0, 3, v0
	s_wait_kmcnt 0x0
	v_add_co_u32 v12, vcc_lo, s4, v10
	s_wait_alu 0xfffd
	s_delay_alu instid0(VALU_DEP_3)
	v_add_co_ci_u32_e64 v13, null, s5, v11, vcc_lo
	v_add_co_u32 v3, vcc_lo, s6, v10
	s_wait_alu 0xfffd
	v_add_co_ci_u32_e64 v10, null, s7, v11, vcc_lo
	global_load_b64 v[14:15], v[12:13], off
	v_add_co_u32 v12, vcc_lo, v12, 8
	s_wait_alu 0xfffd
	v_add_co_ci_u32_e64 v11, null, 0, v13, vcc_lo
	s_cmp_eq_u64 s[6:7], 0
	s_cselect_b32 vcc_lo, -1, 0
	s_wait_alu 0xfffe
	v_dual_cndmask_b32 v11, v10, v11 :: v_dual_cndmask_b32 v10, v3, v12
	global_load_b64 v[16:17], v[10:11], off
	s_clause 0x1
	s_load_b32 s3, s[0:1], 0x8
	s_load_b64 s[4:5], s[0:1], 0x48
	s_wait_kmcnt 0x0
	s_cmp_eq_u32 s3, 1
	s_wait_loadcnt 0x1
	v_sub_co_u32 v3, vcc_lo, v14, v1
	s_wait_alu 0xfffd
	v_sub_co_ci_u32_e64 v11, null, v15, v2, vcc_lo
	s_delay_alu instid0(VALU_DEP_2) | instskip(SKIP_1) | instid1(VALU_DEP_2)
	v_add_co_u32 v10, vcc_lo, v3, v0
	s_wait_alu 0xfffd
	v_add_co_ci_u32_e64 v11, null, 0, v11, vcc_lo
	s_delay_alu instid0(VALU_DEP_2) | instskip(NEXT) | instid1(VALU_DEP_1)
	v_mad_co_u64_u32 v[12:13], null, 0x48, v10, s[10:11]
	v_mov_b32_e32 v3, v13
	s_wait_dscnt 0x0
	s_delay_alu instid0(VALU_DEP_1)
	v_mad_co_u64_u32 v[13:14], null, 0x48, v11, v[3:4]
	s_wait_loadcnt 0x0
	v_sub_co_u32 v14, vcc_lo, v16, v1
	s_wait_alu 0xfffd
	v_sub_co_ci_u32_e64 v15, null, v17, v2, vcc_lo
	v_mov_b32_e32 v3, 0
	s_delay_alu instid0(VALU_DEP_2)
	v_cmp_lt_i64_e64 s2, v[10:11], v[14:15]
	s_cbranch_scc1 .LBB50_19
; %bb.14:
	v_dual_mov_b32 v24, 0 :: v_dual_mov_b32 v25, 0
	v_dual_mov_b32 v22, 0 :: v_dual_mov_b32 v23, 0
	v_mov_b32_e32 v26, 0
	s_and_saveexec_b32 s3, s2
	s_cbranch_execz .LBB50_18
; %bb.15:
	v_lshlrev_b64_e32 v[18:19], 3, v[10:11]
	v_mov_b32_e32 v17, v11
	v_dual_mov_b32 v21, v13 :: v_dual_mov_b32 v24, 0
	v_dual_mov_b32 v3, 0 :: v_dual_mov_b32 v16, v10
	s_delay_alu instid0(VALU_DEP_4)
	v_add_co_u32 v18, vcc_lo, s8, v18
	s_wait_alu 0xfffd
	v_add_co_ci_u32_e64 v19, null, s9, v19, vcc_lo
	v_dual_mov_b32 v20, v12 :: v_dual_mov_b32 v25, 0
	v_mov_b32_e32 v22, 0
	v_dual_mov_b32 v26, 0 :: v_dual_mov_b32 v23, 0
	s_mov_b32 s6, 0
.LBB50_16:                              ; =>This Inner Loop Header: Depth=1
	global_load_b64 v[39:40], v[18:19], off
	s_clause 0x2
	global_load_b128 v[27:30], v[20:21], off offset:48
	global_load_b128 v[31:34], v[20:21], off offset:16
	global_load_b128 v[35:38], v[20:21], off
	s_wait_loadcnt 0x3
	v_sub_co_u32 v39, vcc_lo, v39, v1
	s_wait_alu 0xfffd
	v_sub_co_ci_u32_e64 v40, null, v40, v2, vcc_lo
	s_delay_alu instid0(VALU_DEP_2) | instskip(NEXT) | instid1(VALU_DEP_1)
	v_mad_co_u64_u32 v[43:44], null, v39, 24, s[4:5]
	v_mov_b32_e32 v39, v44
	s_delay_alu instid0(VALU_DEP_1) | instskip(NEXT) | instid1(VALU_DEP_1)
	v_mad_co_u64_u32 v[39:40], null, v40, 24, v[39:40]
	v_mov_b32_e32 v44, v39
	s_clause 0x1
	global_load_b128 v[39:42], v[43:44], off
	global_load_b64 v[47:48], v[43:44], off offset:16
	s_clause 0x1
	global_load_b128 v[43:46], v[20:21], off offset:32
	global_load_b64 v[49:50], v[20:21], off offset:64
	v_add_co_u32 v20, vcc_lo, 0x120, v20
	s_wait_alu 0xfffd
	v_add_co_ci_u32_e64 v21, null, 0, v21, vcc_lo
	v_add_co_u32 v16, vcc_lo, v16, 4
	s_wait_alu 0xfffd
	v_add_co_ci_u32_e64 v17, null, 0, v17, vcc_lo
	;; [unrolled: 3-line block ×3, first 2 shown]
	s_delay_alu instid0(VALU_DEP_3)
	v_cmp_ge_i64_e32 vcc_lo, v[16:17], v[14:15]
	s_wait_alu 0xfffe
	s_or_b32 s6, vcc_lo, s6
	s_wait_loadcnt 0x3
	v_fmac_f32_e32 v3, v36, v39
	v_fmac_f32_e32 v26, v33, v39
	;; [unrolled: 1-line block ×4, first 2 shown]
	s_delay_alu instid0(VALU_DEP_4) | instskip(NEXT) | instid1(VALU_DEP_3)
	v_dual_fmac_f32 v3, v35, v40 :: v_dual_fmac_f32 v22, v28, v39
	v_fmac_f32_e32 v23, v33, v40
	s_delay_alu instid0(VALU_DEP_3) | instskip(SKIP_1) | instid1(VALU_DEP_4)
	v_fma_f32 v24, -v36, v40, v24
	v_fma_f32 v26, -v34, v40, v26
	v_dual_fmac_f32 v3, v38, v41 :: v_dual_fmac_f32 v22, v27, v40
	s_delay_alu instid0(VALU_DEP_3) | instskip(SKIP_1) | instid1(VALU_DEP_2)
	v_dual_fmac_f32 v25, v27, v39 :: v_dual_fmac_f32 v24, v37, v41
	s_wait_loadcnt 0x1
	v_dual_fmac_f32 v26, v43, v41 :: v_dual_fmac_f32 v3, v37, v42
	s_delay_alu instid0(VALU_DEP_3) | instskip(NEXT) | instid1(VALU_DEP_3)
	v_fmac_f32_e32 v22, v30, v41
	v_fma_f32 v25, -v28, v40, v25
	v_fmac_f32_e32 v23, v44, v41
	v_fma_f32 v24, -v38, v42, v24
	v_fma_f32 v26, -v44, v42, v26
	v_fmac_f32_e32 v22, v29, v42
	v_fmac_f32_e32 v25, v29, v41
	;; [unrolled: 1-line block ×5, first 2 shown]
	s_wait_loadcnt 0x0
	v_fmac_f32_e32 v22, v50, v47
	v_fma_f32 v25, -v30, v42, v25
	v_fmac_f32_e32 v3, v32, v47
	v_fmac_f32_e32 v23, v46, v47
	v_fma_f32 v24, -v32, v48, v24
	v_fma_f32 v26, -v46, v48, v26
	v_fmac_f32_e32 v25, v49, v47
	v_fmac_f32_e32 v22, v49, v48
	;; [unrolled: 1-line block ×4, first 2 shown]
	s_delay_alu instid0(VALU_DEP_4)
	v_fma_f32 v25, -v50, v48, v25
	s_wait_alu 0xfffe
	s_and_not1_b32 exec_lo, exec_lo, s6
	s_cbranch_execnz .LBB50_16
; %bb.17:
	s_or_b32 exec_lo, exec_lo, s6
.LBB50_18:
	s_wait_alu 0xfffe
	s_or_b32 exec_lo, exec_lo, s3
	s_cbranch_execz .LBB50_20
	s_branch .LBB50_25
.LBB50_19:
                                        ; implicit-def: $vgpr3
                                        ; implicit-def: $vgpr24
                                        ; implicit-def: $vgpr25
                                        ; implicit-def: $vgpr22
                                        ; implicit-def: $vgpr26
                                        ; implicit-def: $vgpr23
.LBB50_20:
	v_dual_mov_b32 v3, 0 :: v_dual_mov_b32 v24, 0
	v_dual_mov_b32 v25, 0 :: v_dual_mov_b32 v22, 0
	;; [unrolled: 1-line block ×3, first 2 shown]
	s_and_saveexec_b32 s3, s2
	s_cbranch_execz .LBB50_24
; %bb.21:
	v_lshlrev_b64_e32 v[16:17], 3, v[10:11]
	v_dual_mov_b32 v3, 0 :: v_dual_mov_b32 v24, 0
	v_dual_mov_b32 v25, 0 :: v_dual_mov_b32 v22, 0
	;; [unrolled: 1-line block ×3, first 2 shown]
	s_delay_alu instid0(VALU_DEP_4)
	v_add_co_u32 v16, vcc_lo, s8, v16
	s_wait_alu 0xfffd
	v_add_co_ci_u32_e64 v17, null, s9, v17, vcc_lo
	s_mov_b32 s2, 0
.LBB50_22:                              ; =>This Inner Loop Header: Depth=1
	global_load_b64 v[31:32], v[16:17], off
	s_clause 0x1
	global_load_b128 v[18:21], v[12:13], off offset:16
	global_load_b128 v[27:30], v[12:13], off
	s_wait_loadcnt 0x2
	v_sub_co_u32 v31, vcc_lo, v31, v1
	s_wait_alu 0xfffd
	v_sub_co_ci_u32_e64 v32, null, v32, v2, vcc_lo
	s_delay_alu instid0(VALU_DEP_2) | instskip(NEXT) | instid1(VALU_DEP_1)
	v_mad_co_u64_u32 v[35:36], null, v31, 24, s[4:5]
	v_mov_b32_e32 v31, v36
	s_delay_alu instid0(VALU_DEP_1) | instskip(NEXT) | instid1(VALU_DEP_1)
	v_mad_co_u64_u32 v[31:32], null, v32, 24, v[31:32]
	v_mov_b32_e32 v36, v31
	s_clause 0x1
	global_load_b128 v[31:34], v[35:36], off
	global_load_b64 v[43:44], v[35:36], off offset:16
	s_clause 0x2
	global_load_b128 v[35:38], v[12:13], off offset:32
	global_load_b128 v[39:42], v[12:13], off offset:48
	global_load_b64 v[45:46], v[12:13], off offset:64
	v_add_co_u32 v12, vcc_lo, 0x120, v12
	s_wait_alu 0xfffd
	v_add_co_ci_u32_e64 v13, null, 0, v13, vcc_lo
	v_add_co_u32 v10, vcc_lo, v10, 4
	s_wait_alu 0xfffd
	v_add_co_ci_u32_e64 v11, null, 0, v11, vcc_lo
	;; [unrolled: 3-line block ×3, first 2 shown]
	s_delay_alu instid0(VALU_DEP_3)
	v_cmp_ge_i64_e32 vcc_lo, v[10:11], v[14:15]
	s_wait_alu 0xfffe
	s_or_b32 s2, vcc_lo, s2
	s_wait_loadcnt 0x4
	v_fmac_f32_e32 v3, v28, v31
	v_fmac_f32_e32 v26, v29, v31
	;; [unrolled: 1-line block ×4, first 2 shown]
	s_delay_alu instid0(VALU_DEP_4)
	v_fmac_f32_e32 v3, v27, v32
	v_fmac_f32_e32 v22, v19, v31
	v_fma_f32 v26, -v30, v32, v26
	v_fmac_f32_e32 v25, v18, v31
	v_fmac_f32_e32 v23, v29, v32
	v_fma_f32 v24, -v28, v32, v24
	v_dual_fmac_f32 v3, v21, v33 :: v_dual_fmac_f32 v22, v18, v32
	s_wait_loadcnt 0x2
	v_fmac_f32_e32 v26, v35, v33
	v_fma_f32 v19, -v19, v32, v25
	v_fmac_f32_e32 v24, v20, v33
	v_dual_fmac_f32 v3, v20, v34 :: v_dual_fmac_f32 v22, v38, v33
	v_fmac_f32_e32 v23, v36, v33
	v_fma_f32 v20, -v36, v34, v26
	s_delay_alu instid0(VALU_DEP_4)
	v_fma_f32 v18, -v21, v34, v24
	v_fmac_f32_e32 v19, v37, v33
	v_fmac_f32_e32 v22, v37, v34
	s_wait_loadcnt 0x1
	v_dual_fmac_f32 v23, v35, v34 :: v_dual_fmac_f32 v20, v41, v43
	v_fmac_f32_e32 v18, v39, v43
	v_fma_f32 v19, -v38, v34, v19
	s_wait_loadcnt 0x0
	v_fmac_f32_e32 v22, v46, v43
	v_fmac_f32_e32 v3, v40, v43
	;; [unrolled: 1-line block ×3, first 2 shown]
	v_fma_f32 v24, -v40, v44, v18
	v_fmac_f32_e32 v19, v45, v43
	v_fma_f32 v26, -v42, v44, v20
	v_fmac_f32_e32 v22, v45, v44
	v_fmac_f32_e32 v3, v39, v44
	;; [unrolled: 1-line block ×3, first 2 shown]
	v_fma_f32 v25, -v46, v44, v19
	s_wait_alu 0xfffe
	s_and_not1_b32 exec_lo, exec_lo, s2
	s_cbranch_execnz .LBB50_22
; %bb.23:
	s_or_b32 exec_lo, exec_lo, s2
.LBB50_24:
	s_wait_alu 0xfffe
	s_or_b32 exec_lo, exec_lo, s3
.LBB50_25:
	v_mbcnt_lo_u32_b32 v1, -1, 0
	s_delay_alu instid0(VALU_DEP_1) | instskip(NEXT) | instid1(VALU_DEP_1)
	v_xor_b32_e32 v2, 2, v1
	v_cmp_gt_i32_e32 vcc_lo, 32, v2
	s_wait_alu 0xfffd
	v_cndmask_b32_e32 v2, v1, v2, vcc_lo
	s_delay_alu instid0(VALU_DEP_1)
	v_lshlrev_b32_e32 v2, 2, v2
	ds_bpermute_b32 v10, v2, v24
	ds_bpermute_b32 v11, v2, v3
	;; [unrolled: 1-line block ×6, first 2 shown]
	v_xor_b32_e32 v2, 1, v1
	s_delay_alu instid0(VALU_DEP_1)
	v_cmp_gt_i32_e32 vcc_lo, 32, v2
	s_wait_alu 0xfffd
	v_cndmask_b32_e32 v1, v1, v2, vcc_lo
	v_cmp_eq_u32_e32 vcc_lo, 3, v0
	s_wait_dscnt 0x4
	v_add_f32_e32 v2, v3, v11
	s_delay_alu instid0(VALU_DEP_3)
	v_dual_add_f32 v1, v24, v10 :: v_dual_lshlrev_b32 v18, 2, v1
	s_wait_dscnt 0x2
	v_dual_add_f32 v3, v26, v12 :: v_dual_add_f32 v10, v23, v13
	s_wait_dscnt 0x0
	v_dual_add_f32 v11, v25, v14 :: v_dual_add_f32 v12, v22, v15
	ds_bpermute_b32 v13, v18, v1
	ds_bpermute_b32 v14, v18, v2
	;; [unrolled: 1-line block ×6, first 2 shown]
	s_and_b32 exec_lo, exec_lo, vcc_lo
	s_cbranch_execz .LBB50_8
; %bb.26:
	s_load_b64 s[2:3], s[0:1], 0x58
	s_wait_dscnt 0x5
	v_add_f32_e32 v13, v1, v13
	s_wait_dscnt 0x3
	v_dual_add_f32 v1, v2, v14 :: v_dual_add_f32 v14, v3, v15
	s_wait_dscnt 0x2
	v_add_f32_e32 v3, v10, v16
	v_cmp_eq_f32_e32 vcc_lo, 0, v4
	v_cmp_eq_f32_e64 s0, 0, v5
	v_mul_f32_e64 v0, v1, -v7
	v_mul_f32_e32 v1, v6, v1
	v_mul_f32_e64 v2, v3, -v7
	s_wait_dscnt 0x1
	v_add_f32_e32 v15, v11, v17
	s_wait_dscnt 0x0
	v_dual_add_f32 v11, v12, v18 :: v_dual_fmac_f32 v0, v6, v13
	v_mul_f32_e32 v3, v6, v3
	v_fmac_f32_e32 v2, v6, v14
	s_and_b32 s0, vcc_lo, s0
	s_delay_alu instid0(VALU_DEP_3) | instskip(SKIP_2) | instid1(VALU_DEP_3)
	v_mul_f32_e64 v10, v11, -v7
	v_mul_f32_e32 v11, v6, v11
	v_fmac_f32_e32 v1, v7, v13
	v_dual_fmac_f32 v3, v7, v14 :: v_dual_fmac_f32 v10, v6, v15
	s_delay_alu instid0(VALU_DEP_3)
	v_fmac_f32_e32 v11, v7, v15
	s_wait_alu 0xfffe
	s_and_saveexec_b32 s1, s0
	s_wait_alu 0xfffe
	s_xor_b32 s0, exec_lo, s1
	s_cbranch_execz .LBB50_28
; %bb.27:
	s_wait_kmcnt 0x0
	v_mad_co_u64_u32 v[4:5], null, v8, 24, s[2:3]
	s_delay_alu instid0(VALU_DEP_1)
	v_mad_co_u64_u32 v[5:6], null, v9, 24, v[5:6]
                                        ; implicit-def: $vgpr8_vgpr9
	s_clause 0x1
	global_store_b128 v[4:5], v[0:3], off
	global_store_b64 v[4:5], v[10:11], off offset:16
                                        ; implicit-def: $vgpr4_vgpr5
                                        ; implicit-def: $vgpr0
                                        ; implicit-def: $vgpr10
.LBB50_28:
	s_wait_alu 0xfffe
	s_and_not1_saveexec_b32 s0, s0
	s_cbranch_execz .LBB50_8
; %bb.29:
	s_wait_kmcnt 0x0
	v_mad_co_u64_u32 v[12:13], null, v8, 24, s[2:3]
	s_delay_alu instid0(VALU_DEP_1) | instskip(NEXT) | instid1(VALU_DEP_1)
	v_mov_b32_e32 v6, v13
	v_mad_co_u64_u32 v[6:7], null, v9, 24, v[6:7]
	s_delay_alu instid0(VALU_DEP_1)
	v_mov_b32_e32 v13, v6
	s_clause 0x1
	global_load_b128 v[6:9], v[12:13], off
	global_load_b64 v[14:15], v[12:13], off offset:16
	s_wait_loadcnt 0x1
	v_fmac_f32_e32 v0, v4, v6
	v_dual_fmac_f32 v1, v5, v6 :: v_dual_fmac_f32 v2, v4, v8
	s_wait_loadcnt 0x0
	v_dual_fmac_f32 v3, v5, v8 :: v_dual_fmac_f32 v10, v4, v14
	v_fmac_f32_e32 v11, v5, v14
	v_fma_f32 v0, -v5, v7, v0
	v_fmac_f32_e32 v1, v4, v7
	v_fma_f32 v2, -v5, v9, v2
	;; [unrolled: 2-line block ×3, first 2 shown]
	v_fmac_f32_e32 v11, v4, v15
	s_clause 0x1
	global_store_b128 v[12:13], v[0:3], off
	global_store_b64 v[12:13], v[10:11], off offset:16
	s_endpgm
	.section	.rodata,"a",@progbits
	.p2align	6, 0x0
	.amdhsa_kernel _ZN9rocsparseL18bsrxmvn_3x3_kernelILj256ELj4E21rocsparse_complex_numIfEllS2_S2_S2_EEvT3_20rocsparse_direction_NS_24const_host_device_scalarIT1_EES3_PKS3_PKT2_SC_S9_PKT4_PKT5_S7_PT6_21rocsparse_index_base_b
		.amdhsa_group_segment_fixed_size 0
		.amdhsa_private_segment_fixed_size 0
		.amdhsa_kernarg_size 104
		.amdhsa_user_sgpr_count 2
		.amdhsa_user_sgpr_dispatch_ptr 0
		.amdhsa_user_sgpr_queue_ptr 0
		.amdhsa_user_sgpr_kernarg_segment_ptr 1
		.amdhsa_user_sgpr_dispatch_id 0
		.amdhsa_user_sgpr_private_segment_size 0
		.amdhsa_wavefront_size32 1
		.amdhsa_uses_dynamic_stack 0
		.amdhsa_enable_private_segment 0
		.amdhsa_system_sgpr_workgroup_id_x 1
		.amdhsa_system_sgpr_workgroup_id_y 0
		.amdhsa_system_sgpr_workgroup_id_z 0
		.amdhsa_system_sgpr_workgroup_info 0
		.amdhsa_system_vgpr_workitem_id 0
		.amdhsa_next_free_vgpr 51
		.amdhsa_next_free_sgpr 12
		.amdhsa_reserve_vcc 1
		.amdhsa_float_round_mode_32 0
		.amdhsa_float_round_mode_16_64 0
		.amdhsa_float_denorm_mode_32 3
		.amdhsa_float_denorm_mode_16_64 3
		.amdhsa_fp16_overflow 0
		.amdhsa_workgroup_processor_mode 1
		.amdhsa_memory_ordered 1
		.amdhsa_forward_progress 1
		.amdhsa_inst_pref_size 20
		.amdhsa_round_robin_scheduling 0
		.amdhsa_exception_fp_ieee_invalid_op 0
		.amdhsa_exception_fp_denorm_src 0
		.amdhsa_exception_fp_ieee_div_zero 0
		.amdhsa_exception_fp_ieee_overflow 0
		.amdhsa_exception_fp_ieee_underflow 0
		.amdhsa_exception_fp_ieee_inexact 0
		.amdhsa_exception_int_div_zero 0
	.end_amdhsa_kernel
	.section	.text._ZN9rocsparseL18bsrxmvn_3x3_kernelILj256ELj4E21rocsparse_complex_numIfEllS2_S2_S2_EEvT3_20rocsparse_direction_NS_24const_host_device_scalarIT1_EES3_PKS3_PKT2_SC_S9_PKT4_PKT5_S7_PT6_21rocsparse_index_base_b,"axG",@progbits,_ZN9rocsparseL18bsrxmvn_3x3_kernelILj256ELj4E21rocsparse_complex_numIfEllS2_S2_S2_EEvT3_20rocsparse_direction_NS_24const_host_device_scalarIT1_EES3_PKS3_PKT2_SC_S9_PKT4_PKT5_S7_PT6_21rocsparse_index_base_b,comdat
.Lfunc_end50:
	.size	_ZN9rocsparseL18bsrxmvn_3x3_kernelILj256ELj4E21rocsparse_complex_numIfEllS2_S2_S2_EEvT3_20rocsparse_direction_NS_24const_host_device_scalarIT1_EES3_PKS3_PKT2_SC_S9_PKT4_PKT5_S7_PT6_21rocsparse_index_base_b, .Lfunc_end50-_ZN9rocsparseL18bsrxmvn_3x3_kernelILj256ELj4E21rocsparse_complex_numIfEllS2_S2_S2_EEvT3_20rocsparse_direction_NS_24const_host_device_scalarIT1_EES3_PKS3_PKT2_SC_S9_PKT4_PKT5_S7_PT6_21rocsparse_index_base_b
                                        ; -- End function
	.set _ZN9rocsparseL18bsrxmvn_3x3_kernelILj256ELj4E21rocsparse_complex_numIfEllS2_S2_S2_EEvT3_20rocsparse_direction_NS_24const_host_device_scalarIT1_EES3_PKS3_PKT2_SC_S9_PKT4_PKT5_S7_PT6_21rocsparse_index_base_b.num_vgpr, 51
	.set _ZN9rocsparseL18bsrxmvn_3x3_kernelILj256ELj4E21rocsparse_complex_numIfEllS2_S2_S2_EEvT3_20rocsparse_direction_NS_24const_host_device_scalarIT1_EES3_PKS3_PKT2_SC_S9_PKT4_PKT5_S7_PT6_21rocsparse_index_base_b.num_agpr, 0
	.set _ZN9rocsparseL18bsrxmvn_3x3_kernelILj256ELj4E21rocsparse_complex_numIfEllS2_S2_S2_EEvT3_20rocsparse_direction_NS_24const_host_device_scalarIT1_EES3_PKS3_PKT2_SC_S9_PKT4_PKT5_S7_PT6_21rocsparse_index_base_b.numbered_sgpr, 12
	.set _ZN9rocsparseL18bsrxmvn_3x3_kernelILj256ELj4E21rocsparse_complex_numIfEllS2_S2_S2_EEvT3_20rocsparse_direction_NS_24const_host_device_scalarIT1_EES3_PKS3_PKT2_SC_S9_PKT4_PKT5_S7_PT6_21rocsparse_index_base_b.num_named_barrier, 0
	.set _ZN9rocsparseL18bsrxmvn_3x3_kernelILj256ELj4E21rocsparse_complex_numIfEllS2_S2_S2_EEvT3_20rocsparse_direction_NS_24const_host_device_scalarIT1_EES3_PKS3_PKT2_SC_S9_PKT4_PKT5_S7_PT6_21rocsparse_index_base_b.private_seg_size, 0
	.set _ZN9rocsparseL18bsrxmvn_3x3_kernelILj256ELj4E21rocsparse_complex_numIfEllS2_S2_S2_EEvT3_20rocsparse_direction_NS_24const_host_device_scalarIT1_EES3_PKS3_PKT2_SC_S9_PKT4_PKT5_S7_PT6_21rocsparse_index_base_b.uses_vcc, 1
	.set _ZN9rocsparseL18bsrxmvn_3x3_kernelILj256ELj4E21rocsparse_complex_numIfEllS2_S2_S2_EEvT3_20rocsparse_direction_NS_24const_host_device_scalarIT1_EES3_PKS3_PKT2_SC_S9_PKT4_PKT5_S7_PT6_21rocsparse_index_base_b.uses_flat_scratch, 0
	.set _ZN9rocsparseL18bsrxmvn_3x3_kernelILj256ELj4E21rocsparse_complex_numIfEllS2_S2_S2_EEvT3_20rocsparse_direction_NS_24const_host_device_scalarIT1_EES3_PKS3_PKT2_SC_S9_PKT4_PKT5_S7_PT6_21rocsparse_index_base_b.has_dyn_sized_stack, 0
	.set _ZN9rocsparseL18bsrxmvn_3x3_kernelILj256ELj4E21rocsparse_complex_numIfEllS2_S2_S2_EEvT3_20rocsparse_direction_NS_24const_host_device_scalarIT1_EES3_PKS3_PKT2_SC_S9_PKT4_PKT5_S7_PT6_21rocsparse_index_base_b.has_recursion, 0
	.set _ZN9rocsparseL18bsrxmvn_3x3_kernelILj256ELj4E21rocsparse_complex_numIfEllS2_S2_S2_EEvT3_20rocsparse_direction_NS_24const_host_device_scalarIT1_EES3_PKS3_PKT2_SC_S9_PKT4_PKT5_S7_PT6_21rocsparse_index_base_b.has_indirect_call, 0
	.section	.AMDGPU.csdata,"",@progbits
; Kernel info:
; codeLenInByte = 2480
; TotalNumSgprs: 14
; NumVgprs: 51
; ScratchSize: 0
; MemoryBound: 0
; FloatMode: 240
; IeeeMode: 1
; LDSByteSize: 0 bytes/workgroup (compile time only)
; SGPRBlocks: 0
; VGPRBlocks: 6
; NumSGPRsForWavesPerEU: 14
; NumVGPRsForWavesPerEU: 51
; Occupancy: 16
; WaveLimiterHint : 1
; COMPUTE_PGM_RSRC2:SCRATCH_EN: 0
; COMPUTE_PGM_RSRC2:USER_SGPR: 2
; COMPUTE_PGM_RSRC2:TRAP_HANDLER: 0
; COMPUTE_PGM_RSRC2:TGID_X_EN: 1
; COMPUTE_PGM_RSRC2:TGID_Y_EN: 0
; COMPUTE_PGM_RSRC2:TGID_Z_EN: 0
; COMPUTE_PGM_RSRC2:TIDIG_COMP_CNT: 0
	.section	.text._ZN9rocsparseL18bsrxmvn_3x3_kernelILj256ELj8E21rocsparse_complex_numIfEllS2_S2_S2_EEvT3_20rocsparse_direction_NS_24const_host_device_scalarIT1_EES3_PKS3_PKT2_SC_S9_PKT4_PKT5_S7_PT6_21rocsparse_index_base_b,"axG",@progbits,_ZN9rocsparseL18bsrxmvn_3x3_kernelILj256ELj8E21rocsparse_complex_numIfEllS2_S2_S2_EEvT3_20rocsparse_direction_NS_24const_host_device_scalarIT1_EES3_PKS3_PKT2_SC_S9_PKT4_PKT5_S7_PT6_21rocsparse_index_base_b,comdat
	.globl	_ZN9rocsparseL18bsrxmvn_3x3_kernelILj256ELj8E21rocsparse_complex_numIfEllS2_S2_S2_EEvT3_20rocsparse_direction_NS_24const_host_device_scalarIT1_EES3_PKS3_PKT2_SC_S9_PKT4_PKT5_S7_PT6_21rocsparse_index_base_b ; -- Begin function _ZN9rocsparseL18bsrxmvn_3x3_kernelILj256ELj8E21rocsparse_complex_numIfEllS2_S2_S2_EEvT3_20rocsparse_direction_NS_24const_host_device_scalarIT1_EES3_PKS3_PKT2_SC_S9_PKT4_PKT5_S7_PT6_21rocsparse_index_base_b
	.p2align	8
	.type	_ZN9rocsparseL18bsrxmvn_3x3_kernelILj256ELj8E21rocsparse_complex_numIfEllS2_S2_S2_EEvT3_20rocsparse_direction_NS_24const_host_device_scalarIT1_EES3_PKS3_PKT2_SC_S9_PKT4_PKT5_S7_PT6_21rocsparse_index_base_b,@function
_ZN9rocsparseL18bsrxmvn_3x3_kernelILj256ELj8E21rocsparse_complex_numIfEllS2_S2_S2_EEvT3_20rocsparse_direction_NS_24const_host_device_scalarIT1_EES3_PKS3_PKT2_SC_S9_PKT4_PKT5_S7_PT6_21rocsparse_index_base_b: ; @_ZN9rocsparseL18bsrxmvn_3x3_kernelILj256ELj8E21rocsparse_complex_numIfEllS2_S2_S2_EEvT3_20rocsparse_direction_NS_24const_host_device_scalarIT1_EES3_PKS3_PKT2_SC_S9_PKT4_PKT5_S7_PT6_21rocsparse_index_base_b
; %bb.0:
	s_clause 0x2
	s_load_b64 s[8:9], s[0:1], 0x60
	s_load_b128 s[4:7], s[0:1], 0x10
	s_load_b64 s[2:3], s[0:1], 0x50
	s_add_nc_u64 s[10:11], s[0:1], 16
	s_wait_kmcnt 0x0
	s_bitcmp1_b32 s9, 0
	s_cselect_b32 s4, s10, s4
	s_cselect_b32 s5, s11, s5
	s_delay_alu instid0(SALU_CYCLE_1)
	v_dual_mov_b32 v1, s4 :: v_dual_mov_b32 v2, s5
	s_add_nc_u64 s[4:5], s[0:1], 0x50
	s_wait_alu 0xfffe
	s_cselect_b32 s2, s4, s2
	s_cselect_b32 s3, s5, s3
	flat_load_b64 v[6:7], v[1:2]
	v_dual_mov_b32 v1, s2 :: v_dual_mov_b32 v2, s3
	flat_load_b64 v[4:5], v[1:2]
	s_wait_loadcnt_dscnt 0x101
	v_cmp_eq_f32_e32 vcc_lo, 0, v6
	v_cmp_eq_f32_e64 s2, 0, v7
	s_and_b32 s4, vcc_lo, s2
	s_mov_b32 s2, -1
	s_wait_alu 0xfffe
	s_and_saveexec_b32 s3, s4
	s_cbranch_execz .LBB51_2
; %bb.1:
	s_wait_loadcnt_dscnt 0x0
	v_cmp_neq_f32_e32 vcc_lo, 1.0, v4
	v_cmp_neq_f32_e64 s2, 0, v5
	s_or_b32 s2, vcc_lo, s2
	s_wait_alu 0xfffe
	s_or_not1_b32 s2, s2, exec_lo
.LBB51_2:
	s_wait_alu 0xfffe
	s_or_b32 exec_lo, exec_lo, s3
	s_and_saveexec_b32 s3, s2
	s_cbranch_execz .LBB51_8
; %bb.3:
	s_load_b64 s[2:3], s[0:1], 0x20
	v_lshrrev_b32_e32 v1, 3, v0
	v_mov_b32_e32 v11, 0
	s_delay_alu instid0(VALU_DEP_2)
	v_lshl_or_b32 v10, ttmp9, 5, v1
	s_wait_kmcnt 0x0
	s_cmp_lg_u64 s[2:3], 0
	s_cbranch_scc0 .LBB51_9
; %bb.4:
	s_delay_alu instid0(VALU_DEP_1)
	v_cmp_gt_i64_e32 vcc_lo, s[6:7], v[10:11]
	s_mov_b32 s5, 0
	s_mov_b32 s4, 0
                                        ; implicit-def: $vgpr8_vgpr9
                                        ; implicit-def: $vgpr1_vgpr2
	s_and_saveexec_b32 s6, vcc_lo
	s_wait_alu 0xfffe
	s_xor_b32 s6, exec_lo, s6
	s_cbranch_execz .LBB51_6
; %bb.5:
	v_lshlrev_b64_e32 v[1:2], 3, v[10:11]
	s_mov_b32 s9, 0
	s_mov_b32 s4, exec_lo
	s_delay_alu instid0(VALU_DEP_1) | instskip(NEXT) | instid1(VALU_DEP_1)
	v_add_co_u32 v1, vcc_lo, s2, v1
	v_add_co_ci_u32_e64 v2, null, s3, v2, vcc_lo
	global_load_b64 v[1:2], v[1:2], off
	s_wait_loadcnt 0x0
	v_sub_co_u32 v8, vcc_lo, v1, s8
	s_wait_alu 0xfffd
	v_subrev_co_ci_u32_e64 v9, null, 0, v2, vcc_lo
	v_dual_mov_b32 v1, s8 :: v_dual_mov_b32 v2, s9
.LBB51_6:
	s_wait_alu 0xfffe
	s_or_b32 exec_lo, exec_lo, s6
	s_delay_alu instid0(SALU_CYCLE_1)
	s_and_b32 vcc_lo, exec_lo, s5
	s_wait_alu 0xfffe
	s_cbranch_vccnz .LBB51_10
.LBB51_7:
	s_wait_alu 0xfffe
	s_and_b32 exec_lo, exec_lo, s4
	s_cbranch_execnz .LBB51_13
.LBB51_8:
	s_endpgm
.LBB51_9:
	s_mov_b32 s4, 0
                                        ; implicit-def: $vgpr8_vgpr9
                                        ; implicit-def: $vgpr1_vgpr2
	s_cbranch_execz .LBB51_7
.LBB51_10:
	s_load_b64 s[2:3], s[0:1], 0x0
	s_wait_kmcnt 0x0
	v_cmp_gt_i64_e32 vcc_lo, s[2:3], v[10:11]
	s_and_saveexec_b32 s2, vcc_lo
; %bb.11:
	s_mov_b32 s9, 0
	s_or_b32 s4, s4, exec_lo
; %bb.12:
	s_wait_alu 0xfffe
	s_or_b32 exec_lo, exec_lo, s2
	v_dual_mov_b32 v1, s8 :: v_dual_mov_b32 v2, s9
	v_dual_mov_b32 v8, v10 :: v_dual_mov_b32 v9, v11
	s_and_b32 exec_lo, exec_lo, s4
	s_cbranch_execz .LBB51_8
.LBB51_13:
	s_load_b256 s[4:11], s[0:1], 0x28
	s_delay_alu instid0(VALU_DEP_1) | instskip(SKIP_2) | instid1(VALU_DEP_2)
	v_lshlrev_b64_e32 v[10:11], 3, v[8:9]
	v_and_b32_e32 v0, 7, v0
	s_wait_kmcnt 0x0
	v_add_co_u32 v12, vcc_lo, s4, v10
	s_wait_alu 0xfffd
	s_delay_alu instid0(VALU_DEP_3)
	v_add_co_ci_u32_e64 v13, null, s5, v11, vcc_lo
	v_add_co_u32 v3, vcc_lo, s6, v10
	s_wait_alu 0xfffd
	v_add_co_ci_u32_e64 v10, null, s7, v11, vcc_lo
	global_load_b64 v[14:15], v[12:13], off
	v_add_co_u32 v12, vcc_lo, v12, 8
	s_wait_alu 0xfffd
	v_add_co_ci_u32_e64 v11, null, 0, v13, vcc_lo
	s_cmp_eq_u64 s[6:7], 0
	s_cselect_b32 vcc_lo, -1, 0
	s_wait_alu 0xfffe
	v_dual_cndmask_b32 v11, v10, v11 :: v_dual_cndmask_b32 v10, v3, v12
	global_load_b64 v[16:17], v[10:11], off
	s_clause 0x1
	s_load_b32 s3, s[0:1], 0x8
	s_load_b64 s[4:5], s[0:1], 0x48
	s_wait_kmcnt 0x0
	s_cmp_eq_u32 s3, 1
	s_wait_loadcnt 0x1
	v_sub_co_u32 v3, vcc_lo, v14, v1
	s_wait_alu 0xfffd
	v_sub_co_ci_u32_e64 v11, null, v15, v2, vcc_lo
	s_delay_alu instid0(VALU_DEP_2) | instskip(SKIP_1) | instid1(VALU_DEP_2)
	v_add_co_u32 v10, vcc_lo, v3, v0
	s_wait_alu 0xfffd
	v_add_co_ci_u32_e64 v11, null, 0, v11, vcc_lo
	s_delay_alu instid0(VALU_DEP_2) | instskip(NEXT) | instid1(VALU_DEP_1)
	v_mad_co_u64_u32 v[12:13], null, 0x48, v10, s[10:11]
	v_mov_b32_e32 v3, v13
	s_wait_dscnt 0x0
	s_delay_alu instid0(VALU_DEP_1)
	v_mad_co_u64_u32 v[13:14], null, 0x48, v11, v[3:4]
	s_wait_loadcnt 0x0
	v_sub_co_u32 v14, vcc_lo, v16, v1
	s_wait_alu 0xfffd
	v_sub_co_ci_u32_e64 v15, null, v17, v2, vcc_lo
	v_mov_b32_e32 v3, 0
	s_delay_alu instid0(VALU_DEP_2)
	v_cmp_lt_i64_e64 s2, v[10:11], v[14:15]
	s_cbranch_scc1 .LBB51_19
; %bb.14:
	v_dual_mov_b32 v24, 0 :: v_dual_mov_b32 v25, 0
	v_dual_mov_b32 v22, 0 :: v_dual_mov_b32 v23, 0
	v_mov_b32_e32 v26, 0
	s_and_saveexec_b32 s3, s2
	s_cbranch_execz .LBB51_18
; %bb.15:
	v_lshlrev_b64_e32 v[18:19], 3, v[10:11]
	v_mov_b32_e32 v17, v11
	v_dual_mov_b32 v21, v13 :: v_dual_mov_b32 v24, 0
	v_dual_mov_b32 v3, 0 :: v_dual_mov_b32 v16, v10
	s_delay_alu instid0(VALU_DEP_4)
	v_add_co_u32 v18, vcc_lo, s8, v18
	s_wait_alu 0xfffd
	v_add_co_ci_u32_e64 v19, null, s9, v19, vcc_lo
	v_dual_mov_b32 v20, v12 :: v_dual_mov_b32 v25, 0
	v_mov_b32_e32 v22, 0
	v_dual_mov_b32 v26, 0 :: v_dual_mov_b32 v23, 0
	s_mov_b32 s6, 0
.LBB51_16:                              ; =>This Inner Loop Header: Depth=1
	global_load_b64 v[39:40], v[18:19], off
	s_clause 0x2
	global_load_b128 v[27:30], v[20:21], off offset:48
	global_load_b128 v[31:34], v[20:21], off offset:16
	global_load_b128 v[35:38], v[20:21], off
	s_wait_loadcnt 0x3
	v_sub_co_u32 v39, vcc_lo, v39, v1
	s_wait_alu 0xfffd
	v_sub_co_ci_u32_e64 v40, null, v40, v2, vcc_lo
	s_delay_alu instid0(VALU_DEP_2) | instskip(NEXT) | instid1(VALU_DEP_1)
	v_mad_co_u64_u32 v[43:44], null, v39, 24, s[4:5]
	v_mov_b32_e32 v39, v44
	s_delay_alu instid0(VALU_DEP_1) | instskip(NEXT) | instid1(VALU_DEP_1)
	v_mad_co_u64_u32 v[39:40], null, v40, 24, v[39:40]
	v_mov_b32_e32 v44, v39
	s_clause 0x1
	global_load_b128 v[39:42], v[43:44], off
	global_load_b64 v[47:48], v[43:44], off offset:16
	s_clause 0x1
	global_load_b128 v[43:46], v[20:21], off offset:32
	global_load_b64 v[49:50], v[20:21], off offset:64
	v_add_co_u32 v20, vcc_lo, 0x240, v20
	s_wait_alu 0xfffd
	v_add_co_ci_u32_e64 v21, null, 0, v21, vcc_lo
	v_add_co_u32 v16, vcc_lo, v16, 8
	s_wait_alu 0xfffd
	v_add_co_ci_u32_e64 v17, null, 0, v17, vcc_lo
	;; [unrolled: 3-line block ×3, first 2 shown]
	s_delay_alu instid0(VALU_DEP_3)
	v_cmp_ge_i64_e32 vcc_lo, v[16:17], v[14:15]
	s_wait_alu 0xfffe
	s_or_b32 s6, vcc_lo, s6
	s_wait_loadcnt 0x3
	v_fmac_f32_e32 v3, v36, v39
	v_fmac_f32_e32 v26, v33, v39
	;; [unrolled: 1-line block ×4, first 2 shown]
	s_delay_alu instid0(VALU_DEP_4) | instskip(NEXT) | instid1(VALU_DEP_3)
	v_dual_fmac_f32 v3, v35, v40 :: v_dual_fmac_f32 v22, v28, v39
	v_fmac_f32_e32 v23, v33, v40
	s_delay_alu instid0(VALU_DEP_3) | instskip(SKIP_1) | instid1(VALU_DEP_4)
	v_fma_f32 v24, -v36, v40, v24
	v_fma_f32 v26, -v34, v40, v26
	v_dual_fmac_f32 v3, v38, v41 :: v_dual_fmac_f32 v22, v27, v40
	s_delay_alu instid0(VALU_DEP_3) | instskip(SKIP_1) | instid1(VALU_DEP_2)
	v_dual_fmac_f32 v25, v27, v39 :: v_dual_fmac_f32 v24, v37, v41
	s_wait_loadcnt 0x1
	v_dual_fmac_f32 v26, v43, v41 :: v_dual_fmac_f32 v3, v37, v42
	s_delay_alu instid0(VALU_DEP_3) | instskip(NEXT) | instid1(VALU_DEP_3)
	v_fmac_f32_e32 v22, v30, v41
	v_fma_f32 v25, -v28, v40, v25
	v_fmac_f32_e32 v23, v44, v41
	v_fma_f32 v24, -v38, v42, v24
	v_fma_f32 v26, -v44, v42, v26
	v_fmac_f32_e32 v22, v29, v42
	v_fmac_f32_e32 v25, v29, v41
	;; [unrolled: 1-line block ×5, first 2 shown]
	s_wait_loadcnt 0x0
	v_fmac_f32_e32 v22, v50, v47
	v_fma_f32 v25, -v30, v42, v25
	v_fmac_f32_e32 v3, v32, v47
	v_fmac_f32_e32 v23, v46, v47
	v_fma_f32 v24, -v32, v48, v24
	v_fma_f32 v26, -v46, v48, v26
	v_fmac_f32_e32 v25, v49, v47
	v_fmac_f32_e32 v22, v49, v48
	;; [unrolled: 1-line block ×4, first 2 shown]
	s_delay_alu instid0(VALU_DEP_4)
	v_fma_f32 v25, -v50, v48, v25
	s_wait_alu 0xfffe
	s_and_not1_b32 exec_lo, exec_lo, s6
	s_cbranch_execnz .LBB51_16
; %bb.17:
	s_or_b32 exec_lo, exec_lo, s6
.LBB51_18:
	s_wait_alu 0xfffe
	s_or_b32 exec_lo, exec_lo, s3
	s_cbranch_execz .LBB51_20
	s_branch .LBB51_25
.LBB51_19:
                                        ; implicit-def: $vgpr3
                                        ; implicit-def: $vgpr24
                                        ; implicit-def: $vgpr25
                                        ; implicit-def: $vgpr22
                                        ; implicit-def: $vgpr26
                                        ; implicit-def: $vgpr23
.LBB51_20:
	v_dual_mov_b32 v3, 0 :: v_dual_mov_b32 v24, 0
	v_dual_mov_b32 v25, 0 :: v_dual_mov_b32 v22, 0
	;; [unrolled: 1-line block ×3, first 2 shown]
	s_and_saveexec_b32 s3, s2
	s_cbranch_execz .LBB51_24
; %bb.21:
	v_lshlrev_b64_e32 v[16:17], 3, v[10:11]
	v_dual_mov_b32 v3, 0 :: v_dual_mov_b32 v24, 0
	v_dual_mov_b32 v25, 0 :: v_dual_mov_b32 v22, 0
	;; [unrolled: 1-line block ×3, first 2 shown]
	s_delay_alu instid0(VALU_DEP_4)
	v_add_co_u32 v16, vcc_lo, s8, v16
	s_wait_alu 0xfffd
	v_add_co_ci_u32_e64 v17, null, s9, v17, vcc_lo
	s_mov_b32 s2, 0
.LBB51_22:                              ; =>This Inner Loop Header: Depth=1
	global_load_b64 v[31:32], v[16:17], off
	s_clause 0x1
	global_load_b128 v[18:21], v[12:13], off offset:16
	global_load_b128 v[27:30], v[12:13], off
	s_wait_loadcnt 0x2
	v_sub_co_u32 v31, vcc_lo, v31, v1
	s_wait_alu 0xfffd
	v_sub_co_ci_u32_e64 v32, null, v32, v2, vcc_lo
	s_delay_alu instid0(VALU_DEP_2) | instskip(NEXT) | instid1(VALU_DEP_1)
	v_mad_co_u64_u32 v[35:36], null, v31, 24, s[4:5]
	v_mov_b32_e32 v31, v36
	s_delay_alu instid0(VALU_DEP_1) | instskip(NEXT) | instid1(VALU_DEP_1)
	v_mad_co_u64_u32 v[31:32], null, v32, 24, v[31:32]
	v_mov_b32_e32 v36, v31
	s_clause 0x1
	global_load_b128 v[31:34], v[35:36], off
	global_load_b64 v[43:44], v[35:36], off offset:16
	s_clause 0x2
	global_load_b128 v[35:38], v[12:13], off offset:32
	global_load_b128 v[39:42], v[12:13], off offset:48
	global_load_b64 v[45:46], v[12:13], off offset:64
	v_add_co_u32 v12, vcc_lo, 0x240, v12
	s_wait_alu 0xfffd
	v_add_co_ci_u32_e64 v13, null, 0, v13, vcc_lo
	v_add_co_u32 v10, vcc_lo, v10, 8
	s_wait_alu 0xfffd
	v_add_co_ci_u32_e64 v11, null, 0, v11, vcc_lo
	;; [unrolled: 3-line block ×3, first 2 shown]
	s_delay_alu instid0(VALU_DEP_3)
	v_cmp_ge_i64_e32 vcc_lo, v[10:11], v[14:15]
	s_wait_alu 0xfffe
	s_or_b32 s2, vcc_lo, s2
	s_wait_loadcnt 0x4
	v_fmac_f32_e32 v3, v28, v31
	v_fmac_f32_e32 v26, v29, v31
	v_fmac_f32_e32 v23, v30, v31
	v_fmac_f32_e32 v24, v27, v31
	s_delay_alu instid0(VALU_DEP_4)
	v_fmac_f32_e32 v3, v27, v32
	v_fmac_f32_e32 v22, v19, v31
	v_fma_f32 v26, -v30, v32, v26
	v_fmac_f32_e32 v25, v18, v31
	v_fmac_f32_e32 v23, v29, v32
	v_fma_f32 v24, -v28, v32, v24
	v_dual_fmac_f32 v3, v21, v33 :: v_dual_fmac_f32 v22, v18, v32
	s_wait_loadcnt 0x2
	v_fmac_f32_e32 v26, v35, v33
	v_fma_f32 v19, -v19, v32, v25
	v_fmac_f32_e32 v24, v20, v33
	v_dual_fmac_f32 v3, v20, v34 :: v_dual_fmac_f32 v22, v38, v33
	v_fmac_f32_e32 v23, v36, v33
	v_fma_f32 v20, -v36, v34, v26
	s_delay_alu instid0(VALU_DEP_4)
	v_fma_f32 v18, -v21, v34, v24
	v_fmac_f32_e32 v19, v37, v33
	v_fmac_f32_e32 v22, v37, v34
	s_wait_loadcnt 0x1
	v_dual_fmac_f32 v23, v35, v34 :: v_dual_fmac_f32 v20, v41, v43
	v_fmac_f32_e32 v18, v39, v43
	v_fma_f32 v19, -v38, v34, v19
	s_wait_loadcnt 0x0
	v_fmac_f32_e32 v22, v46, v43
	v_fmac_f32_e32 v3, v40, v43
	;; [unrolled: 1-line block ×3, first 2 shown]
	v_fma_f32 v24, -v40, v44, v18
	v_fmac_f32_e32 v19, v45, v43
	v_fma_f32 v26, -v42, v44, v20
	v_fmac_f32_e32 v22, v45, v44
	v_fmac_f32_e32 v3, v39, v44
	;; [unrolled: 1-line block ×3, first 2 shown]
	v_fma_f32 v25, -v46, v44, v19
	s_wait_alu 0xfffe
	s_and_not1_b32 exec_lo, exec_lo, s2
	s_cbranch_execnz .LBB51_22
; %bb.23:
	s_or_b32 exec_lo, exec_lo, s2
.LBB51_24:
	s_wait_alu 0xfffe
	s_or_b32 exec_lo, exec_lo, s3
.LBB51_25:
	v_mbcnt_lo_u32_b32 v1, -1, 0
	s_delay_alu instid0(VALU_DEP_1) | instskip(SKIP_2) | instid1(VALU_DEP_3)
	v_xor_b32_e32 v2, 4, v1
	v_xor_b32_e32 v15, 2, v1
	v_xor_b32_e32 v20, 1, v1
	v_cmp_gt_i32_e32 vcc_lo, 32, v2
	s_wait_alu 0xfffd
	v_cndmask_b32_e32 v2, v1, v2, vcc_lo
	v_cmp_gt_i32_e32 vcc_lo, 32, v15
	s_wait_alu 0xfffd
	v_cndmask_b32_e32 v15, v1, v15, vcc_lo
	v_cmp_gt_i32_e32 vcc_lo, 32, v20
	s_delay_alu instid0(VALU_DEP_2)
	v_lshlrev_b32_e32 v15, 2, v15
	v_lshlrev_b32_e32 v2, 2, v2
	ds_bpermute_b32 v11, v2, v3
	s_wait_dscnt 0x0
	v_add_f32_e32 v3, v3, v11
	ds_bpermute_b32 v10, v2, v24
	ds_bpermute_b32 v12, v2, v26
	;; [unrolled: 1-line block ×6, first 2 shown]
	s_wait_dscnt 0x4
	v_dual_add_f32 v10, v24, v10 :: v_dual_add_f32 v11, v26, v12
	s_wait_dscnt 0x3
	v_add_f32_e32 v12, v23, v13
	ds_bpermute_b32 v17, v15, v11
	ds_bpermute_b32 v18, v15, v12
	s_wait_alu 0xfffd
	v_cndmask_b32_e32 v1, v1, v20, vcc_lo
	s_wait_dscnt 0x4
	v_add_f32_e32 v13, v25, v14
	s_wait_dscnt 0x3
	v_add_f32_e32 v14, v22, v2
	ds_bpermute_b32 v2, v15, v10
	v_cmp_eq_u32_e32 vcc_lo, 7, v0
	v_lshlrev_b32_e32 v20, 2, v1
	ds_bpermute_b32 v19, v15, v13
	s_wait_dscnt 0x1
	v_dual_add_f32 v1, v10, v2 :: v_dual_add_f32 v2, v3, v16
	v_add_f32_e32 v3, v11, v17
	ds_bpermute_b32 v15, v15, v14
	s_wait_dscnt 0x1
	v_dual_add_f32 v10, v12, v18 :: v_dual_add_f32 v11, v13, v19
	ds_bpermute_b32 v13, v20, v1
	ds_bpermute_b32 v16, v20, v10
	;; [unrolled: 1-line block ×3, first 2 shown]
	s_wait_dscnt 0x3
	v_add_f32_e32 v12, v14, v15
	ds_bpermute_b32 v14, v20, v2
	ds_bpermute_b32 v15, v20, v3
	;; [unrolled: 1-line block ×3, first 2 shown]
	s_and_b32 exec_lo, exec_lo, vcc_lo
	s_cbranch_execz .LBB51_8
; %bb.26:
	s_load_b64 s[2:3], s[0:1], 0x58
	s_wait_dscnt 0x5
	v_add_f32_e32 v13, v1, v13
	s_wait_dscnt 0x1
	v_dual_add_f32 v1, v2, v14 :: v_dual_add_f32 v14, v3, v15
	v_add_f32_e32 v3, v10, v16
	v_cmp_eq_f32_e32 vcc_lo, 0, v4
	v_cmp_eq_f32_e64 s0, 0, v5
	s_delay_alu instid0(VALU_DEP_4)
	v_mul_f32_e64 v0, v1, -v7
	v_mul_f32_e32 v1, v6, v1
	v_mul_f32_e64 v2, v3, -v7
	v_add_f32_e32 v15, v11, v17
	s_wait_dscnt 0x0
	v_dual_add_f32 v11, v12, v18 :: v_dual_fmac_f32 v0, v6, v13
	v_mul_f32_e32 v3, v6, v3
	v_fmac_f32_e32 v2, v6, v14
	s_and_b32 s0, vcc_lo, s0
	s_delay_alu instid0(VALU_DEP_3) | instskip(SKIP_2) | instid1(VALU_DEP_3)
	v_mul_f32_e64 v10, v11, -v7
	v_mul_f32_e32 v11, v6, v11
	v_fmac_f32_e32 v1, v7, v13
	v_dual_fmac_f32 v3, v7, v14 :: v_dual_fmac_f32 v10, v6, v15
	s_delay_alu instid0(VALU_DEP_3)
	v_fmac_f32_e32 v11, v7, v15
	s_wait_alu 0xfffe
	s_and_saveexec_b32 s1, s0
	s_wait_alu 0xfffe
	s_xor_b32 s0, exec_lo, s1
	s_cbranch_execz .LBB51_28
; %bb.27:
	s_wait_kmcnt 0x0
	v_mad_co_u64_u32 v[4:5], null, v8, 24, s[2:3]
	s_delay_alu instid0(VALU_DEP_1)
	v_mad_co_u64_u32 v[5:6], null, v9, 24, v[5:6]
                                        ; implicit-def: $vgpr8_vgpr9
	s_clause 0x1
	global_store_b128 v[4:5], v[0:3], off
	global_store_b64 v[4:5], v[10:11], off offset:16
                                        ; implicit-def: $vgpr4_vgpr5
                                        ; implicit-def: $vgpr0
                                        ; implicit-def: $vgpr10
.LBB51_28:
	s_wait_alu 0xfffe
	s_and_not1_saveexec_b32 s0, s0
	s_cbranch_execz .LBB51_8
; %bb.29:
	s_wait_kmcnt 0x0
	v_mad_co_u64_u32 v[12:13], null, v8, 24, s[2:3]
	s_delay_alu instid0(VALU_DEP_1) | instskip(NEXT) | instid1(VALU_DEP_1)
	v_mov_b32_e32 v6, v13
	v_mad_co_u64_u32 v[6:7], null, v9, 24, v[6:7]
	s_delay_alu instid0(VALU_DEP_1)
	v_mov_b32_e32 v13, v6
	s_clause 0x1
	global_load_b128 v[6:9], v[12:13], off
	global_load_b64 v[14:15], v[12:13], off offset:16
	s_wait_loadcnt 0x1
	v_fmac_f32_e32 v0, v4, v6
	v_dual_fmac_f32 v1, v5, v6 :: v_dual_fmac_f32 v2, v4, v8
	s_wait_loadcnt 0x0
	v_dual_fmac_f32 v3, v5, v8 :: v_dual_fmac_f32 v10, v4, v14
	v_fmac_f32_e32 v11, v5, v14
	v_fma_f32 v0, -v5, v7, v0
	v_fmac_f32_e32 v1, v4, v7
	v_fma_f32 v2, -v5, v9, v2
	;; [unrolled: 2-line block ×3, first 2 shown]
	v_fmac_f32_e32 v11, v4, v15
	s_clause 0x1
	global_store_b128 v[12:13], v[0:3], off
	global_store_b64 v[12:13], v[10:11], off offset:16
	s_endpgm
	.section	.rodata,"a",@progbits
	.p2align	6, 0x0
	.amdhsa_kernel _ZN9rocsparseL18bsrxmvn_3x3_kernelILj256ELj8E21rocsparse_complex_numIfEllS2_S2_S2_EEvT3_20rocsparse_direction_NS_24const_host_device_scalarIT1_EES3_PKS3_PKT2_SC_S9_PKT4_PKT5_S7_PT6_21rocsparse_index_base_b
		.amdhsa_group_segment_fixed_size 0
		.amdhsa_private_segment_fixed_size 0
		.amdhsa_kernarg_size 104
		.amdhsa_user_sgpr_count 2
		.amdhsa_user_sgpr_dispatch_ptr 0
		.amdhsa_user_sgpr_queue_ptr 0
		.amdhsa_user_sgpr_kernarg_segment_ptr 1
		.amdhsa_user_sgpr_dispatch_id 0
		.amdhsa_user_sgpr_private_segment_size 0
		.amdhsa_wavefront_size32 1
		.amdhsa_uses_dynamic_stack 0
		.amdhsa_enable_private_segment 0
		.amdhsa_system_sgpr_workgroup_id_x 1
		.amdhsa_system_sgpr_workgroup_id_y 0
		.amdhsa_system_sgpr_workgroup_id_z 0
		.amdhsa_system_sgpr_workgroup_info 0
		.amdhsa_system_vgpr_workitem_id 0
		.amdhsa_next_free_vgpr 51
		.amdhsa_next_free_sgpr 12
		.amdhsa_reserve_vcc 1
		.amdhsa_float_round_mode_32 0
		.amdhsa_float_round_mode_16_64 0
		.amdhsa_float_denorm_mode_32 3
		.amdhsa_float_denorm_mode_16_64 3
		.amdhsa_fp16_overflow 0
		.amdhsa_workgroup_processor_mode 1
		.amdhsa_memory_ordered 1
		.amdhsa_forward_progress 1
		.amdhsa_inst_pref_size 21
		.amdhsa_round_robin_scheduling 0
		.amdhsa_exception_fp_ieee_invalid_op 0
		.amdhsa_exception_fp_denorm_src 0
		.amdhsa_exception_fp_ieee_div_zero 0
		.amdhsa_exception_fp_ieee_overflow 0
		.amdhsa_exception_fp_ieee_underflow 0
		.amdhsa_exception_fp_ieee_inexact 0
		.amdhsa_exception_int_div_zero 0
	.end_amdhsa_kernel
	.section	.text._ZN9rocsparseL18bsrxmvn_3x3_kernelILj256ELj8E21rocsparse_complex_numIfEllS2_S2_S2_EEvT3_20rocsparse_direction_NS_24const_host_device_scalarIT1_EES3_PKS3_PKT2_SC_S9_PKT4_PKT5_S7_PT6_21rocsparse_index_base_b,"axG",@progbits,_ZN9rocsparseL18bsrxmvn_3x3_kernelILj256ELj8E21rocsparse_complex_numIfEllS2_S2_S2_EEvT3_20rocsparse_direction_NS_24const_host_device_scalarIT1_EES3_PKS3_PKT2_SC_S9_PKT4_PKT5_S7_PT6_21rocsparse_index_base_b,comdat
.Lfunc_end51:
	.size	_ZN9rocsparseL18bsrxmvn_3x3_kernelILj256ELj8E21rocsparse_complex_numIfEllS2_S2_S2_EEvT3_20rocsparse_direction_NS_24const_host_device_scalarIT1_EES3_PKS3_PKT2_SC_S9_PKT4_PKT5_S7_PT6_21rocsparse_index_base_b, .Lfunc_end51-_ZN9rocsparseL18bsrxmvn_3x3_kernelILj256ELj8E21rocsparse_complex_numIfEllS2_S2_S2_EEvT3_20rocsparse_direction_NS_24const_host_device_scalarIT1_EES3_PKS3_PKT2_SC_S9_PKT4_PKT5_S7_PT6_21rocsparse_index_base_b
                                        ; -- End function
	.set _ZN9rocsparseL18bsrxmvn_3x3_kernelILj256ELj8E21rocsparse_complex_numIfEllS2_S2_S2_EEvT3_20rocsparse_direction_NS_24const_host_device_scalarIT1_EES3_PKS3_PKT2_SC_S9_PKT4_PKT5_S7_PT6_21rocsparse_index_base_b.num_vgpr, 51
	.set _ZN9rocsparseL18bsrxmvn_3x3_kernelILj256ELj8E21rocsparse_complex_numIfEllS2_S2_S2_EEvT3_20rocsparse_direction_NS_24const_host_device_scalarIT1_EES3_PKS3_PKT2_SC_S9_PKT4_PKT5_S7_PT6_21rocsparse_index_base_b.num_agpr, 0
	.set _ZN9rocsparseL18bsrxmvn_3x3_kernelILj256ELj8E21rocsparse_complex_numIfEllS2_S2_S2_EEvT3_20rocsparse_direction_NS_24const_host_device_scalarIT1_EES3_PKS3_PKT2_SC_S9_PKT4_PKT5_S7_PT6_21rocsparse_index_base_b.numbered_sgpr, 12
	.set _ZN9rocsparseL18bsrxmvn_3x3_kernelILj256ELj8E21rocsparse_complex_numIfEllS2_S2_S2_EEvT3_20rocsparse_direction_NS_24const_host_device_scalarIT1_EES3_PKS3_PKT2_SC_S9_PKT4_PKT5_S7_PT6_21rocsparse_index_base_b.num_named_barrier, 0
	.set _ZN9rocsparseL18bsrxmvn_3x3_kernelILj256ELj8E21rocsparse_complex_numIfEllS2_S2_S2_EEvT3_20rocsparse_direction_NS_24const_host_device_scalarIT1_EES3_PKS3_PKT2_SC_S9_PKT4_PKT5_S7_PT6_21rocsparse_index_base_b.private_seg_size, 0
	.set _ZN9rocsparseL18bsrxmvn_3x3_kernelILj256ELj8E21rocsparse_complex_numIfEllS2_S2_S2_EEvT3_20rocsparse_direction_NS_24const_host_device_scalarIT1_EES3_PKS3_PKT2_SC_S9_PKT4_PKT5_S7_PT6_21rocsparse_index_base_b.uses_vcc, 1
	.set _ZN9rocsparseL18bsrxmvn_3x3_kernelILj256ELj8E21rocsparse_complex_numIfEllS2_S2_S2_EEvT3_20rocsparse_direction_NS_24const_host_device_scalarIT1_EES3_PKS3_PKT2_SC_S9_PKT4_PKT5_S7_PT6_21rocsparse_index_base_b.uses_flat_scratch, 0
	.set _ZN9rocsparseL18bsrxmvn_3x3_kernelILj256ELj8E21rocsparse_complex_numIfEllS2_S2_S2_EEvT3_20rocsparse_direction_NS_24const_host_device_scalarIT1_EES3_PKS3_PKT2_SC_S9_PKT4_PKT5_S7_PT6_21rocsparse_index_base_b.has_dyn_sized_stack, 0
	.set _ZN9rocsparseL18bsrxmvn_3x3_kernelILj256ELj8E21rocsparse_complex_numIfEllS2_S2_S2_EEvT3_20rocsparse_direction_NS_24const_host_device_scalarIT1_EES3_PKS3_PKT2_SC_S9_PKT4_PKT5_S7_PT6_21rocsparse_index_base_b.has_recursion, 0
	.set _ZN9rocsparseL18bsrxmvn_3x3_kernelILj256ELj8E21rocsparse_complex_numIfEllS2_S2_S2_EEvT3_20rocsparse_direction_NS_24const_host_device_scalarIT1_EES3_PKS3_PKT2_SC_S9_PKT4_PKT5_S7_PT6_21rocsparse_index_base_b.has_indirect_call, 0
	.section	.AMDGPU.csdata,"",@progbits
; Kernel info:
; codeLenInByte = 2580
; TotalNumSgprs: 14
; NumVgprs: 51
; ScratchSize: 0
; MemoryBound: 0
; FloatMode: 240
; IeeeMode: 1
; LDSByteSize: 0 bytes/workgroup (compile time only)
; SGPRBlocks: 0
; VGPRBlocks: 6
; NumSGPRsForWavesPerEU: 14
; NumVGPRsForWavesPerEU: 51
; Occupancy: 16
; WaveLimiterHint : 1
; COMPUTE_PGM_RSRC2:SCRATCH_EN: 0
; COMPUTE_PGM_RSRC2:USER_SGPR: 2
; COMPUTE_PGM_RSRC2:TRAP_HANDLER: 0
; COMPUTE_PGM_RSRC2:TGID_X_EN: 1
; COMPUTE_PGM_RSRC2:TGID_Y_EN: 0
; COMPUTE_PGM_RSRC2:TGID_Z_EN: 0
; COMPUTE_PGM_RSRC2:TIDIG_COMP_CNT: 0
	.section	.text._ZN9rocsparseL18bsrxmvn_3x3_kernelILj256ELj16E21rocsparse_complex_numIfEllS2_S2_S2_EEvT3_20rocsparse_direction_NS_24const_host_device_scalarIT1_EES3_PKS3_PKT2_SC_S9_PKT4_PKT5_S7_PT6_21rocsparse_index_base_b,"axG",@progbits,_ZN9rocsparseL18bsrxmvn_3x3_kernelILj256ELj16E21rocsparse_complex_numIfEllS2_S2_S2_EEvT3_20rocsparse_direction_NS_24const_host_device_scalarIT1_EES3_PKS3_PKT2_SC_S9_PKT4_PKT5_S7_PT6_21rocsparse_index_base_b,comdat
	.globl	_ZN9rocsparseL18bsrxmvn_3x3_kernelILj256ELj16E21rocsparse_complex_numIfEllS2_S2_S2_EEvT3_20rocsparse_direction_NS_24const_host_device_scalarIT1_EES3_PKS3_PKT2_SC_S9_PKT4_PKT5_S7_PT6_21rocsparse_index_base_b ; -- Begin function _ZN9rocsparseL18bsrxmvn_3x3_kernelILj256ELj16E21rocsparse_complex_numIfEllS2_S2_S2_EEvT3_20rocsparse_direction_NS_24const_host_device_scalarIT1_EES3_PKS3_PKT2_SC_S9_PKT4_PKT5_S7_PT6_21rocsparse_index_base_b
	.p2align	8
	.type	_ZN9rocsparseL18bsrxmvn_3x3_kernelILj256ELj16E21rocsparse_complex_numIfEllS2_S2_S2_EEvT3_20rocsparse_direction_NS_24const_host_device_scalarIT1_EES3_PKS3_PKT2_SC_S9_PKT4_PKT5_S7_PT6_21rocsparse_index_base_b,@function
_ZN9rocsparseL18bsrxmvn_3x3_kernelILj256ELj16E21rocsparse_complex_numIfEllS2_S2_S2_EEvT3_20rocsparse_direction_NS_24const_host_device_scalarIT1_EES3_PKS3_PKT2_SC_S9_PKT4_PKT5_S7_PT6_21rocsparse_index_base_b: ; @_ZN9rocsparseL18bsrxmvn_3x3_kernelILj256ELj16E21rocsparse_complex_numIfEllS2_S2_S2_EEvT3_20rocsparse_direction_NS_24const_host_device_scalarIT1_EES3_PKS3_PKT2_SC_S9_PKT4_PKT5_S7_PT6_21rocsparse_index_base_b
; %bb.0:
	s_clause 0x2
	s_load_b64 s[8:9], s[0:1], 0x60
	s_load_b128 s[4:7], s[0:1], 0x10
	s_load_b64 s[2:3], s[0:1], 0x50
	s_add_nc_u64 s[10:11], s[0:1], 16
	s_wait_kmcnt 0x0
	s_bitcmp1_b32 s9, 0
	s_cselect_b32 s4, s10, s4
	s_cselect_b32 s5, s11, s5
	s_delay_alu instid0(SALU_CYCLE_1)
	v_dual_mov_b32 v1, s4 :: v_dual_mov_b32 v2, s5
	s_add_nc_u64 s[4:5], s[0:1], 0x50
	s_wait_alu 0xfffe
	s_cselect_b32 s2, s4, s2
	s_cselect_b32 s3, s5, s3
	flat_load_b64 v[6:7], v[1:2]
	v_dual_mov_b32 v1, s2 :: v_dual_mov_b32 v2, s3
	flat_load_b64 v[4:5], v[1:2]
	s_wait_loadcnt_dscnt 0x101
	v_cmp_eq_f32_e32 vcc_lo, 0, v6
	v_cmp_eq_f32_e64 s2, 0, v7
	s_and_b32 s4, vcc_lo, s2
	s_mov_b32 s2, -1
	s_wait_alu 0xfffe
	s_and_saveexec_b32 s3, s4
	s_cbranch_execz .LBB52_2
; %bb.1:
	s_wait_loadcnt_dscnt 0x0
	v_cmp_neq_f32_e32 vcc_lo, 1.0, v4
	v_cmp_neq_f32_e64 s2, 0, v5
	s_or_b32 s2, vcc_lo, s2
	s_wait_alu 0xfffe
	s_or_not1_b32 s2, s2, exec_lo
.LBB52_2:
	s_wait_alu 0xfffe
	s_or_b32 exec_lo, exec_lo, s3
	s_and_saveexec_b32 s3, s2
	s_cbranch_execz .LBB52_8
; %bb.3:
	s_load_b64 s[2:3], s[0:1], 0x20
	v_lshrrev_b32_e32 v1, 4, v0
	v_mov_b32_e32 v11, 0
	s_delay_alu instid0(VALU_DEP_2)
	v_lshl_or_b32 v10, ttmp9, 4, v1
	s_wait_kmcnt 0x0
	s_cmp_lg_u64 s[2:3], 0
	s_cbranch_scc0 .LBB52_9
; %bb.4:
	s_delay_alu instid0(VALU_DEP_1)
	v_cmp_gt_i64_e32 vcc_lo, s[6:7], v[10:11]
	s_mov_b32 s5, 0
	s_mov_b32 s4, 0
                                        ; implicit-def: $vgpr8_vgpr9
                                        ; implicit-def: $vgpr1_vgpr2
	s_and_saveexec_b32 s6, vcc_lo
	s_wait_alu 0xfffe
	s_xor_b32 s6, exec_lo, s6
	s_cbranch_execz .LBB52_6
; %bb.5:
	v_lshlrev_b64_e32 v[1:2], 3, v[10:11]
	s_mov_b32 s9, 0
	s_mov_b32 s4, exec_lo
	s_delay_alu instid0(VALU_DEP_1) | instskip(NEXT) | instid1(VALU_DEP_1)
	v_add_co_u32 v1, vcc_lo, s2, v1
	v_add_co_ci_u32_e64 v2, null, s3, v2, vcc_lo
	global_load_b64 v[1:2], v[1:2], off
	s_wait_loadcnt 0x0
	v_sub_co_u32 v8, vcc_lo, v1, s8
	s_wait_alu 0xfffd
	v_subrev_co_ci_u32_e64 v9, null, 0, v2, vcc_lo
	v_dual_mov_b32 v1, s8 :: v_dual_mov_b32 v2, s9
.LBB52_6:
	s_wait_alu 0xfffe
	s_or_b32 exec_lo, exec_lo, s6
	s_delay_alu instid0(SALU_CYCLE_1)
	s_and_b32 vcc_lo, exec_lo, s5
	s_wait_alu 0xfffe
	s_cbranch_vccnz .LBB52_10
.LBB52_7:
	s_wait_alu 0xfffe
	s_and_b32 exec_lo, exec_lo, s4
	s_cbranch_execnz .LBB52_13
.LBB52_8:
	s_endpgm
.LBB52_9:
	s_mov_b32 s4, 0
                                        ; implicit-def: $vgpr8_vgpr9
                                        ; implicit-def: $vgpr1_vgpr2
	s_cbranch_execz .LBB52_7
.LBB52_10:
	s_load_b64 s[2:3], s[0:1], 0x0
	s_wait_kmcnt 0x0
	v_cmp_gt_i64_e32 vcc_lo, s[2:3], v[10:11]
	s_and_saveexec_b32 s2, vcc_lo
; %bb.11:
	s_mov_b32 s9, 0
	s_or_b32 s4, s4, exec_lo
; %bb.12:
	s_wait_alu 0xfffe
	s_or_b32 exec_lo, exec_lo, s2
	v_dual_mov_b32 v1, s8 :: v_dual_mov_b32 v2, s9
	v_dual_mov_b32 v8, v10 :: v_dual_mov_b32 v9, v11
	s_and_b32 exec_lo, exec_lo, s4
	s_cbranch_execz .LBB52_8
.LBB52_13:
	s_load_b256 s[4:11], s[0:1], 0x28
	s_delay_alu instid0(VALU_DEP_1) | instskip(SKIP_2) | instid1(VALU_DEP_2)
	v_lshlrev_b64_e32 v[10:11], 3, v[8:9]
	v_and_b32_e32 v0, 15, v0
	s_wait_kmcnt 0x0
	v_add_co_u32 v12, vcc_lo, s4, v10
	s_wait_alu 0xfffd
	s_delay_alu instid0(VALU_DEP_3)
	v_add_co_ci_u32_e64 v13, null, s5, v11, vcc_lo
	v_add_co_u32 v3, vcc_lo, s6, v10
	s_wait_alu 0xfffd
	v_add_co_ci_u32_e64 v10, null, s7, v11, vcc_lo
	global_load_b64 v[14:15], v[12:13], off
	v_add_co_u32 v12, vcc_lo, v12, 8
	s_wait_alu 0xfffd
	v_add_co_ci_u32_e64 v11, null, 0, v13, vcc_lo
	s_cmp_eq_u64 s[6:7], 0
	s_cselect_b32 vcc_lo, -1, 0
	s_wait_alu 0xfffe
	v_dual_cndmask_b32 v11, v10, v11 :: v_dual_cndmask_b32 v10, v3, v12
	global_load_b64 v[16:17], v[10:11], off
	s_clause 0x1
	s_load_b32 s3, s[0:1], 0x8
	s_load_b64 s[4:5], s[0:1], 0x48
	s_wait_kmcnt 0x0
	s_cmp_eq_u32 s3, 1
	s_wait_loadcnt 0x1
	v_sub_co_u32 v3, vcc_lo, v14, v1
	s_wait_alu 0xfffd
	v_sub_co_ci_u32_e64 v11, null, v15, v2, vcc_lo
	s_delay_alu instid0(VALU_DEP_2) | instskip(SKIP_1) | instid1(VALU_DEP_2)
	v_add_co_u32 v10, vcc_lo, v3, v0
	s_wait_alu 0xfffd
	v_add_co_ci_u32_e64 v11, null, 0, v11, vcc_lo
	s_delay_alu instid0(VALU_DEP_2) | instskip(NEXT) | instid1(VALU_DEP_1)
	v_mad_co_u64_u32 v[12:13], null, 0x48, v10, s[10:11]
	v_mov_b32_e32 v3, v13
	s_wait_dscnt 0x0
	s_delay_alu instid0(VALU_DEP_1)
	v_mad_co_u64_u32 v[13:14], null, 0x48, v11, v[3:4]
	s_wait_loadcnt 0x0
	v_sub_co_u32 v14, vcc_lo, v16, v1
	s_wait_alu 0xfffd
	v_sub_co_ci_u32_e64 v15, null, v17, v2, vcc_lo
	v_mov_b32_e32 v3, 0
	s_delay_alu instid0(VALU_DEP_2)
	v_cmp_lt_i64_e64 s2, v[10:11], v[14:15]
	s_cbranch_scc1 .LBB52_19
; %bb.14:
	v_dual_mov_b32 v24, 0 :: v_dual_mov_b32 v25, 0
	v_dual_mov_b32 v22, 0 :: v_dual_mov_b32 v23, 0
	v_mov_b32_e32 v26, 0
	s_and_saveexec_b32 s3, s2
	s_cbranch_execz .LBB52_18
; %bb.15:
	v_lshlrev_b64_e32 v[18:19], 3, v[10:11]
	v_mov_b32_e32 v17, v11
	v_dual_mov_b32 v21, v13 :: v_dual_mov_b32 v24, 0
	v_dual_mov_b32 v3, 0 :: v_dual_mov_b32 v16, v10
	s_delay_alu instid0(VALU_DEP_4)
	v_add_co_u32 v18, vcc_lo, s8, v18
	s_wait_alu 0xfffd
	v_add_co_ci_u32_e64 v19, null, s9, v19, vcc_lo
	v_dual_mov_b32 v20, v12 :: v_dual_mov_b32 v25, 0
	v_mov_b32_e32 v22, 0
	v_dual_mov_b32 v26, 0 :: v_dual_mov_b32 v23, 0
	s_mov_b32 s6, 0
.LBB52_16:                              ; =>This Inner Loop Header: Depth=1
	global_load_b64 v[39:40], v[18:19], off
	s_clause 0x2
	global_load_b128 v[27:30], v[20:21], off offset:48
	global_load_b128 v[31:34], v[20:21], off offset:16
	global_load_b128 v[35:38], v[20:21], off
	s_wait_loadcnt 0x3
	v_sub_co_u32 v39, vcc_lo, v39, v1
	s_wait_alu 0xfffd
	v_sub_co_ci_u32_e64 v40, null, v40, v2, vcc_lo
	s_delay_alu instid0(VALU_DEP_2) | instskip(NEXT) | instid1(VALU_DEP_1)
	v_mad_co_u64_u32 v[43:44], null, v39, 24, s[4:5]
	v_mov_b32_e32 v39, v44
	s_delay_alu instid0(VALU_DEP_1) | instskip(NEXT) | instid1(VALU_DEP_1)
	v_mad_co_u64_u32 v[39:40], null, v40, 24, v[39:40]
	v_mov_b32_e32 v44, v39
	s_clause 0x1
	global_load_b128 v[39:42], v[43:44], off
	global_load_b64 v[47:48], v[43:44], off offset:16
	s_clause 0x1
	global_load_b128 v[43:46], v[20:21], off offset:32
	global_load_b64 v[49:50], v[20:21], off offset:64
	v_add_co_u32 v20, vcc_lo, 0x480, v20
	s_wait_alu 0xfffd
	v_add_co_ci_u32_e64 v21, null, 0, v21, vcc_lo
	v_add_co_u32 v16, vcc_lo, v16, 16
	s_wait_alu 0xfffd
	v_add_co_ci_u32_e64 v17, null, 0, v17, vcc_lo
	;; [unrolled: 3-line block ×3, first 2 shown]
	s_delay_alu instid0(VALU_DEP_3)
	v_cmp_ge_i64_e32 vcc_lo, v[16:17], v[14:15]
	s_wait_alu 0xfffe
	s_or_b32 s6, vcc_lo, s6
	s_wait_loadcnt 0x3
	v_fmac_f32_e32 v3, v36, v39
	v_fmac_f32_e32 v26, v33, v39
	;; [unrolled: 1-line block ×4, first 2 shown]
	s_delay_alu instid0(VALU_DEP_4) | instskip(NEXT) | instid1(VALU_DEP_3)
	v_dual_fmac_f32 v3, v35, v40 :: v_dual_fmac_f32 v22, v28, v39
	v_fmac_f32_e32 v23, v33, v40
	s_delay_alu instid0(VALU_DEP_3) | instskip(SKIP_1) | instid1(VALU_DEP_4)
	v_fma_f32 v24, -v36, v40, v24
	v_fma_f32 v26, -v34, v40, v26
	v_dual_fmac_f32 v3, v38, v41 :: v_dual_fmac_f32 v22, v27, v40
	s_delay_alu instid0(VALU_DEP_3) | instskip(SKIP_1) | instid1(VALU_DEP_2)
	v_dual_fmac_f32 v25, v27, v39 :: v_dual_fmac_f32 v24, v37, v41
	s_wait_loadcnt 0x1
	v_dual_fmac_f32 v26, v43, v41 :: v_dual_fmac_f32 v3, v37, v42
	s_delay_alu instid0(VALU_DEP_3) | instskip(NEXT) | instid1(VALU_DEP_3)
	v_fmac_f32_e32 v22, v30, v41
	v_fma_f32 v25, -v28, v40, v25
	v_fmac_f32_e32 v23, v44, v41
	v_fma_f32 v24, -v38, v42, v24
	v_fma_f32 v26, -v44, v42, v26
	v_fmac_f32_e32 v22, v29, v42
	v_fmac_f32_e32 v25, v29, v41
	;; [unrolled: 1-line block ×5, first 2 shown]
	s_wait_loadcnt 0x0
	v_fmac_f32_e32 v22, v50, v47
	v_fma_f32 v25, -v30, v42, v25
	v_fmac_f32_e32 v3, v32, v47
	v_fmac_f32_e32 v23, v46, v47
	v_fma_f32 v24, -v32, v48, v24
	v_fma_f32 v26, -v46, v48, v26
	v_fmac_f32_e32 v25, v49, v47
	v_fmac_f32_e32 v22, v49, v48
	;; [unrolled: 1-line block ×4, first 2 shown]
	s_delay_alu instid0(VALU_DEP_4)
	v_fma_f32 v25, -v50, v48, v25
	s_wait_alu 0xfffe
	s_and_not1_b32 exec_lo, exec_lo, s6
	s_cbranch_execnz .LBB52_16
; %bb.17:
	s_or_b32 exec_lo, exec_lo, s6
.LBB52_18:
	s_wait_alu 0xfffe
	s_or_b32 exec_lo, exec_lo, s3
	s_cbranch_execz .LBB52_20
	s_branch .LBB52_25
.LBB52_19:
                                        ; implicit-def: $vgpr3
                                        ; implicit-def: $vgpr24
                                        ; implicit-def: $vgpr25
                                        ; implicit-def: $vgpr22
                                        ; implicit-def: $vgpr26
                                        ; implicit-def: $vgpr23
.LBB52_20:
	v_dual_mov_b32 v3, 0 :: v_dual_mov_b32 v24, 0
	v_dual_mov_b32 v25, 0 :: v_dual_mov_b32 v22, 0
	v_dual_mov_b32 v26, 0 :: v_dual_mov_b32 v23, 0
	s_and_saveexec_b32 s3, s2
	s_cbranch_execz .LBB52_24
; %bb.21:
	v_lshlrev_b64_e32 v[16:17], 3, v[10:11]
	v_dual_mov_b32 v3, 0 :: v_dual_mov_b32 v24, 0
	v_dual_mov_b32 v25, 0 :: v_dual_mov_b32 v22, 0
	;; [unrolled: 1-line block ×3, first 2 shown]
	s_delay_alu instid0(VALU_DEP_4)
	v_add_co_u32 v16, vcc_lo, s8, v16
	s_wait_alu 0xfffd
	v_add_co_ci_u32_e64 v17, null, s9, v17, vcc_lo
	s_mov_b32 s2, 0
.LBB52_22:                              ; =>This Inner Loop Header: Depth=1
	global_load_b64 v[31:32], v[16:17], off
	s_clause 0x1
	global_load_b128 v[18:21], v[12:13], off offset:16
	global_load_b128 v[27:30], v[12:13], off
	s_wait_loadcnt 0x2
	v_sub_co_u32 v31, vcc_lo, v31, v1
	s_wait_alu 0xfffd
	v_sub_co_ci_u32_e64 v32, null, v32, v2, vcc_lo
	s_delay_alu instid0(VALU_DEP_2) | instskip(NEXT) | instid1(VALU_DEP_1)
	v_mad_co_u64_u32 v[35:36], null, v31, 24, s[4:5]
	v_mov_b32_e32 v31, v36
	s_delay_alu instid0(VALU_DEP_1) | instskip(NEXT) | instid1(VALU_DEP_1)
	v_mad_co_u64_u32 v[31:32], null, v32, 24, v[31:32]
	v_mov_b32_e32 v36, v31
	s_clause 0x1
	global_load_b128 v[31:34], v[35:36], off
	global_load_b64 v[43:44], v[35:36], off offset:16
	s_clause 0x2
	global_load_b128 v[35:38], v[12:13], off offset:32
	global_load_b128 v[39:42], v[12:13], off offset:48
	global_load_b64 v[45:46], v[12:13], off offset:64
	v_add_co_u32 v12, vcc_lo, 0x480, v12
	s_wait_alu 0xfffd
	v_add_co_ci_u32_e64 v13, null, 0, v13, vcc_lo
	v_add_co_u32 v10, vcc_lo, v10, 16
	s_wait_alu 0xfffd
	v_add_co_ci_u32_e64 v11, null, 0, v11, vcc_lo
	v_add_co_u32 v16, vcc_lo, 0x80, v16
	s_wait_alu 0xfffd
	v_add_co_ci_u32_e64 v17, null, 0, v17, vcc_lo
	s_delay_alu instid0(VALU_DEP_3)
	v_cmp_ge_i64_e32 vcc_lo, v[10:11], v[14:15]
	s_wait_alu 0xfffe
	s_or_b32 s2, vcc_lo, s2
	s_wait_loadcnt 0x4
	v_fmac_f32_e32 v3, v28, v31
	v_fmac_f32_e32 v26, v29, v31
	;; [unrolled: 1-line block ×4, first 2 shown]
	s_delay_alu instid0(VALU_DEP_4)
	v_fmac_f32_e32 v3, v27, v32
	v_fmac_f32_e32 v22, v19, v31
	v_fma_f32 v26, -v30, v32, v26
	v_fmac_f32_e32 v25, v18, v31
	v_fmac_f32_e32 v23, v29, v32
	v_fma_f32 v24, -v28, v32, v24
	v_dual_fmac_f32 v3, v21, v33 :: v_dual_fmac_f32 v22, v18, v32
	s_wait_loadcnt 0x2
	v_fmac_f32_e32 v26, v35, v33
	v_fma_f32 v19, -v19, v32, v25
	v_fmac_f32_e32 v24, v20, v33
	v_dual_fmac_f32 v3, v20, v34 :: v_dual_fmac_f32 v22, v38, v33
	v_fmac_f32_e32 v23, v36, v33
	v_fma_f32 v20, -v36, v34, v26
	s_delay_alu instid0(VALU_DEP_4)
	v_fma_f32 v18, -v21, v34, v24
	v_fmac_f32_e32 v19, v37, v33
	v_fmac_f32_e32 v22, v37, v34
	s_wait_loadcnt 0x1
	v_dual_fmac_f32 v23, v35, v34 :: v_dual_fmac_f32 v20, v41, v43
	v_fmac_f32_e32 v18, v39, v43
	v_fma_f32 v19, -v38, v34, v19
	s_wait_loadcnt 0x0
	v_fmac_f32_e32 v22, v46, v43
	v_fmac_f32_e32 v3, v40, v43
	;; [unrolled: 1-line block ×3, first 2 shown]
	v_fma_f32 v24, -v40, v44, v18
	v_fmac_f32_e32 v19, v45, v43
	v_fma_f32 v26, -v42, v44, v20
	v_fmac_f32_e32 v22, v45, v44
	v_fmac_f32_e32 v3, v39, v44
	;; [unrolled: 1-line block ×3, first 2 shown]
	v_fma_f32 v25, -v46, v44, v19
	s_wait_alu 0xfffe
	s_and_not1_b32 exec_lo, exec_lo, s2
	s_cbranch_execnz .LBB52_22
; %bb.23:
	s_or_b32 exec_lo, exec_lo, s2
.LBB52_24:
	s_wait_alu 0xfffe
	s_or_b32 exec_lo, exec_lo, s3
.LBB52_25:
	v_mbcnt_lo_u32_b32 v1, -1, 0
	s_delay_alu instid0(VALU_DEP_1) | instskip(SKIP_2) | instid1(VALU_DEP_3)
	v_xor_b32_e32 v2, 8, v1
	v_xor_b32_e32 v15, 4, v1
	;; [unrolled: 1-line block ×3, first 2 shown]
	v_cmp_gt_i32_e32 vcc_lo, 32, v2
	s_wait_alu 0xfffd
	v_cndmask_b32_e32 v2, v1, v2, vcc_lo
	v_cmp_gt_i32_e32 vcc_lo, 32, v15
	s_wait_alu 0xfffd
	v_cndmask_b32_e32 v15, v1, v15, vcc_lo
	v_cmp_gt_i32_e32 vcc_lo, 32, v20
	s_delay_alu instid0(VALU_DEP_2)
	v_lshlrev_b32_e32 v15, 2, v15
	v_lshlrev_b32_e32 v2, 2, v2
	ds_bpermute_b32 v11, v2, v3
	s_wait_dscnt 0x0
	v_add_f32_e32 v3, v3, v11
	ds_bpermute_b32 v12, v2, v26
	ds_bpermute_b32 v13, v2, v23
	;; [unrolled: 1-line block ×6, first 2 shown]
	s_wait_dscnt 0x4
	v_dual_add_f32 v11, v26, v12 :: v_dual_add_f32 v12, v23, v13
	s_wait_dscnt 0x3
	v_add_f32_e32 v10, v24, v10
	s_wait_dscnt 0x0
	v_dual_add_f32 v2, v22, v2 :: v_dual_add_f32 v3, v3, v16
	ds_bpermute_b32 v17, v15, v11
	s_wait_alu 0xfffd
	v_cndmask_b32_e32 v20, v1, v20, vcc_lo
	ds_bpermute_b32 v18, v15, v12
	s_wait_dscnt 0x1
	v_add_f32_e32 v11, v11, v17
	v_dual_add_f32 v13, v25, v14 :: v_dual_lshlrev_b32 v20, 2, v20
	ds_bpermute_b32 v14, v15, v10
	s_wait_dscnt 0x1
	v_add_f32_e32 v12, v12, v18
	ds_bpermute_b32 v19, v15, v13
	ds_bpermute_b32 v15, v15, v2
	;; [unrolled: 1-line block ×4, first 2 shown]
	s_wait_dscnt 0x3
	v_dual_add_f32 v10, v10, v14 :: v_dual_add_f32 v13, v13, v19
	s_wait_dscnt 0x2
	v_add_f32_e32 v14, v2, v15
	ds_bpermute_b32 v2, v20, v10
	ds_bpermute_b32 v15, v20, v3
	;; [unrolled: 1-line block ×4, first 2 shown]
	v_xor_b32_e32 v20, 1, v1
	s_delay_alu instid0(VALU_DEP_1) | instskip(SKIP_4) | instid1(VALU_DEP_2)
	v_cmp_gt_i32_e32 vcc_lo, 32, v20
	s_wait_alu 0xfffd
	v_cndmask_b32_e32 v1, v1, v20, vcc_lo
	v_cmp_eq_u32_e32 vcc_lo, 15, v0
	s_wait_dscnt 0x3
	v_dual_add_f32 v1, v10, v2 :: v_dual_lshlrev_b32 v20, 2, v1
	s_wait_dscnt 0x2
	v_add_f32_e32 v2, v3, v15
	v_dual_add_f32 v3, v11, v16 :: v_dual_add_f32 v10, v12, v17
	s_wait_dscnt 0x0
	v_dual_add_f32 v11, v13, v18 :: v_dual_add_f32 v12, v14, v19
	ds_bpermute_b32 v13, v20, v1
	ds_bpermute_b32 v14, v20, v2
	;; [unrolled: 1-line block ×6, first 2 shown]
	s_and_b32 exec_lo, exec_lo, vcc_lo
	s_cbranch_execz .LBB52_8
; %bb.26:
	s_load_b64 s[2:3], s[0:1], 0x58
	s_wait_dscnt 0x5
	v_add_f32_e32 v13, v1, v13
	s_wait_dscnt 0x3
	v_dual_add_f32 v1, v2, v14 :: v_dual_add_f32 v14, v3, v15
	s_wait_dscnt 0x2
	v_add_f32_e32 v3, v10, v16
	v_cmp_eq_f32_e32 vcc_lo, 0, v4
	v_cmp_eq_f32_e64 s0, 0, v5
	v_mul_f32_e64 v0, v1, -v7
	v_mul_f32_e32 v1, v6, v1
	v_mul_f32_e64 v2, v3, -v7
	s_wait_dscnt 0x1
	v_add_f32_e32 v15, v11, v17
	s_wait_dscnt 0x0
	v_dual_add_f32 v11, v12, v18 :: v_dual_fmac_f32 v0, v6, v13
	v_mul_f32_e32 v3, v6, v3
	v_fmac_f32_e32 v2, v6, v14
	s_and_b32 s0, vcc_lo, s0
	s_delay_alu instid0(VALU_DEP_3) | instskip(SKIP_2) | instid1(VALU_DEP_3)
	v_mul_f32_e64 v10, v11, -v7
	v_mul_f32_e32 v11, v6, v11
	v_fmac_f32_e32 v1, v7, v13
	v_dual_fmac_f32 v3, v7, v14 :: v_dual_fmac_f32 v10, v6, v15
	s_delay_alu instid0(VALU_DEP_3)
	v_fmac_f32_e32 v11, v7, v15
	s_wait_alu 0xfffe
	s_and_saveexec_b32 s1, s0
	s_wait_alu 0xfffe
	s_xor_b32 s0, exec_lo, s1
	s_cbranch_execz .LBB52_28
; %bb.27:
	s_wait_kmcnt 0x0
	v_mad_co_u64_u32 v[4:5], null, v8, 24, s[2:3]
	s_delay_alu instid0(VALU_DEP_1)
	v_mad_co_u64_u32 v[5:6], null, v9, 24, v[5:6]
                                        ; implicit-def: $vgpr8_vgpr9
	s_clause 0x1
	global_store_b128 v[4:5], v[0:3], off
	global_store_b64 v[4:5], v[10:11], off offset:16
                                        ; implicit-def: $vgpr4_vgpr5
                                        ; implicit-def: $vgpr0
                                        ; implicit-def: $vgpr10
.LBB52_28:
	s_wait_alu 0xfffe
	s_and_not1_saveexec_b32 s0, s0
	s_cbranch_execz .LBB52_8
; %bb.29:
	s_wait_kmcnt 0x0
	v_mad_co_u64_u32 v[12:13], null, v8, 24, s[2:3]
	s_delay_alu instid0(VALU_DEP_1) | instskip(NEXT) | instid1(VALU_DEP_1)
	v_mov_b32_e32 v6, v13
	v_mad_co_u64_u32 v[6:7], null, v9, 24, v[6:7]
	s_delay_alu instid0(VALU_DEP_1)
	v_mov_b32_e32 v13, v6
	s_clause 0x1
	global_load_b128 v[6:9], v[12:13], off
	global_load_b64 v[14:15], v[12:13], off offset:16
	s_wait_loadcnt 0x1
	v_fmac_f32_e32 v0, v4, v6
	v_dual_fmac_f32 v1, v5, v6 :: v_dual_fmac_f32 v2, v4, v8
	s_wait_loadcnt 0x0
	v_dual_fmac_f32 v3, v5, v8 :: v_dual_fmac_f32 v10, v4, v14
	v_fmac_f32_e32 v11, v5, v14
	v_fma_f32 v0, -v5, v7, v0
	v_fmac_f32_e32 v1, v4, v7
	v_fma_f32 v2, -v5, v9, v2
	;; [unrolled: 2-line block ×3, first 2 shown]
	v_fmac_f32_e32 v11, v4, v15
	s_clause 0x1
	global_store_b128 v[12:13], v[0:3], off
	global_store_b64 v[12:13], v[10:11], off offset:16
	s_endpgm
	.section	.rodata,"a",@progbits
	.p2align	6, 0x0
	.amdhsa_kernel _ZN9rocsparseL18bsrxmvn_3x3_kernelILj256ELj16E21rocsparse_complex_numIfEllS2_S2_S2_EEvT3_20rocsparse_direction_NS_24const_host_device_scalarIT1_EES3_PKS3_PKT2_SC_S9_PKT4_PKT5_S7_PT6_21rocsparse_index_base_b
		.amdhsa_group_segment_fixed_size 0
		.amdhsa_private_segment_fixed_size 0
		.amdhsa_kernarg_size 104
		.amdhsa_user_sgpr_count 2
		.amdhsa_user_sgpr_dispatch_ptr 0
		.amdhsa_user_sgpr_queue_ptr 0
		.amdhsa_user_sgpr_kernarg_segment_ptr 1
		.amdhsa_user_sgpr_dispatch_id 0
		.amdhsa_user_sgpr_private_segment_size 0
		.amdhsa_wavefront_size32 1
		.amdhsa_uses_dynamic_stack 0
		.amdhsa_enable_private_segment 0
		.amdhsa_system_sgpr_workgroup_id_x 1
		.amdhsa_system_sgpr_workgroup_id_y 0
		.amdhsa_system_sgpr_workgroup_id_z 0
		.amdhsa_system_sgpr_workgroup_info 0
		.amdhsa_system_vgpr_workitem_id 0
		.amdhsa_next_free_vgpr 51
		.amdhsa_next_free_sgpr 12
		.amdhsa_reserve_vcc 1
		.amdhsa_float_round_mode_32 0
		.amdhsa_float_round_mode_16_64 0
		.amdhsa_float_denorm_mode_32 3
		.amdhsa_float_denorm_mode_16_64 3
		.amdhsa_fp16_overflow 0
		.amdhsa_workgroup_processor_mode 1
		.amdhsa_memory_ordered 1
		.amdhsa_forward_progress 1
		.amdhsa_inst_pref_size 22
		.amdhsa_round_robin_scheduling 0
		.amdhsa_exception_fp_ieee_invalid_op 0
		.amdhsa_exception_fp_denorm_src 0
		.amdhsa_exception_fp_ieee_div_zero 0
		.amdhsa_exception_fp_ieee_overflow 0
		.amdhsa_exception_fp_ieee_underflow 0
		.amdhsa_exception_fp_ieee_inexact 0
		.amdhsa_exception_int_div_zero 0
	.end_amdhsa_kernel
	.section	.text._ZN9rocsparseL18bsrxmvn_3x3_kernelILj256ELj16E21rocsparse_complex_numIfEllS2_S2_S2_EEvT3_20rocsparse_direction_NS_24const_host_device_scalarIT1_EES3_PKS3_PKT2_SC_S9_PKT4_PKT5_S7_PT6_21rocsparse_index_base_b,"axG",@progbits,_ZN9rocsparseL18bsrxmvn_3x3_kernelILj256ELj16E21rocsparse_complex_numIfEllS2_S2_S2_EEvT3_20rocsparse_direction_NS_24const_host_device_scalarIT1_EES3_PKS3_PKT2_SC_S9_PKT4_PKT5_S7_PT6_21rocsparse_index_base_b,comdat
.Lfunc_end52:
	.size	_ZN9rocsparseL18bsrxmvn_3x3_kernelILj256ELj16E21rocsparse_complex_numIfEllS2_S2_S2_EEvT3_20rocsparse_direction_NS_24const_host_device_scalarIT1_EES3_PKS3_PKT2_SC_S9_PKT4_PKT5_S7_PT6_21rocsparse_index_base_b, .Lfunc_end52-_ZN9rocsparseL18bsrxmvn_3x3_kernelILj256ELj16E21rocsparse_complex_numIfEllS2_S2_S2_EEvT3_20rocsparse_direction_NS_24const_host_device_scalarIT1_EES3_PKS3_PKT2_SC_S9_PKT4_PKT5_S7_PT6_21rocsparse_index_base_b
                                        ; -- End function
	.set _ZN9rocsparseL18bsrxmvn_3x3_kernelILj256ELj16E21rocsparse_complex_numIfEllS2_S2_S2_EEvT3_20rocsparse_direction_NS_24const_host_device_scalarIT1_EES3_PKS3_PKT2_SC_S9_PKT4_PKT5_S7_PT6_21rocsparse_index_base_b.num_vgpr, 51
	.set _ZN9rocsparseL18bsrxmvn_3x3_kernelILj256ELj16E21rocsparse_complex_numIfEllS2_S2_S2_EEvT3_20rocsparse_direction_NS_24const_host_device_scalarIT1_EES3_PKS3_PKT2_SC_S9_PKT4_PKT5_S7_PT6_21rocsparse_index_base_b.num_agpr, 0
	.set _ZN9rocsparseL18bsrxmvn_3x3_kernelILj256ELj16E21rocsparse_complex_numIfEllS2_S2_S2_EEvT3_20rocsparse_direction_NS_24const_host_device_scalarIT1_EES3_PKS3_PKT2_SC_S9_PKT4_PKT5_S7_PT6_21rocsparse_index_base_b.numbered_sgpr, 12
	.set _ZN9rocsparseL18bsrxmvn_3x3_kernelILj256ELj16E21rocsparse_complex_numIfEllS2_S2_S2_EEvT3_20rocsparse_direction_NS_24const_host_device_scalarIT1_EES3_PKS3_PKT2_SC_S9_PKT4_PKT5_S7_PT6_21rocsparse_index_base_b.num_named_barrier, 0
	.set _ZN9rocsparseL18bsrxmvn_3x3_kernelILj256ELj16E21rocsparse_complex_numIfEllS2_S2_S2_EEvT3_20rocsparse_direction_NS_24const_host_device_scalarIT1_EES3_PKS3_PKT2_SC_S9_PKT4_PKT5_S7_PT6_21rocsparse_index_base_b.private_seg_size, 0
	.set _ZN9rocsparseL18bsrxmvn_3x3_kernelILj256ELj16E21rocsparse_complex_numIfEllS2_S2_S2_EEvT3_20rocsparse_direction_NS_24const_host_device_scalarIT1_EES3_PKS3_PKT2_SC_S9_PKT4_PKT5_S7_PT6_21rocsparse_index_base_b.uses_vcc, 1
	.set _ZN9rocsparseL18bsrxmvn_3x3_kernelILj256ELj16E21rocsparse_complex_numIfEllS2_S2_S2_EEvT3_20rocsparse_direction_NS_24const_host_device_scalarIT1_EES3_PKS3_PKT2_SC_S9_PKT4_PKT5_S7_PT6_21rocsparse_index_base_b.uses_flat_scratch, 0
	.set _ZN9rocsparseL18bsrxmvn_3x3_kernelILj256ELj16E21rocsparse_complex_numIfEllS2_S2_S2_EEvT3_20rocsparse_direction_NS_24const_host_device_scalarIT1_EES3_PKS3_PKT2_SC_S9_PKT4_PKT5_S7_PT6_21rocsparse_index_base_b.has_dyn_sized_stack, 0
	.set _ZN9rocsparseL18bsrxmvn_3x3_kernelILj256ELj16E21rocsparse_complex_numIfEllS2_S2_S2_EEvT3_20rocsparse_direction_NS_24const_host_device_scalarIT1_EES3_PKS3_PKT2_SC_S9_PKT4_PKT5_S7_PT6_21rocsparse_index_base_b.has_recursion, 0
	.set _ZN9rocsparseL18bsrxmvn_3x3_kernelILj256ELj16E21rocsparse_complex_numIfEllS2_S2_S2_EEvT3_20rocsparse_direction_NS_24const_host_device_scalarIT1_EES3_PKS3_PKT2_SC_S9_PKT4_PKT5_S7_PT6_21rocsparse_index_base_b.has_indirect_call, 0
	.section	.AMDGPU.csdata,"",@progbits
; Kernel info:
; codeLenInByte = 2700
; TotalNumSgprs: 14
; NumVgprs: 51
; ScratchSize: 0
; MemoryBound: 0
; FloatMode: 240
; IeeeMode: 1
; LDSByteSize: 0 bytes/workgroup (compile time only)
; SGPRBlocks: 0
; VGPRBlocks: 6
; NumSGPRsForWavesPerEU: 14
; NumVGPRsForWavesPerEU: 51
; Occupancy: 16
; WaveLimiterHint : 1
; COMPUTE_PGM_RSRC2:SCRATCH_EN: 0
; COMPUTE_PGM_RSRC2:USER_SGPR: 2
; COMPUTE_PGM_RSRC2:TRAP_HANDLER: 0
; COMPUTE_PGM_RSRC2:TGID_X_EN: 1
; COMPUTE_PGM_RSRC2:TGID_Y_EN: 0
; COMPUTE_PGM_RSRC2:TGID_Z_EN: 0
; COMPUTE_PGM_RSRC2:TIDIG_COMP_CNT: 0
	.section	.text._ZN9rocsparseL18bsrxmvn_3x3_kernelILj256ELj32E21rocsparse_complex_numIfEllS2_S2_S2_EEvT3_20rocsparse_direction_NS_24const_host_device_scalarIT1_EES3_PKS3_PKT2_SC_S9_PKT4_PKT5_S7_PT6_21rocsparse_index_base_b,"axG",@progbits,_ZN9rocsparseL18bsrxmvn_3x3_kernelILj256ELj32E21rocsparse_complex_numIfEllS2_S2_S2_EEvT3_20rocsparse_direction_NS_24const_host_device_scalarIT1_EES3_PKS3_PKT2_SC_S9_PKT4_PKT5_S7_PT6_21rocsparse_index_base_b,comdat
	.globl	_ZN9rocsparseL18bsrxmvn_3x3_kernelILj256ELj32E21rocsparse_complex_numIfEllS2_S2_S2_EEvT3_20rocsparse_direction_NS_24const_host_device_scalarIT1_EES3_PKS3_PKT2_SC_S9_PKT4_PKT5_S7_PT6_21rocsparse_index_base_b ; -- Begin function _ZN9rocsparseL18bsrxmvn_3x3_kernelILj256ELj32E21rocsparse_complex_numIfEllS2_S2_S2_EEvT3_20rocsparse_direction_NS_24const_host_device_scalarIT1_EES3_PKS3_PKT2_SC_S9_PKT4_PKT5_S7_PT6_21rocsparse_index_base_b
	.p2align	8
	.type	_ZN9rocsparseL18bsrxmvn_3x3_kernelILj256ELj32E21rocsparse_complex_numIfEllS2_S2_S2_EEvT3_20rocsparse_direction_NS_24const_host_device_scalarIT1_EES3_PKS3_PKT2_SC_S9_PKT4_PKT5_S7_PT6_21rocsparse_index_base_b,@function
_ZN9rocsparseL18bsrxmvn_3x3_kernelILj256ELj32E21rocsparse_complex_numIfEllS2_S2_S2_EEvT3_20rocsparse_direction_NS_24const_host_device_scalarIT1_EES3_PKS3_PKT2_SC_S9_PKT4_PKT5_S7_PT6_21rocsparse_index_base_b: ; @_ZN9rocsparseL18bsrxmvn_3x3_kernelILj256ELj32E21rocsparse_complex_numIfEllS2_S2_S2_EEvT3_20rocsparse_direction_NS_24const_host_device_scalarIT1_EES3_PKS3_PKT2_SC_S9_PKT4_PKT5_S7_PT6_21rocsparse_index_base_b
; %bb.0:
	s_clause 0x2
	s_load_b64 s[8:9], s[0:1], 0x60
	s_load_b128 s[4:7], s[0:1], 0x10
	s_load_b64 s[2:3], s[0:1], 0x50
	s_add_nc_u64 s[10:11], s[0:1], 16
	s_wait_kmcnt 0x0
	s_bitcmp1_b32 s9, 0
	s_cselect_b32 s4, s10, s4
	s_cselect_b32 s5, s11, s5
	s_delay_alu instid0(SALU_CYCLE_1)
	v_dual_mov_b32 v1, s4 :: v_dual_mov_b32 v2, s5
	s_add_nc_u64 s[4:5], s[0:1], 0x50
	s_wait_alu 0xfffe
	s_cselect_b32 s2, s4, s2
	s_cselect_b32 s3, s5, s3
	flat_load_b64 v[6:7], v[1:2]
	v_dual_mov_b32 v1, s2 :: v_dual_mov_b32 v2, s3
	flat_load_b64 v[4:5], v[1:2]
	s_wait_loadcnt_dscnt 0x101
	v_cmp_eq_f32_e32 vcc_lo, 0, v6
	v_cmp_eq_f32_e64 s2, 0, v7
	s_and_b32 s4, vcc_lo, s2
	s_mov_b32 s2, -1
	s_wait_alu 0xfffe
	s_and_saveexec_b32 s3, s4
	s_cbranch_execz .LBB53_2
; %bb.1:
	s_wait_loadcnt_dscnt 0x0
	v_cmp_neq_f32_e32 vcc_lo, 1.0, v4
	v_cmp_neq_f32_e64 s2, 0, v5
	s_or_b32 s2, vcc_lo, s2
	s_wait_alu 0xfffe
	s_or_not1_b32 s2, s2, exec_lo
.LBB53_2:
	s_wait_alu 0xfffe
	s_or_b32 exec_lo, exec_lo, s3
	s_and_saveexec_b32 s3, s2
	s_cbranch_execz .LBB53_8
; %bb.3:
	s_load_b64 s[2:3], s[0:1], 0x20
	v_lshrrev_b32_e32 v1, 5, v0
	v_mov_b32_e32 v11, 0
	s_delay_alu instid0(VALU_DEP_2)
	v_lshl_or_b32 v10, ttmp9, 3, v1
	s_wait_kmcnt 0x0
	s_cmp_lg_u64 s[2:3], 0
	s_cbranch_scc0 .LBB53_9
; %bb.4:
	s_delay_alu instid0(VALU_DEP_1)
	v_cmp_gt_i64_e32 vcc_lo, s[6:7], v[10:11]
	s_mov_b32 s5, 0
	s_mov_b32 s4, 0
                                        ; implicit-def: $vgpr8_vgpr9
                                        ; implicit-def: $vgpr1_vgpr2
	s_and_saveexec_b32 s6, vcc_lo
	s_wait_alu 0xfffe
	s_xor_b32 s6, exec_lo, s6
	s_cbranch_execz .LBB53_6
; %bb.5:
	v_lshlrev_b64_e32 v[1:2], 3, v[10:11]
	s_mov_b32 s9, 0
	s_mov_b32 s4, exec_lo
	s_delay_alu instid0(VALU_DEP_1) | instskip(NEXT) | instid1(VALU_DEP_1)
	v_add_co_u32 v1, vcc_lo, s2, v1
	v_add_co_ci_u32_e64 v2, null, s3, v2, vcc_lo
	global_load_b64 v[1:2], v[1:2], off
	s_wait_loadcnt 0x0
	v_sub_co_u32 v8, vcc_lo, v1, s8
	s_wait_alu 0xfffd
	v_subrev_co_ci_u32_e64 v9, null, 0, v2, vcc_lo
	v_dual_mov_b32 v1, s8 :: v_dual_mov_b32 v2, s9
.LBB53_6:
	s_wait_alu 0xfffe
	s_or_b32 exec_lo, exec_lo, s6
	s_delay_alu instid0(SALU_CYCLE_1)
	s_and_b32 vcc_lo, exec_lo, s5
	s_wait_alu 0xfffe
	s_cbranch_vccnz .LBB53_10
.LBB53_7:
	s_wait_alu 0xfffe
	s_and_b32 exec_lo, exec_lo, s4
	s_cbranch_execnz .LBB53_13
.LBB53_8:
	s_endpgm
.LBB53_9:
	s_mov_b32 s4, 0
                                        ; implicit-def: $vgpr8_vgpr9
                                        ; implicit-def: $vgpr1_vgpr2
	s_cbranch_execz .LBB53_7
.LBB53_10:
	s_load_b64 s[2:3], s[0:1], 0x0
	s_wait_kmcnt 0x0
	v_cmp_gt_i64_e32 vcc_lo, s[2:3], v[10:11]
	s_and_saveexec_b32 s2, vcc_lo
; %bb.11:
	s_mov_b32 s9, 0
	s_or_b32 s4, s4, exec_lo
; %bb.12:
	s_wait_alu 0xfffe
	s_or_b32 exec_lo, exec_lo, s2
	v_dual_mov_b32 v1, s8 :: v_dual_mov_b32 v2, s9
	v_dual_mov_b32 v8, v10 :: v_dual_mov_b32 v9, v11
	s_and_b32 exec_lo, exec_lo, s4
	s_cbranch_execz .LBB53_8
.LBB53_13:
	s_load_b256 s[4:11], s[0:1], 0x28
	s_delay_alu instid0(VALU_DEP_1) | instskip(SKIP_2) | instid1(VALU_DEP_2)
	v_lshlrev_b64_e32 v[10:11], 3, v[8:9]
	v_and_b32_e32 v0, 31, v0
	s_wait_kmcnt 0x0
	v_add_co_u32 v12, vcc_lo, s4, v10
	s_wait_alu 0xfffd
	s_delay_alu instid0(VALU_DEP_3)
	v_add_co_ci_u32_e64 v13, null, s5, v11, vcc_lo
	v_add_co_u32 v3, vcc_lo, s6, v10
	s_wait_alu 0xfffd
	v_add_co_ci_u32_e64 v10, null, s7, v11, vcc_lo
	global_load_b64 v[14:15], v[12:13], off
	v_add_co_u32 v12, vcc_lo, v12, 8
	s_wait_alu 0xfffd
	v_add_co_ci_u32_e64 v11, null, 0, v13, vcc_lo
	s_cmp_eq_u64 s[6:7], 0
	s_cselect_b32 vcc_lo, -1, 0
	s_wait_alu 0xfffe
	v_dual_cndmask_b32 v11, v10, v11 :: v_dual_cndmask_b32 v10, v3, v12
	global_load_b64 v[16:17], v[10:11], off
	s_clause 0x1
	s_load_b32 s3, s[0:1], 0x8
	s_load_b64 s[4:5], s[0:1], 0x48
	s_wait_kmcnt 0x0
	s_cmp_eq_u32 s3, 1
	s_wait_loadcnt 0x1
	v_sub_co_u32 v3, vcc_lo, v14, v1
	s_wait_alu 0xfffd
	v_sub_co_ci_u32_e64 v11, null, v15, v2, vcc_lo
	s_delay_alu instid0(VALU_DEP_2) | instskip(SKIP_1) | instid1(VALU_DEP_2)
	v_add_co_u32 v10, vcc_lo, v3, v0
	s_wait_alu 0xfffd
	v_add_co_ci_u32_e64 v11, null, 0, v11, vcc_lo
	s_delay_alu instid0(VALU_DEP_2) | instskip(NEXT) | instid1(VALU_DEP_1)
	v_mad_co_u64_u32 v[12:13], null, 0x48, v10, s[10:11]
	v_mov_b32_e32 v3, v13
	s_wait_dscnt 0x0
	s_delay_alu instid0(VALU_DEP_1)
	v_mad_co_u64_u32 v[13:14], null, 0x48, v11, v[3:4]
	s_wait_loadcnt 0x0
	v_sub_co_u32 v14, vcc_lo, v16, v1
	s_wait_alu 0xfffd
	v_sub_co_ci_u32_e64 v15, null, v17, v2, vcc_lo
	v_mov_b32_e32 v3, 0
	s_delay_alu instid0(VALU_DEP_2)
	v_cmp_lt_i64_e64 s2, v[10:11], v[14:15]
	s_cbranch_scc1 .LBB53_19
; %bb.14:
	v_dual_mov_b32 v24, 0 :: v_dual_mov_b32 v25, 0
	v_dual_mov_b32 v22, 0 :: v_dual_mov_b32 v23, 0
	v_mov_b32_e32 v26, 0
	s_and_saveexec_b32 s3, s2
	s_cbranch_execz .LBB53_18
; %bb.15:
	v_lshlrev_b64_e32 v[18:19], 3, v[10:11]
	v_mov_b32_e32 v17, v11
	v_dual_mov_b32 v21, v13 :: v_dual_mov_b32 v24, 0
	v_dual_mov_b32 v3, 0 :: v_dual_mov_b32 v16, v10
	s_delay_alu instid0(VALU_DEP_4)
	v_add_co_u32 v18, vcc_lo, s8, v18
	s_wait_alu 0xfffd
	v_add_co_ci_u32_e64 v19, null, s9, v19, vcc_lo
	v_dual_mov_b32 v20, v12 :: v_dual_mov_b32 v25, 0
	v_mov_b32_e32 v22, 0
	v_dual_mov_b32 v26, 0 :: v_dual_mov_b32 v23, 0
	s_mov_b32 s6, 0
.LBB53_16:                              ; =>This Inner Loop Header: Depth=1
	global_load_b64 v[39:40], v[18:19], off
	s_clause 0x2
	global_load_b128 v[27:30], v[20:21], off offset:48
	global_load_b128 v[31:34], v[20:21], off offset:16
	global_load_b128 v[35:38], v[20:21], off
	s_wait_loadcnt 0x3
	v_sub_co_u32 v39, vcc_lo, v39, v1
	s_wait_alu 0xfffd
	v_sub_co_ci_u32_e64 v40, null, v40, v2, vcc_lo
	s_delay_alu instid0(VALU_DEP_2) | instskip(NEXT) | instid1(VALU_DEP_1)
	v_mad_co_u64_u32 v[43:44], null, v39, 24, s[4:5]
	v_mov_b32_e32 v39, v44
	s_delay_alu instid0(VALU_DEP_1) | instskip(NEXT) | instid1(VALU_DEP_1)
	v_mad_co_u64_u32 v[39:40], null, v40, 24, v[39:40]
	v_mov_b32_e32 v44, v39
	s_clause 0x1
	global_load_b128 v[39:42], v[43:44], off
	global_load_b64 v[47:48], v[43:44], off offset:16
	s_clause 0x1
	global_load_b128 v[43:46], v[20:21], off offset:32
	global_load_b64 v[49:50], v[20:21], off offset:64
	v_add_co_u32 v20, vcc_lo, 0x900, v20
	s_wait_alu 0xfffd
	v_add_co_ci_u32_e64 v21, null, 0, v21, vcc_lo
	v_add_co_u32 v16, vcc_lo, v16, 32
	s_wait_alu 0xfffd
	v_add_co_ci_u32_e64 v17, null, 0, v17, vcc_lo
	;; [unrolled: 3-line block ×3, first 2 shown]
	s_delay_alu instid0(VALU_DEP_3)
	v_cmp_ge_i64_e32 vcc_lo, v[16:17], v[14:15]
	s_wait_alu 0xfffe
	s_or_b32 s6, vcc_lo, s6
	s_wait_loadcnt 0x3
	v_fmac_f32_e32 v3, v36, v39
	v_fmac_f32_e32 v26, v33, v39
	;; [unrolled: 1-line block ×4, first 2 shown]
	s_delay_alu instid0(VALU_DEP_4) | instskip(NEXT) | instid1(VALU_DEP_3)
	v_dual_fmac_f32 v3, v35, v40 :: v_dual_fmac_f32 v22, v28, v39
	v_fmac_f32_e32 v23, v33, v40
	s_delay_alu instid0(VALU_DEP_3) | instskip(SKIP_1) | instid1(VALU_DEP_4)
	v_fma_f32 v24, -v36, v40, v24
	v_fma_f32 v26, -v34, v40, v26
	v_dual_fmac_f32 v3, v38, v41 :: v_dual_fmac_f32 v22, v27, v40
	s_delay_alu instid0(VALU_DEP_3) | instskip(SKIP_1) | instid1(VALU_DEP_2)
	v_dual_fmac_f32 v25, v27, v39 :: v_dual_fmac_f32 v24, v37, v41
	s_wait_loadcnt 0x1
	v_dual_fmac_f32 v26, v43, v41 :: v_dual_fmac_f32 v3, v37, v42
	s_delay_alu instid0(VALU_DEP_3) | instskip(NEXT) | instid1(VALU_DEP_3)
	v_fmac_f32_e32 v22, v30, v41
	v_fma_f32 v25, -v28, v40, v25
	v_fmac_f32_e32 v23, v44, v41
	v_fma_f32 v24, -v38, v42, v24
	v_fma_f32 v26, -v44, v42, v26
	v_fmac_f32_e32 v22, v29, v42
	v_fmac_f32_e32 v25, v29, v41
	;; [unrolled: 1-line block ×5, first 2 shown]
	s_wait_loadcnt 0x0
	v_fmac_f32_e32 v22, v50, v47
	v_fma_f32 v25, -v30, v42, v25
	v_fmac_f32_e32 v3, v32, v47
	v_fmac_f32_e32 v23, v46, v47
	v_fma_f32 v24, -v32, v48, v24
	v_fma_f32 v26, -v46, v48, v26
	v_fmac_f32_e32 v25, v49, v47
	v_fmac_f32_e32 v22, v49, v48
	;; [unrolled: 1-line block ×4, first 2 shown]
	s_delay_alu instid0(VALU_DEP_4)
	v_fma_f32 v25, -v50, v48, v25
	s_wait_alu 0xfffe
	s_and_not1_b32 exec_lo, exec_lo, s6
	s_cbranch_execnz .LBB53_16
; %bb.17:
	s_or_b32 exec_lo, exec_lo, s6
.LBB53_18:
	s_wait_alu 0xfffe
	s_or_b32 exec_lo, exec_lo, s3
	s_cbranch_execz .LBB53_20
	s_branch .LBB53_25
.LBB53_19:
                                        ; implicit-def: $vgpr3
                                        ; implicit-def: $vgpr24
                                        ; implicit-def: $vgpr25
                                        ; implicit-def: $vgpr22
                                        ; implicit-def: $vgpr26
                                        ; implicit-def: $vgpr23
.LBB53_20:
	v_dual_mov_b32 v3, 0 :: v_dual_mov_b32 v24, 0
	v_dual_mov_b32 v25, 0 :: v_dual_mov_b32 v22, 0
	v_dual_mov_b32 v26, 0 :: v_dual_mov_b32 v23, 0
	s_and_saveexec_b32 s3, s2
	s_cbranch_execz .LBB53_24
; %bb.21:
	v_lshlrev_b64_e32 v[16:17], 3, v[10:11]
	v_dual_mov_b32 v3, 0 :: v_dual_mov_b32 v24, 0
	v_dual_mov_b32 v25, 0 :: v_dual_mov_b32 v22, 0
	;; [unrolled: 1-line block ×3, first 2 shown]
	s_delay_alu instid0(VALU_DEP_4)
	v_add_co_u32 v16, vcc_lo, s8, v16
	s_wait_alu 0xfffd
	v_add_co_ci_u32_e64 v17, null, s9, v17, vcc_lo
	s_mov_b32 s2, 0
.LBB53_22:                              ; =>This Inner Loop Header: Depth=1
	global_load_b64 v[31:32], v[16:17], off
	s_clause 0x1
	global_load_b128 v[18:21], v[12:13], off offset:16
	global_load_b128 v[27:30], v[12:13], off
	s_wait_loadcnt 0x2
	v_sub_co_u32 v31, vcc_lo, v31, v1
	s_wait_alu 0xfffd
	v_sub_co_ci_u32_e64 v32, null, v32, v2, vcc_lo
	s_delay_alu instid0(VALU_DEP_2) | instskip(NEXT) | instid1(VALU_DEP_1)
	v_mad_co_u64_u32 v[35:36], null, v31, 24, s[4:5]
	v_mov_b32_e32 v31, v36
	s_delay_alu instid0(VALU_DEP_1) | instskip(NEXT) | instid1(VALU_DEP_1)
	v_mad_co_u64_u32 v[31:32], null, v32, 24, v[31:32]
	v_mov_b32_e32 v36, v31
	s_clause 0x1
	global_load_b128 v[31:34], v[35:36], off
	global_load_b64 v[43:44], v[35:36], off offset:16
	s_clause 0x2
	global_load_b128 v[35:38], v[12:13], off offset:32
	global_load_b128 v[39:42], v[12:13], off offset:48
	global_load_b64 v[45:46], v[12:13], off offset:64
	v_add_co_u32 v12, vcc_lo, 0x900, v12
	s_wait_alu 0xfffd
	v_add_co_ci_u32_e64 v13, null, 0, v13, vcc_lo
	v_add_co_u32 v10, vcc_lo, v10, 32
	s_wait_alu 0xfffd
	v_add_co_ci_u32_e64 v11, null, 0, v11, vcc_lo
	;; [unrolled: 3-line block ×3, first 2 shown]
	s_delay_alu instid0(VALU_DEP_3)
	v_cmp_ge_i64_e32 vcc_lo, v[10:11], v[14:15]
	s_wait_alu 0xfffe
	s_or_b32 s2, vcc_lo, s2
	s_wait_loadcnt 0x4
	v_fmac_f32_e32 v3, v28, v31
	v_fmac_f32_e32 v26, v29, v31
	;; [unrolled: 1-line block ×4, first 2 shown]
	s_delay_alu instid0(VALU_DEP_4)
	v_fmac_f32_e32 v3, v27, v32
	v_fmac_f32_e32 v22, v19, v31
	v_fma_f32 v26, -v30, v32, v26
	v_fmac_f32_e32 v25, v18, v31
	v_fmac_f32_e32 v23, v29, v32
	v_fma_f32 v24, -v28, v32, v24
	v_dual_fmac_f32 v3, v21, v33 :: v_dual_fmac_f32 v22, v18, v32
	s_wait_loadcnt 0x2
	v_fmac_f32_e32 v26, v35, v33
	v_fma_f32 v19, -v19, v32, v25
	v_fmac_f32_e32 v24, v20, v33
	v_dual_fmac_f32 v3, v20, v34 :: v_dual_fmac_f32 v22, v38, v33
	v_fmac_f32_e32 v23, v36, v33
	v_fma_f32 v20, -v36, v34, v26
	s_delay_alu instid0(VALU_DEP_4)
	v_fma_f32 v18, -v21, v34, v24
	v_fmac_f32_e32 v19, v37, v33
	v_fmac_f32_e32 v22, v37, v34
	s_wait_loadcnt 0x1
	v_dual_fmac_f32 v23, v35, v34 :: v_dual_fmac_f32 v20, v41, v43
	v_fmac_f32_e32 v18, v39, v43
	v_fma_f32 v19, -v38, v34, v19
	s_wait_loadcnt 0x0
	v_fmac_f32_e32 v22, v46, v43
	v_fmac_f32_e32 v3, v40, v43
	;; [unrolled: 1-line block ×3, first 2 shown]
	v_fma_f32 v24, -v40, v44, v18
	v_fmac_f32_e32 v19, v45, v43
	v_fma_f32 v26, -v42, v44, v20
	v_fmac_f32_e32 v22, v45, v44
	v_fmac_f32_e32 v3, v39, v44
	;; [unrolled: 1-line block ×3, first 2 shown]
	v_fma_f32 v25, -v46, v44, v19
	s_wait_alu 0xfffe
	s_and_not1_b32 exec_lo, exec_lo, s2
	s_cbranch_execnz .LBB53_22
; %bb.23:
	s_or_b32 exec_lo, exec_lo, s2
.LBB53_24:
	s_wait_alu 0xfffe
	s_or_b32 exec_lo, exec_lo, s3
.LBB53_25:
	v_mbcnt_lo_u32_b32 v1, -1, 0
	s_delay_alu instid0(VALU_DEP_1) | instskip(SKIP_2) | instid1(VALU_DEP_3)
	v_xor_b32_e32 v2, 16, v1
	v_xor_b32_e32 v15, 8, v1
	;; [unrolled: 1-line block ×3, first 2 shown]
	v_cmp_gt_i32_e32 vcc_lo, 32, v2
	s_wait_alu 0xfffd
	v_cndmask_b32_e32 v2, v1, v2, vcc_lo
	v_cmp_gt_i32_e32 vcc_lo, 32, v15
	s_wait_alu 0xfffd
	v_cndmask_b32_e32 v15, v1, v15, vcc_lo
	v_cmp_gt_i32_e32 vcc_lo, 32, v20
	s_delay_alu instid0(VALU_DEP_2)
	v_lshlrev_b32_e32 v15, 2, v15
	v_lshlrev_b32_e32 v2, 2, v2
	ds_bpermute_b32 v11, v2, v3
	s_wait_dscnt 0x0
	v_add_f32_e32 v3, v3, v11
	ds_bpermute_b32 v12, v2, v26
	ds_bpermute_b32 v13, v2, v23
	;; [unrolled: 1-line block ×6, first 2 shown]
	s_wait_dscnt 0x4
	v_dual_add_f32 v11, v26, v12 :: v_dual_add_f32 v12, v23, v13
	s_wait_dscnt 0x3
	v_add_f32_e32 v10, v24, v10
	s_wait_dscnt 0x0
	v_dual_add_f32 v2, v22, v2 :: v_dual_add_f32 v3, v3, v16
	ds_bpermute_b32 v17, v15, v11
	s_wait_alu 0xfffd
	v_cndmask_b32_e32 v20, v1, v20, vcc_lo
	ds_bpermute_b32 v18, v15, v12
	s_wait_dscnt 0x1
	v_add_f32_e32 v11, v11, v17
	v_dual_add_f32 v13, v25, v14 :: v_dual_lshlrev_b32 v20, 2, v20
	ds_bpermute_b32 v14, v15, v10
	ds_bpermute_b32 v19, v15, v13
	;; [unrolled: 1-line block ×4, first 2 shown]
	s_wait_dscnt 0x2
	v_dual_add_f32 v10, v10, v14 :: v_dual_add_f32 v13, v13, v19
	s_wait_dscnt 0x0
	v_dual_add_f32 v2, v2, v15 :: v_dual_add_f32 v11, v11, v16
	ds_bpermute_b32 v15, v20, v3
	ds_bpermute_b32 v14, v20, v10
	v_add_f32_e32 v12, v12, v18
	ds_bpermute_b32 v18, v20, v13
	ds_bpermute_b32 v19, v20, v2
	s_wait_dscnt 0x3
	v_add_f32_e32 v3, v3, v15
	ds_bpermute_b32 v17, v20, v12
	v_xor_b32_e32 v20, 2, v1
	s_wait_dscnt 0x3
	v_add_f32_e32 v10, v10, v14
	s_wait_dscnt 0x2
	v_add_f32_e32 v13, v13, v18
	v_cmp_gt_i32_e32 vcc_lo, 32, v20
	s_wait_alu 0xfffd
	v_cndmask_b32_e32 v20, v1, v20, vcc_lo
	s_delay_alu instid0(VALU_DEP_1)
	v_lshlrev_b32_e32 v20, 2, v20
	ds_bpermute_b32 v16, v20, v11
	s_wait_dscnt 0x1
	v_add_f32_e32 v12, v12, v17
	ds_bpermute_b32 v18, v20, v13
	v_add_f32_e32 v14, v2, v19
	ds_bpermute_b32 v2, v20, v10
	ds_bpermute_b32 v15, v20, v3
	;; [unrolled: 1-line block ×4, first 2 shown]
	v_xor_b32_e32 v20, 1, v1
	s_delay_alu instid0(VALU_DEP_1) | instskip(SKIP_4) | instid1(VALU_DEP_2)
	v_cmp_gt_i32_e32 vcc_lo, 32, v20
	s_wait_alu 0xfffd
	v_cndmask_b32_e32 v1, v1, v20, vcc_lo
	v_cmp_eq_u32_e32 vcc_lo, 31, v0
	s_wait_dscnt 0x3
	v_dual_add_f32 v1, v10, v2 :: v_dual_lshlrev_b32 v20, 2, v1
	s_wait_dscnt 0x2
	v_add_f32_e32 v2, v3, v15
	s_wait_dscnt 0x1
	v_dual_add_f32 v3, v11, v16 :: v_dual_add_f32 v10, v12, v17
	s_wait_dscnt 0x0
	v_dual_add_f32 v11, v13, v18 :: v_dual_add_f32 v12, v14, v19
	ds_bpermute_b32 v13, v20, v1
	ds_bpermute_b32 v14, v20, v2
	;; [unrolled: 1-line block ×6, first 2 shown]
	s_and_b32 exec_lo, exec_lo, vcc_lo
	s_cbranch_execz .LBB53_8
; %bb.26:
	s_load_b64 s[2:3], s[0:1], 0x58
	s_wait_dscnt 0x5
	v_add_f32_e32 v13, v1, v13
	s_wait_dscnt 0x3
	v_dual_add_f32 v1, v2, v14 :: v_dual_add_f32 v14, v3, v15
	s_wait_dscnt 0x2
	v_add_f32_e32 v3, v10, v16
	v_cmp_eq_f32_e32 vcc_lo, 0, v4
	v_cmp_eq_f32_e64 s0, 0, v5
	v_mul_f32_e64 v0, v1, -v7
	v_mul_f32_e32 v1, v6, v1
	v_mul_f32_e64 v2, v3, -v7
	s_wait_dscnt 0x1
	v_add_f32_e32 v15, v11, v17
	s_wait_dscnt 0x0
	v_dual_add_f32 v11, v12, v18 :: v_dual_fmac_f32 v0, v6, v13
	v_mul_f32_e32 v3, v6, v3
	v_fmac_f32_e32 v2, v6, v14
	s_and_b32 s0, vcc_lo, s0
	s_delay_alu instid0(VALU_DEP_3) | instskip(SKIP_2) | instid1(VALU_DEP_3)
	v_mul_f32_e64 v10, v11, -v7
	v_mul_f32_e32 v11, v6, v11
	v_fmac_f32_e32 v1, v7, v13
	v_dual_fmac_f32 v3, v7, v14 :: v_dual_fmac_f32 v10, v6, v15
	s_delay_alu instid0(VALU_DEP_3)
	v_fmac_f32_e32 v11, v7, v15
	s_wait_alu 0xfffe
	s_and_saveexec_b32 s1, s0
	s_wait_alu 0xfffe
	s_xor_b32 s0, exec_lo, s1
	s_cbranch_execz .LBB53_28
; %bb.27:
	s_wait_kmcnt 0x0
	v_mad_co_u64_u32 v[4:5], null, v8, 24, s[2:3]
	s_delay_alu instid0(VALU_DEP_1)
	v_mad_co_u64_u32 v[5:6], null, v9, 24, v[5:6]
                                        ; implicit-def: $vgpr8_vgpr9
	s_clause 0x1
	global_store_b128 v[4:5], v[0:3], off
	global_store_b64 v[4:5], v[10:11], off offset:16
                                        ; implicit-def: $vgpr4_vgpr5
                                        ; implicit-def: $vgpr0
                                        ; implicit-def: $vgpr10
.LBB53_28:
	s_wait_alu 0xfffe
	s_and_not1_saveexec_b32 s0, s0
	s_cbranch_execz .LBB53_8
; %bb.29:
	s_wait_kmcnt 0x0
	v_mad_co_u64_u32 v[12:13], null, v8, 24, s[2:3]
	s_delay_alu instid0(VALU_DEP_1) | instskip(NEXT) | instid1(VALU_DEP_1)
	v_mov_b32_e32 v6, v13
	v_mad_co_u64_u32 v[6:7], null, v9, 24, v[6:7]
	s_delay_alu instid0(VALU_DEP_1)
	v_mov_b32_e32 v13, v6
	s_clause 0x1
	global_load_b128 v[6:9], v[12:13], off
	global_load_b64 v[14:15], v[12:13], off offset:16
	s_wait_loadcnt 0x1
	v_fmac_f32_e32 v0, v4, v6
	v_dual_fmac_f32 v1, v5, v6 :: v_dual_fmac_f32 v2, v4, v8
	s_wait_loadcnt 0x0
	v_dual_fmac_f32 v3, v5, v8 :: v_dual_fmac_f32 v10, v4, v14
	v_fmac_f32_e32 v11, v5, v14
	v_fma_f32 v0, -v5, v7, v0
	v_fmac_f32_e32 v1, v4, v7
	v_fma_f32 v2, -v5, v9, v2
	v_fmac_f32_e32 v3, v4, v9
	v_fma_f32 v10, -v5, v15, v10
	v_fmac_f32_e32 v11, v4, v15
	s_clause 0x1
	global_store_b128 v[12:13], v[0:3], off
	global_store_b64 v[12:13], v[10:11], off offset:16
	s_endpgm
	.section	.rodata,"a",@progbits
	.p2align	6, 0x0
	.amdhsa_kernel _ZN9rocsparseL18bsrxmvn_3x3_kernelILj256ELj32E21rocsparse_complex_numIfEllS2_S2_S2_EEvT3_20rocsparse_direction_NS_24const_host_device_scalarIT1_EES3_PKS3_PKT2_SC_S9_PKT4_PKT5_S7_PT6_21rocsparse_index_base_b
		.amdhsa_group_segment_fixed_size 0
		.amdhsa_private_segment_fixed_size 0
		.amdhsa_kernarg_size 104
		.amdhsa_user_sgpr_count 2
		.amdhsa_user_sgpr_dispatch_ptr 0
		.amdhsa_user_sgpr_queue_ptr 0
		.amdhsa_user_sgpr_kernarg_segment_ptr 1
		.amdhsa_user_sgpr_dispatch_id 0
		.amdhsa_user_sgpr_private_segment_size 0
		.amdhsa_wavefront_size32 1
		.amdhsa_uses_dynamic_stack 0
		.amdhsa_enable_private_segment 0
		.amdhsa_system_sgpr_workgroup_id_x 1
		.amdhsa_system_sgpr_workgroup_id_y 0
		.amdhsa_system_sgpr_workgroup_id_z 0
		.amdhsa_system_sgpr_workgroup_info 0
		.amdhsa_system_vgpr_workitem_id 0
		.amdhsa_next_free_vgpr 51
		.amdhsa_next_free_sgpr 12
		.amdhsa_reserve_vcc 1
		.amdhsa_float_round_mode_32 0
		.amdhsa_float_round_mode_16_64 0
		.amdhsa_float_denorm_mode_32 3
		.amdhsa_float_denorm_mode_16_64 3
		.amdhsa_fp16_overflow 0
		.amdhsa_workgroup_processor_mode 1
		.amdhsa_memory_ordered 1
		.amdhsa_forward_progress 1
		.amdhsa_inst_pref_size 22
		.amdhsa_round_robin_scheduling 0
		.amdhsa_exception_fp_ieee_invalid_op 0
		.amdhsa_exception_fp_denorm_src 0
		.amdhsa_exception_fp_ieee_div_zero 0
		.amdhsa_exception_fp_ieee_overflow 0
		.amdhsa_exception_fp_ieee_underflow 0
		.amdhsa_exception_fp_ieee_inexact 0
		.amdhsa_exception_int_div_zero 0
	.end_amdhsa_kernel
	.section	.text._ZN9rocsparseL18bsrxmvn_3x3_kernelILj256ELj32E21rocsparse_complex_numIfEllS2_S2_S2_EEvT3_20rocsparse_direction_NS_24const_host_device_scalarIT1_EES3_PKS3_PKT2_SC_S9_PKT4_PKT5_S7_PT6_21rocsparse_index_base_b,"axG",@progbits,_ZN9rocsparseL18bsrxmvn_3x3_kernelILj256ELj32E21rocsparse_complex_numIfEllS2_S2_S2_EEvT3_20rocsparse_direction_NS_24const_host_device_scalarIT1_EES3_PKS3_PKT2_SC_S9_PKT4_PKT5_S7_PT6_21rocsparse_index_base_b,comdat
.Lfunc_end53:
	.size	_ZN9rocsparseL18bsrxmvn_3x3_kernelILj256ELj32E21rocsparse_complex_numIfEllS2_S2_S2_EEvT3_20rocsparse_direction_NS_24const_host_device_scalarIT1_EES3_PKS3_PKT2_SC_S9_PKT4_PKT5_S7_PT6_21rocsparse_index_base_b, .Lfunc_end53-_ZN9rocsparseL18bsrxmvn_3x3_kernelILj256ELj32E21rocsparse_complex_numIfEllS2_S2_S2_EEvT3_20rocsparse_direction_NS_24const_host_device_scalarIT1_EES3_PKS3_PKT2_SC_S9_PKT4_PKT5_S7_PT6_21rocsparse_index_base_b
                                        ; -- End function
	.set _ZN9rocsparseL18bsrxmvn_3x3_kernelILj256ELj32E21rocsparse_complex_numIfEllS2_S2_S2_EEvT3_20rocsparse_direction_NS_24const_host_device_scalarIT1_EES3_PKS3_PKT2_SC_S9_PKT4_PKT5_S7_PT6_21rocsparse_index_base_b.num_vgpr, 51
	.set _ZN9rocsparseL18bsrxmvn_3x3_kernelILj256ELj32E21rocsparse_complex_numIfEllS2_S2_S2_EEvT3_20rocsparse_direction_NS_24const_host_device_scalarIT1_EES3_PKS3_PKT2_SC_S9_PKT4_PKT5_S7_PT6_21rocsparse_index_base_b.num_agpr, 0
	.set _ZN9rocsparseL18bsrxmvn_3x3_kernelILj256ELj32E21rocsparse_complex_numIfEllS2_S2_S2_EEvT3_20rocsparse_direction_NS_24const_host_device_scalarIT1_EES3_PKS3_PKT2_SC_S9_PKT4_PKT5_S7_PT6_21rocsparse_index_base_b.numbered_sgpr, 12
	.set _ZN9rocsparseL18bsrxmvn_3x3_kernelILj256ELj32E21rocsparse_complex_numIfEllS2_S2_S2_EEvT3_20rocsparse_direction_NS_24const_host_device_scalarIT1_EES3_PKS3_PKT2_SC_S9_PKT4_PKT5_S7_PT6_21rocsparse_index_base_b.num_named_barrier, 0
	.set _ZN9rocsparseL18bsrxmvn_3x3_kernelILj256ELj32E21rocsparse_complex_numIfEllS2_S2_S2_EEvT3_20rocsparse_direction_NS_24const_host_device_scalarIT1_EES3_PKS3_PKT2_SC_S9_PKT4_PKT5_S7_PT6_21rocsparse_index_base_b.private_seg_size, 0
	.set _ZN9rocsparseL18bsrxmvn_3x3_kernelILj256ELj32E21rocsparse_complex_numIfEllS2_S2_S2_EEvT3_20rocsparse_direction_NS_24const_host_device_scalarIT1_EES3_PKS3_PKT2_SC_S9_PKT4_PKT5_S7_PT6_21rocsparse_index_base_b.uses_vcc, 1
	.set _ZN9rocsparseL18bsrxmvn_3x3_kernelILj256ELj32E21rocsparse_complex_numIfEllS2_S2_S2_EEvT3_20rocsparse_direction_NS_24const_host_device_scalarIT1_EES3_PKS3_PKT2_SC_S9_PKT4_PKT5_S7_PT6_21rocsparse_index_base_b.uses_flat_scratch, 0
	.set _ZN9rocsparseL18bsrxmvn_3x3_kernelILj256ELj32E21rocsparse_complex_numIfEllS2_S2_S2_EEvT3_20rocsparse_direction_NS_24const_host_device_scalarIT1_EES3_PKS3_PKT2_SC_S9_PKT4_PKT5_S7_PT6_21rocsparse_index_base_b.has_dyn_sized_stack, 0
	.set _ZN9rocsparseL18bsrxmvn_3x3_kernelILj256ELj32E21rocsparse_complex_numIfEllS2_S2_S2_EEvT3_20rocsparse_direction_NS_24const_host_device_scalarIT1_EES3_PKS3_PKT2_SC_S9_PKT4_PKT5_S7_PT6_21rocsparse_index_base_b.has_recursion, 0
	.set _ZN9rocsparseL18bsrxmvn_3x3_kernelILj256ELj32E21rocsparse_complex_numIfEllS2_S2_S2_EEvT3_20rocsparse_direction_NS_24const_host_device_scalarIT1_EES3_PKS3_PKT2_SC_S9_PKT4_PKT5_S7_PT6_21rocsparse_index_base_b.has_indirect_call, 0
	.section	.AMDGPU.csdata,"",@progbits
; Kernel info:
; codeLenInByte = 2812
; TotalNumSgprs: 14
; NumVgprs: 51
; ScratchSize: 0
; MemoryBound: 0
; FloatMode: 240
; IeeeMode: 1
; LDSByteSize: 0 bytes/workgroup (compile time only)
; SGPRBlocks: 0
; VGPRBlocks: 6
; NumSGPRsForWavesPerEU: 14
; NumVGPRsForWavesPerEU: 51
; Occupancy: 16
; WaveLimiterHint : 1
; COMPUTE_PGM_RSRC2:SCRATCH_EN: 0
; COMPUTE_PGM_RSRC2:USER_SGPR: 2
; COMPUTE_PGM_RSRC2:TRAP_HANDLER: 0
; COMPUTE_PGM_RSRC2:TGID_X_EN: 1
; COMPUTE_PGM_RSRC2:TGID_Y_EN: 0
; COMPUTE_PGM_RSRC2:TGID_Z_EN: 0
; COMPUTE_PGM_RSRC2:TIDIG_COMP_CNT: 0
	.section	.text._ZN9rocsparseL18bsrxmvn_3x3_kernelILj256ELj64E21rocsparse_complex_numIfEllS2_S2_S2_EEvT3_20rocsparse_direction_NS_24const_host_device_scalarIT1_EES3_PKS3_PKT2_SC_S9_PKT4_PKT5_S7_PT6_21rocsparse_index_base_b,"axG",@progbits,_ZN9rocsparseL18bsrxmvn_3x3_kernelILj256ELj64E21rocsparse_complex_numIfEllS2_S2_S2_EEvT3_20rocsparse_direction_NS_24const_host_device_scalarIT1_EES3_PKS3_PKT2_SC_S9_PKT4_PKT5_S7_PT6_21rocsparse_index_base_b,comdat
	.globl	_ZN9rocsparseL18bsrxmvn_3x3_kernelILj256ELj64E21rocsparse_complex_numIfEllS2_S2_S2_EEvT3_20rocsparse_direction_NS_24const_host_device_scalarIT1_EES3_PKS3_PKT2_SC_S9_PKT4_PKT5_S7_PT6_21rocsparse_index_base_b ; -- Begin function _ZN9rocsparseL18bsrxmvn_3x3_kernelILj256ELj64E21rocsparse_complex_numIfEllS2_S2_S2_EEvT3_20rocsparse_direction_NS_24const_host_device_scalarIT1_EES3_PKS3_PKT2_SC_S9_PKT4_PKT5_S7_PT6_21rocsparse_index_base_b
	.p2align	8
	.type	_ZN9rocsparseL18bsrxmvn_3x3_kernelILj256ELj64E21rocsparse_complex_numIfEllS2_S2_S2_EEvT3_20rocsparse_direction_NS_24const_host_device_scalarIT1_EES3_PKS3_PKT2_SC_S9_PKT4_PKT5_S7_PT6_21rocsparse_index_base_b,@function
_ZN9rocsparseL18bsrxmvn_3x3_kernelILj256ELj64E21rocsparse_complex_numIfEllS2_S2_S2_EEvT3_20rocsparse_direction_NS_24const_host_device_scalarIT1_EES3_PKS3_PKT2_SC_S9_PKT4_PKT5_S7_PT6_21rocsparse_index_base_b: ; @_ZN9rocsparseL18bsrxmvn_3x3_kernelILj256ELj64E21rocsparse_complex_numIfEllS2_S2_S2_EEvT3_20rocsparse_direction_NS_24const_host_device_scalarIT1_EES3_PKS3_PKT2_SC_S9_PKT4_PKT5_S7_PT6_21rocsparse_index_base_b
; %bb.0:
	s_clause 0x2
	s_load_b64 s[8:9], s[0:1], 0x60
	s_load_b128 s[4:7], s[0:1], 0x10
	s_load_b64 s[2:3], s[0:1], 0x50
	s_add_nc_u64 s[10:11], s[0:1], 16
	s_wait_kmcnt 0x0
	s_bitcmp1_b32 s9, 0
	s_cselect_b32 s4, s10, s4
	s_cselect_b32 s5, s11, s5
	s_delay_alu instid0(SALU_CYCLE_1)
	v_dual_mov_b32 v1, s4 :: v_dual_mov_b32 v2, s5
	s_add_nc_u64 s[4:5], s[0:1], 0x50
	s_wait_alu 0xfffe
	s_cselect_b32 s2, s4, s2
	s_cselect_b32 s3, s5, s3
	flat_load_b64 v[6:7], v[1:2]
	v_dual_mov_b32 v1, s2 :: v_dual_mov_b32 v2, s3
	flat_load_b64 v[4:5], v[1:2]
	s_wait_loadcnt_dscnt 0x101
	v_cmp_eq_f32_e32 vcc_lo, 0, v6
	v_cmp_eq_f32_e64 s2, 0, v7
	s_and_b32 s4, vcc_lo, s2
	s_mov_b32 s2, -1
	s_wait_alu 0xfffe
	s_and_saveexec_b32 s3, s4
	s_cbranch_execz .LBB54_2
; %bb.1:
	s_wait_loadcnt_dscnt 0x0
	v_cmp_neq_f32_e32 vcc_lo, 1.0, v4
	v_cmp_neq_f32_e64 s2, 0, v5
	s_or_b32 s2, vcc_lo, s2
	s_wait_alu 0xfffe
	s_or_not1_b32 s2, s2, exec_lo
.LBB54_2:
	s_wait_alu 0xfffe
	s_or_b32 exec_lo, exec_lo, s3
	s_and_saveexec_b32 s3, s2
	s_cbranch_execz .LBB54_8
; %bb.3:
	s_load_b64 s[2:3], s[0:1], 0x20
	v_lshrrev_b32_e32 v1, 6, v0
	v_mov_b32_e32 v11, 0
	s_delay_alu instid0(VALU_DEP_2)
	v_lshl_or_b32 v10, ttmp9, 2, v1
	s_wait_kmcnt 0x0
	s_cmp_lg_u64 s[2:3], 0
	s_cbranch_scc0 .LBB54_9
; %bb.4:
	s_delay_alu instid0(VALU_DEP_1)
	v_cmp_gt_i64_e32 vcc_lo, s[6:7], v[10:11]
	s_mov_b32 s5, 0
	s_mov_b32 s4, 0
                                        ; implicit-def: $vgpr8_vgpr9
                                        ; implicit-def: $vgpr1_vgpr2
	s_and_saveexec_b32 s6, vcc_lo
	s_wait_alu 0xfffe
	s_xor_b32 s6, exec_lo, s6
	s_cbranch_execz .LBB54_6
; %bb.5:
	v_lshlrev_b64_e32 v[1:2], 3, v[10:11]
	s_mov_b32 s9, 0
	s_mov_b32 s4, exec_lo
	s_delay_alu instid0(VALU_DEP_1) | instskip(NEXT) | instid1(VALU_DEP_1)
	v_add_co_u32 v1, vcc_lo, s2, v1
	v_add_co_ci_u32_e64 v2, null, s3, v2, vcc_lo
	global_load_b64 v[1:2], v[1:2], off
	s_wait_loadcnt 0x0
	v_sub_co_u32 v8, vcc_lo, v1, s8
	s_wait_alu 0xfffd
	v_subrev_co_ci_u32_e64 v9, null, 0, v2, vcc_lo
	v_dual_mov_b32 v1, s8 :: v_dual_mov_b32 v2, s9
.LBB54_6:
	s_wait_alu 0xfffe
	s_or_b32 exec_lo, exec_lo, s6
	s_delay_alu instid0(SALU_CYCLE_1)
	s_and_b32 vcc_lo, exec_lo, s5
	s_wait_alu 0xfffe
	s_cbranch_vccnz .LBB54_10
.LBB54_7:
	s_wait_alu 0xfffe
	s_and_b32 exec_lo, exec_lo, s4
	s_cbranch_execnz .LBB54_13
.LBB54_8:
	s_endpgm
.LBB54_9:
	s_mov_b32 s4, 0
                                        ; implicit-def: $vgpr8_vgpr9
                                        ; implicit-def: $vgpr1_vgpr2
	s_cbranch_execz .LBB54_7
.LBB54_10:
	s_load_b64 s[2:3], s[0:1], 0x0
	s_wait_kmcnt 0x0
	v_cmp_gt_i64_e32 vcc_lo, s[2:3], v[10:11]
	s_and_saveexec_b32 s2, vcc_lo
; %bb.11:
	s_mov_b32 s9, 0
	s_or_b32 s4, s4, exec_lo
; %bb.12:
	s_wait_alu 0xfffe
	s_or_b32 exec_lo, exec_lo, s2
	v_dual_mov_b32 v1, s8 :: v_dual_mov_b32 v2, s9
	v_dual_mov_b32 v8, v10 :: v_dual_mov_b32 v9, v11
	s_and_b32 exec_lo, exec_lo, s4
	s_cbranch_execz .LBB54_8
.LBB54_13:
	s_load_b256 s[4:11], s[0:1], 0x28
	s_delay_alu instid0(VALU_DEP_1) | instskip(SKIP_2) | instid1(VALU_DEP_2)
	v_lshlrev_b64_e32 v[10:11], 3, v[8:9]
	v_and_b32_e32 v0, 63, v0
	s_wait_kmcnt 0x0
	v_add_co_u32 v12, vcc_lo, s4, v10
	s_wait_alu 0xfffd
	s_delay_alu instid0(VALU_DEP_3)
	v_add_co_ci_u32_e64 v13, null, s5, v11, vcc_lo
	v_add_co_u32 v3, vcc_lo, s6, v10
	s_wait_alu 0xfffd
	v_add_co_ci_u32_e64 v10, null, s7, v11, vcc_lo
	global_load_b64 v[14:15], v[12:13], off
	v_add_co_u32 v12, vcc_lo, v12, 8
	s_wait_alu 0xfffd
	v_add_co_ci_u32_e64 v11, null, 0, v13, vcc_lo
	s_cmp_eq_u64 s[6:7], 0
	s_cselect_b32 vcc_lo, -1, 0
	s_wait_alu 0xfffe
	v_dual_cndmask_b32 v11, v10, v11 :: v_dual_cndmask_b32 v10, v3, v12
	global_load_b64 v[16:17], v[10:11], off
	s_clause 0x1
	s_load_b32 s3, s[0:1], 0x8
	s_load_b64 s[4:5], s[0:1], 0x48
	s_wait_kmcnt 0x0
	s_cmp_eq_u32 s3, 1
	s_wait_loadcnt 0x1
	v_sub_co_u32 v3, vcc_lo, v14, v1
	s_wait_alu 0xfffd
	v_sub_co_ci_u32_e64 v11, null, v15, v2, vcc_lo
	s_delay_alu instid0(VALU_DEP_2) | instskip(SKIP_1) | instid1(VALU_DEP_2)
	v_add_co_u32 v10, vcc_lo, v3, v0
	s_wait_alu 0xfffd
	v_add_co_ci_u32_e64 v11, null, 0, v11, vcc_lo
	s_delay_alu instid0(VALU_DEP_2) | instskip(NEXT) | instid1(VALU_DEP_1)
	v_mad_co_u64_u32 v[12:13], null, 0x48, v10, s[10:11]
	v_mov_b32_e32 v3, v13
	s_wait_dscnt 0x0
	s_delay_alu instid0(VALU_DEP_1)
	v_mad_co_u64_u32 v[13:14], null, 0x48, v11, v[3:4]
	s_wait_loadcnt 0x0
	v_sub_co_u32 v14, vcc_lo, v16, v1
	s_wait_alu 0xfffd
	v_sub_co_ci_u32_e64 v15, null, v17, v2, vcc_lo
	v_mov_b32_e32 v3, 0
	s_delay_alu instid0(VALU_DEP_2)
	v_cmp_lt_i64_e64 s2, v[10:11], v[14:15]
	s_cbranch_scc1 .LBB54_19
; %bb.14:
	v_dual_mov_b32 v24, 0 :: v_dual_mov_b32 v25, 0
	v_dual_mov_b32 v22, 0 :: v_dual_mov_b32 v23, 0
	v_mov_b32_e32 v26, 0
	s_and_saveexec_b32 s3, s2
	s_cbranch_execz .LBB54_18
; %bb.15:
	v_lshlrev_b64_e32 v[18:19], 3, v[10:11]
	v_mov_b32_e32 v17, v11
	v_dual_mov_b32 v21, v13 :: v_dual_mov_b32 v24, 0
	v_dual_mov_b32 v3, 0 :: v_dual_mov_b32 v16, v10
	s_delay_alu instid0(VALU_DEP_4)
	v_add_co_u32 v18, vcc_lo, s8, v18
	s_wait_alu 0xfffd
	v_add_co_ci_u32_e64 v19, null, s9, v19, vcc_lo
	v_dual_mov_b32 v20, v12 :: v_dual_mov_b32 v25, 0
	v_mov_b32_e32 v22, 0
	v_dual_mov_b32 v26, 0 :: v_dual_mov_b32 v23, 0
	s_mov_b32 s6, 0
.LBB54_16:                              ; =>This Inner Loop Header: Depth=1
	global_load_b64 v[39:40], v[18:19], off
	s_clause 0x2
	global_load_b128 v[27:30], v[20:21], off offset:48
	global_load_b128 v[31:34], v[20:21], off offset:16
	global_load_b128 v[35:38], v[20:21], off
	s_wait_loadcnt 0x3
	v_sub_co_u32 v39, vcc_lo, v39, v1
	s_wait_alu 0xfffd
	v_sub_co_ci_u32_e64 v40, null, v40, v2, vcc_lo
	s_delay_alu instid0(VALU_DEP_2) | instskip(NEXT) | instid1(VALU_DEP_1)
	v_mad_co_u64_u32 v[43:44], null, v39, 24, s[4:5]
	v_mov_b32_e32 v39, v44
	s_delay_alu instid0(VALU_DEP_1) | instskip(NEXT) | instid1(VALU_DEP_1)
	v_mad_co_u64_u32 v[39:40], null, v40, 24, v[39:40]
	v_mov_b32_e32 v44, v39
	s_clause 0x1
	global_load_b128 v[39:42], v[43:44], off
	global_load_b64 v[47:48], v[43:44], off offset:16
	s_clause 0x1
	global_load_b128 v[43:46], v[20:21], off offset:32
	global_load_b64 v[49:50], v[20:21], off offset:64
	v_add_co_u32 v20, vcc_lo, 0x1200, v20
	s_wait_alu 0xfffd
	v_add_co_ci_u32_e64 v21, null, 0, v21, vcc_lo
	v_add_co_u32 v16, vcc_lo, v16, 64
	s_wait_alu 0xfffd
	v_add_co_ci_u32_e64 v17, null, 0, v17, vcc_lo
	;; [unrolled: 3-line block ×3, first 2 shown]
	s_delay_alu instid0(VALU_DEP_3)
	v_cmp_ge_i64_e32 vcc_lo, v[16:17], v[14:15]
	s_wait_alu 0xfffe
	s_or_b32 s6, vcc_lo, s6
	s_wait_loadcnt 0x3
	v_fmac_f32_e32 v3, v36, v39
	v_fmac_f32_e32 v26, v33, v39
	;; [unrolled: 1-line block ×4, first 2 shown]
	s_delay_alu instid0(VALU_DEP_4) | instskip(NEXT) | instid1(VALU_DEP_3)
	v_dual_fmac_f32 v3, v35, v40 :: v_dual_fmac_f32 v22, v28, v39
	v_fmac_f32_e32 v23, v33, v40
	s_delay_alu instid0(VALU_DEP_3) | instskip(SKIP_1) | instid1(VALU_DEP_4)
	v_fma_f32 v24, -v36, v40, v24
	v_fma_f32 v26, -v34, v40, v26
	v_dual_fmac_f32 v3, v38, v41 :: v_dual_fmac_f32 v22, v27, v40
	s_delay_alu instid0(VALU_DEP_3) | instskip(SKIP_1) | instid1(VALU_DEP_2)
	v_dual_fmac_f32 v25, v27, v39 :: v_dual_fmac_f32 v24, v37, v41
	s_wait_loadcnt 0x1
	v_dual_fmac_f32 v26, v43, v41 :: v_dual_fmac_f32 v3, v37, v42
	s_delay_alu instid0(VALU_DEP_3) | instskip(NEXT) | instid1(VALU_DEP_3)
	v_fmac_f32_e32 v22, v30, v41
	v_fma_f32 v25, -v28, v40, v25
	v_fmac_f32_e32 v23, v44, v41
	v_fma_f32 v24, -v38, v42, v24
	v_fma_f32 v26, -v44, v42, v26
	v_fmac_f32_e32 v22, v29, v42
	v_fmac_f32_e32 v25, v29, v41
	v_fmac_f32_e32 v23, v43, v42
	v_fmac_f32_e32 v24, v31, v47
	v_fmac_f32_e32 v26, v45, v47
	s_wait_loadcnt 0x0
	v_fmac_f32_e32 v22, v50, v47
	v_fma_f32 v25, -v30, v42, v25
	v_fmac_f32_e32 v3, v32, v47
	v_fmac_f32_e32 v23, v46, v47
	v_fma_f32 v24, -v32, v48, v24
	v_fma_f32 v26, -v46, v48, v26
	v_fmac_f32_e32 v25, v49, v47
	v_fmac_f32_e32 v22, v49, v48
	;; [unrolled: 1-line block ×4, first 2 shown]
	s_delay_alu instid0(VALU_DEP_4)
	v_fma_f32 v25, -v50, v48, v25
	s_wait_alu 0xfffe
	s_and_not1_b32 exec_lo, exec_lo, s6
	s_cbranch_execnz .LBB54_16
; %bb.17:
	s_or_b32 exec_lo, exec_lo, s6
.LBB54_18:
	s_wait_alu 0xfffe
	s_or_b32 exec_lo, exec_lo, s3
	s_cbranch_execz .LBB54_20
	s_branch .LBB54_25
.LBB54_19:
                                        ; implicit-def: $vgpr3
                                        ; implicit-def: $vgpr24
                                        ; implicit-def: $vgpr25
                                        ; implicit-def: $vgpr22
                                        ; implicit-def: $vgpr26
                                        ; implicit-def: $vgpr23
.LBB54_20:
	v_dual_mov_b32 v3, 0 :: v_dual_mov_b32 v24, 0
	v_dual_mov_b32 v25, 0 :: v_dual_mov_b32 v22, 0
	;; [unrolled: 1-line block ×3, first 2 shown]
	s_and_saveexec_b32 s3, s2
	s_cbranch_execz .LBB54_24
; %bb.21:
	v_lshlrev_b64_e32 v[16:17], 3, v[10:11]
	v_dual_mov_b32 v3, 0 :: v_dual_mov_b32 v24, 0
	v_dual_mov_b32 v25, 0 :: v_dual_mov_b32 v22, 0
	;; [unrolled: 1-line block ×3, first 2 shown]
	s_delay_alu instid0(VALU_DEP_4)
	v_add_co_u32 v16, vcc_lo, s8, v16
	s_wait_alu 0xfffd
	v_add_co_ci_u32_e64 v17, null, s9, v17, vcc_lo
	s_mov_b32 s2, 0
.LBB54_22:                              ; =>This Inner Loop Header: Depth=1
	global_load_b64 v[31:32], v[16:17], off
	s_clause 0x1
	global_load_b128 v[18:21], v[12:13], off offset:16
	global_load_b128 v[27:30], v[12:13], off
	s_wait_loadcnt 0x2
	v_sub_co_u32 v31, vcc_lo, v31, v1
	s_wait_alu 0xfffd
	v_sub_co_ci_u32_e64 v32, null, v32, v2, vcc_lo
	s_delay_alu instid0(VALU_DEP_2) | instskip(NEXT) | instid1(VALU_DEP_1)
	v_mad_co_u64_u32 v[35:36], null, v31, 24, s[4:5]
	v_mov_b32_e32 v31, v36
	s_delay_alu instid0(VALU_DEP_1) | instskip(NEXT) | instid1(VALU_DEP_1)
	v_mad_co_u64_u32 v[31:32], null, v32, 24, v[31:32]
	v_mov_b32_e32 v36, v31
	s_clause 0x1
	global_load_b128 v[31:34], v[35:36], off
	global_load_b64 v[43:44], v[35:36], off offset:16
	s_clause 0x2
	global_load_b128 v[35:38], v[12:13], off offset:32
	global_load_b128 v[39:42], v[12:13], off offset:48
	global_load_b64 v[45:46], v[12:13], off offset:64
	v_add_co_u32 v12, vcc_lo, 0x1200, v12
	s_wait_alu 0xfffd
	v_add_co_ci_u32_e64 v13, null, 0, v13, vcc_lo
	v_add_co_u32 v10, vcc_lo, v10, 64
	s_wait_alu 0xfffd
	v_add_co_ci_u32_e64 v11, null, 0, v11, vcc_lo
	;; [unrolled: 3-line block ×3, first 2 shown]
	s_delay_alu instid0(VALU_DEP_3)
	v_cmp_ge_i64_e32 vcc_lo, v[10:11], v[14:15]
	s_wait_alu 0xfffe
	s_or_b32 s2, vcc_lo, s2
	s_wait_loadcnt 0x4
	v_fmac_f32_e32 v3, v28, v31
	v_fmac_f32_e32 v26, v29, v31
	;; [unrolled: 1-line block ×4, first 2 shown]
	s_delay_alu instid0(VALU_DEP_4)
	v_fmac_f32_e32 v3, v27, v32
	v_fmac_f32_e32 v22, v19, v31
	v_fma_f32 v26, -v30, v32, v26
	v_fmac_f32_e32 v25, v18, v31
	v_fmac_f32_e32 v23, v29, v32
	v_fma_f32 v24, -v28, v32, v24
	v_dual_fmac_f32 v3, v21, v33 :: v_dual_fmac_f32 v22, v18, v32
	s_wait_loadcnt 0x2
	v_fmac_f32_e32 v26, v35, v33
	v_fma_f32 v19, -v19, v32, v25
	v_fmac_f32_e32 v24, v20, v33
	v_dual_fmac_f32 v3, v20, v34 :: v_dual_fmac_f32 v22, v38, v33
	v_fmac_f32_e32 v23, v36, v33
	v_fma_f32 v20, -v36, v34, v26
	s_delay_alu instid0(VALU_DEP_4)
	v_fma_f32 v18, -v21, v34, v24
	v_fmac_f32_e32 v19, v37, v33
	v_fmac_f32_e32 v22, v37, v34
	s_wait_loadcnt 0x1
	v_dual_fmac_f32 v23, v35, v34 :: v_dual_fmac_f32 v20, v41, v43
	v_fmac_f32_e32 v18, v39, v43
	v_fma_f32 v19, -v38, v34, v19
	s_wait_loadcnt 0x0
	v_fmac_f32_e32 v22, v46, v43
	v_fmac_f32_e32 v3, v40, v43
	;; [unrolled: 1-line block ×3, first 2 shown]
	v_fma_f32 v24, -v40, v44, v18
	v_fmac_f32_e32 v19, v45, v43
	v_fma_f32 v26, -v42, v44, v20
	v_fmac_f32_e32 v22, v45, v44
	v_fmac_f32_e32 v3, v39, v44
	;; [unrolled: 1-line block ×3, first 2 shown]
	v_fma_f32 v25, -v46, v44, v19
	s_wait_alu 0xfffe
	s_and_not1_b32 exec_lo, exec_lo, s2
	s_cbranch_execnz .LBB54_22
; %bb.23:
	s_or_b32 exec_lo, exec_lo, s2
.LBB54_24:
	s_wait_alu 0xfffe
	s_or_b32 exec_lo, exec_lo, s3
.LBB54_25:
	v_mbcnt_lo_u32_b32 v1, -1, 0
	s_delay_alu instid0(VALU_DEP_1) | instskip(SKIP_2) | instid1(VALU_DEP_3)
	v_or_b32_e32 v2, 32, v1
	v_xor_b32_e32 v15, 16, v1
	v_xor_b32_e32 v20, 8, v1
	v_cmp_gt_i32_e32 vcc_lo, 32, v2
	s_wait_alu 0xfffd
	v_cndmask_b32_e32 v2, v1, v2, vcc_lo
	v_cmp_gt_i32_e32 vcc_lo, 32, v15
	s_wait_alu 0xfffd
	v_cndmask_b32_e32 v15, v1, v15, vcc_lo
	v_cmp_gt_i32_e32 vcc_lo, 32, v20
	s_delay_alu instid0(VALU_DEP_2)
	v_lshlrev_b32_e32 v15, 2, v15
	v_lshlrev_b32_e32 v2, 2, v2
	ds_bpermute_b32 v11, v2, v3
	s_wait_dscnt 0x0
	v_add_f32_e32 v3, v3, v11
	ds_bpermute_b32 v12, v2, v26
	ds_bpermute_b32 v13, v2, v23
	;; [unrolled: 1-line block ×6, first 2 shown]
	s_wait_dscnt 0x4
	v_dual_add_f32 v11, v26, v12 :: v_dual_add_f32 v12, v23, v13
	s_wait_dscnt 0x3
	v_add_f32_e32 v10, v24, v10
	s_wait_dscnt 0x0
	v_dual_add_f32 v2, v22, v2 :: v_dual_add_f32 v3, v3, v16
	ds_bpermute_b32 v17, v15, v11
	s_wait_alu 0xfffd
	v_cndmask_b32_e32 v20, v1, v20, vcc_lo
	ds_bpermute_b32 v18, v15, v12
	s_wait_dscnt 0x1
	v_add_f32_e32 v11, v11, v17
	v_dual_add_f32 v13, v25, v14 :: v_dual_lshlrev_b32 v20, 2, v20
	ds_bpermute_b32 v14, v15, v10
	ds_bpermute_b32 v19, v15, v13
	;; [unrolled: 1-line block ×4, first 2 shown]
	s_wait_dscnt 0x2
	v_dual_add_f32 v10, v10, v14 :: v_dual_add_f32 v13, v13, v19
	s_wait_dscnt 0x0
	v_dual_add_f32 v2, v2, v15 :: v_dual_add_f32 v11, v11, v16
	ds_bpermute_b32 v15, v20, v3
	v_add_f32_e32 v12, v12, v18
	ds_bpermute_b32 v14, v20, v10
	ds_bpermute_b32 v18, v20, v13
	;; [unrolled: 1-line block ×3, first 2 shown]
	s_wait_dscnt 0x3
	v_add_f32_e32 v3, v3, v15
	ds_bpermute_b32 v17, v20, v12
	v_xor_b32_e32 v20, 4, v1
	s_wait_dscnt 0x1
	v_dual_add_f32 v13, v13, v18 :: v_dual_add_f32 v2, v2, v19
	s_delay_alu instid0(VALU_DEP_2) | instskip(SKIP_2) | instid1(VALU_DEP_1)
	v_cmp_gt_i32_e32 vcc_lo, 32, v20
	s_wait_alu 0xfffd
	v_cndmask_b32_e32 v20, v1, v20, vcc_lo
	v_lshlrev_b32_e32 v20, 2, v20
	ds_bpermute_b32 v16, v20, v11
	ds_bpermute_b32 v18, v20, v13
	v_add_f32_e32 v10, v10, v14
	s_wait_dscnt 0x2
	v_add_f32_e32 v12, v12, v17
	ds_bpermute_b32 v15, v20, v3
	ds_bpermute_b32 v19, v20, v2
	s_wait_dscnt 0x3
	v_add_f32_e32 v11, v11, v16
	ds_bpermute_b32 v14, v20, v10
	s_wait_dscnt 0x3
	v_add_f32_e32 v13, v13, v18
	ds_bpermute_b32 v17, v20, v12
	v_xor_b32_e32 v20, 2, v1
	s_wait_dscnt 0x3
	v_add_f32_e32 v3, v3, v15
	s_delay_alu instid0(VALU_DEP_2)
	v_cmp_gt_i32_e32 vcc_lo, 32, v20
	s_wait_dscnt 0x1
	v_add_f32_e32 v10, v10, v14
	s_wait_alu 0xfffd
	v_cndmask_b32_e32 v20, v1, v20, vcc_lo
	s_wait_dscnt 0x0
	v_add_f32_e32 v12, v12, v17
	v_add_f32_e32 v14, v2, v19
	s_delay_alu instid0(VALU_DEP_3)
	v_lshlrev_b32_e32 v20, 2, v20
	ds_bpermute_b32 v2, v20, v10
	ds_bpermute_b32 v15, v20, v3
	;; [unrolled: 1-line block ×6, first 2 shown]
	v_xor_b32_e32 v20, 1, v1
	s_delay_alu instid0(VALU_DEP_1) | instskip(SKIP_4) | instid1(VALU_DEP_2)
	v_cmp_gt_i32_e32 vcc_lo, 32, v20
	s_wait_alu 0xfffd
	v_cndmask_b32_e32 v1, v1, v20, vcc_lo
	v_cmp_eq_u32_e32 vcc_lo, 63, v0
	s_wait_dscnt 0x5
	v_dual_add_f32 v1, v10, v2 :: v_dual_lshlrev_b32 v20, 2, v1
	s_wait_dscnt 0x4
	v_add_f32_e32 v2, v3, v15
	s_wait_dscnt 0x2
	v_dual_add_f32 v3, v11, v16 :: v_dual_add_f32 v10, v12, v17
	s_wait_dscnt 0x0
	v_dual_add_f32 v11, v13, v18 :: v_dual_add_f32 v12, v14, v19
	ds_bpermute_b32 v13, v20, v1
	ds_bpermute_b32 v14, v20, v2
	;; [unrolled: 1-line block ×6, first 2 shown]
	s_and_b32 exec_lo, exec_lo, vcc_lo
	s_cbranch_execz .LBB54_8
; %bb.26:
	s_load_b64 s[2:3], s[0:1], 0x58
	s_wait_dscnt 0x5
	v_add_f32_e32 v13, v1, v13
	s_wait_dscnt 0x3
	v_dual_add_f32 v1, v2, v14 :: v_dual_add_f32 v14, v3, v15
	s_wait_dscnt 0x2
	v_add_f32_e32 v3, v10, v16
	v_cmp_eq_f32_e32 vcc_lo, 0, v4
	v_cmp_eq_f32_e64 s0, 0, v5
	v_mul_f32_e64 v0, v1, -v7
	v_mul_f32_e32 v1, v6, v1
	v_mul_f32_e64 v2, v3, -v7
	s_wait_dscnt 0x1
	v_add_f32_e32 v15, v11, v17
	s_wait_dscnt 0x0
	v_dual_add_f32 v11, v12, v18 :: v_dual_fmac_f32 v0, v6, v13
	v_mul_f32_e32 v3, v6, v3
	v_fmac_f32_e32 v2, v6, v14
	s_and_b32 s0, vcc_lo, s0
	s_delay_alu instid0(VALU_DEP_3) | instskip(SKIP_2) | instid1(VALU_DEP_3)
	v_mul_f32_e64 v10, v11, -v7
	v_mul_f32_e32 v11, v6, v11
	v_fmac_f32_e32 v1, v7, v13
	v_dual_fmac_f32 v3, v7, v14 :: v_dual_fmac_f32 v10, v6, v15
	s_delay_alu instid0(VALU_DEP_3)
	v_fmac_f32_e32 v11, v7, v15
	s_wait_alu 0xfffe
	s_and_saveexec_b32 s1, s0
	s_wait_alu 0xfffe
	s_xor_b32 s0, exec_lo, s1
	s_cbranch_execz .LBB54_28
; %bb.27:
	s_wait_kmcnt 0x0
	v_mad_co_u64_u32 v[4:5], null, v8, 24, s[2:3]
	s_delay_alu instid0(VALU_DEP_1)
	v_mad_co_u64_u32 v[5:6], null, v9, 24, v[5:6]
                                        ; implicit-def: $vgpr8_vgpr9
	s_clause 0x1
	global_store_b128 v[4:5], v[0:3], off
	global_store_b64 v[4:5], v[10:11], off offset:16
                                        ; implicit-def: $vgpr4_vgpr5
                                        ; implicit-def: $vgpr0
                                        ; implicit-def: $vgpr10
.LBB54_28:
	s_wait_alu 0xfffe
	s_and_not1_saveexec_b32 s0, s0
	s_cbranch_execz .LBB54_8
; %bb.29:
	s_wait_kmcnt 0x0
	v_mad_co_u64_u32 v[12:13], null, v8, 24, s[2:3]
	s_delay_alu instid0(VALU_DEP_1) | instskip(NEXT) | instid1(VALU_DEP_1)
	v_mov_b32_e32 v6, v13
	v_mad_co_u64_u32 v[6:7], null, v9, 24, v[6:7]
	s_delay_alu instid0(VALU_DEP_1)
	v_mov_b32_e32 v13, v6
	s_clause 0x1
	global_load_b128 v[6:9], v[12:13], off
	global_load_b64 v[14:15], v[12:13], off offset:16
	s_wait_loadcnt 0x1
	v_fmac_f32_e32 v0, v4, v6
	v_dual_fmac_f32 v1, v5, v6 :: v_dual_fmac_f32 v2, v4, v8
	s_wait_loadcnt 0x0
	v_dual_fmac_f32 v3, v5, v8 :: v_dual_fmac_f32 v10, v4, v14
	v_fmac_f32_e32 v11, v5, v14
	v_fma_f32 v0, -v5, v7, v0
	v_fmac_f32_e32 v1, v4, v7
	v_fma_f32 v2, -v5, v9, v2
	;; [unrolled: 2-line block ×3, first 2 shown]
	v_fmac_f32_e32 v11, v4, v15
	s_clause 0x1
	global_store_b128 v[12:13], v[0:3], off
	global_store_b64 v[12:13], v[10:11], off offset:16
	s_endpgm
	.section	.rodata,"a",@progbits
	.p2align	6, 0x0
	.amdhsa_kernel _ZN9rocsparseL18bsrxmvn_3x3_kernelILj256ELj64E21rocsparse_complex_numIfEllS2_S2_S2_EEvT3_20rocsparse_direction_NS_24const_host_device_scalarIT1_EES3_PKS3_PKT2_SC_S9_PKT4_PKT5_S7_PT6_21rocsparse_index_base_b
		.amdhsa_group_segment_fixed_size 0
		.amdhsa_private_segment_fixed_size 0
		.amdhsa_kernarg_size 104
		.amdhsa_user_sgpr_count 2
		.amdhsa_user_sgpr_dispatch_ptr 0
		.amdhsa_user_sgpr_queue_ptr 0
		.amdhsa_user_sgpr_kernarg_segment_ptr 1
		.amdhsa_user_sgpr_dispatch_id 0
		.amdhsa_user_sgpr_private_segment_size 0
		.amdhsa_wavefront_size32 1
		.amdhsa_uses_dynamic_stack 0
		.amdhsa_enable_private_segment 0
		.amdhsa_system_sgpr_workgroup_id_x 1
		.amdhsa_system_sgpr_workgroup_id_y 0
		.amdhsa_system_sgpr_workgroup_id_z 0
		.amdhsa_system_sgpr_workgroup_info 0
		.amdhsa_system_vgpr_workitem_id 0
		.amdhsa_next_free_vgpr 51
		.amdhsa_next_free_sgpr 12
		.amdhsa_reserve_vcc 1
		.amdhsa_float_round_mode_32 0
		.amdhsa_float_round_mode_16_64 0
		.amdhsa_float_denorm_mode_32 3
		.amdhsa_float_denorm_mode_16_64 3
		.amdhsa_fp16_overflow 0
		.amdhsa_workgroup_processor_mode 1
		.amdhsa_memory_ordered 1
		.amdhsa_forward_progress 1
		.amdhsa_inst_pref_size 23
		.amdhsa_round_robin_scheduling 0
		.amdhsa_exception_fp_ieee_invalid_op 0
		.amdhsa_exception_fp_denorm_src 0
		.amdhsa_exception_fp_ieee_div_zero 0
		.amdhsa_exception_fp_ieee_overflow 0
		.amdhsa_exception_fp_ieee_underflow 0
		.amdhsa_exception_fp_ieee_inexact 0
		.amdhsa_exception_int_div_zero 0
	.end_amdhsa_kernel
	.section	.text._ZN9rocsparseL18bsrxmvn_3x3_kernelILj256ELj64E21rocsparse_complex_numIfEllS2_S2_S2_EEvT3_20rocsparse_direction_NS_24const_host_device_scalarIT1_EES3_PKS3_PKT2_SC_S9_PKT4_PKT5_S7_PT6_21rocsparse_index_base_b,"axG",@progbits,_ZN9rocsparseL18bsrxmvn_3x3_kernelILj256ELj64E21rocsparse_complex_numIfEllS2_S2_S2_EEvT3_20rocsparse_direction_NS_24const_host_device_scalarIT1_EES3_PKS3_PKT2_SC_S9_PKT4_PKT5_S7_PT6_21rocsparse_index_base_b,comdat
.Lfunc_end54:
	.size	_ZN9rocsparseL18bsrxmvn_3x3_kernelILj256ELj64E21rocsparse_complex_numIfEllS2_S2_S2_EEvT3_20rocsparse_direction_NS_24const_host_device_scalarIT1_EES3_PKS3_PKT2_SC_S9_PKT4_PKT5_S7_PT6_21rocsparse_index_base_b, .Lfunc_end54-_ZN9rocsparseL18bsrxmvn_3x3_kernelILj256ELj64E21rocsparse_complex_numIfEllS2_S2_S2_EEvT3_20rocsparse_direction_NS_24const_host_device_scalarIT1_EES3_PKS3_PKT2_SC_S9_PKT4_PKT5_S7_PT6_21rocsparse_index_base_b
                                        ; -- End function
	.set _ZN9rocsparseL18bsrxmvn_3x3_kernelILj256ELj64E21rocsparse_complex_numIfEllS2_S2_S2_EEvT3_20rocsparse_direction_NS_24const_host_device_scalarIT1_EES3_PKS3_PKT2_SC_S9_PKT4_PKT5_S7_PT6_21rocsparse_index_base_b.num_vgpr, 51
	.set _ZN9rocsparseL18bsrxmvn_3x3_kernelILj256ELj64E21rocsparse_complex_numIfEllS2_S2_S2_EEvT3_20rocsparse_direction_NS_24const_host_device_scalarIT1_EES3_PKS3_PKT2_SC_S9_PKT4_PKT5_S7_PT6_21rocsparse_index_base_b.num_agpr, 0
	.set _ZN9rocsparseL18bsrxmvn_3x3_kernelILj256ELj64E21rocsparse_complex_numIfEllS2_S2_S2_EEvT3_20rocsparse_direction_NS_24const_host_device_scalarIT1_EES3_PKS3_PKT2_SC_S9_PKT4_PKT5_S7_PT6_21rocsparse_index_base_b.numbered_sgpr, 12
	.set _ZN9rocsparseL18bsrxmvn_3x3_kernelILj256ELj64E21rocsparse_complex_numIfEllS2_S2_S2_EEvT3_20rocsparse_direction_NS_24const_host_device_scalarIT1_EES3_PKS3_PKT2_SC_S9_PKT4_PKT5_S7_PT6_21rocsparse_index_base_b.num_named_barrier, 0
	.set _ZN9rocsparseL18bsrxmvn_3x3_kernelILj256ELj64E21rocsparse_complex_numIfEllS2_S2_S2_EEvT3_20rocsparse_direction_NS_24const_host_device_scalarIT1_EES3_PKS3_PKT2_SC_S9_PKT4_PKT5_S7_PT6_21rocsparse_index_base_b.private_seg_size, 0
	.set _ZN9rocsparseL18bsrxmvn_3x3_kernelILj256ELj64E21rocsparse_complex_numIfEllS2_S2_S2_EEvT3_20rocsparse_direction_NS_24const_host_device_scalarIT1_EES3_PKS3_PKT2_SC_S9_PKT4_PKT5_S7_PT6_21rocsparse_index_base_b.uses_vcc, 1
	.set _ZN9rocsparseL18bsrxmvn_3x3_kernelILj256ELj64E21rocsparse_complex_numIfEllS2_S2_S2_EEvT3_20rocsparse_direction_NS_24const_host_device_scalarIT1_EES3_PKS3_PKT2_SC_S9_PKT4_PKT5_S7_PT6_21rocsparse_index_base_b.uses_flat_scratch, 0
	.set _ZN9rocsparseL18bsrxmvn_3x3_kernelILj256ELj64E21rocsparse_complex_numIfEllS2_S2_S2_EEvT3_20rocsparse_direction_NS_24const_host_device_scalarIT1_EES3_PKS3_PKT2_SC_S9_PKT4_PKT5_S7_PT6_21rocsparse_index_base_b.has_dyn_sized_stack, 0
	.set _ZN9rocsparseL18bsrxmvn_3x3_kernelILj256ELj64E21rocsparse_complex_numIfEllS2_S2_S2_EEvT3_20rocsparse_direction_NS_24const_host_device_scalarIT1_EES3_PKS3_PKT2_SC_S9_PKT4_PKT5_S7_PT6_21rocsparse_index_base_b.has_recursion, 0
	.set _ZN9rocsparseL18bsrxmvn_3x3_kernelILj256ELj64E21rocsparse_complex_numIfEllS2_S2_S2_EEvT3_20rocsparse_direction_NS_24const_host_device_scalarIT1_EES3_PKS3_PKT2_SC_S9_PKT4_PKT5_S7_PT6_21rocsparse_index_base_b.has_indirect_call, 0
	.section	.AMDGPU.csdata,"",@progbits
; Kernel info:
; codeLenInByte = 2928
; TotalNumSgprs: 14
; NumVgprs: 51
; ScratchSize: 0
; MemoryBound: 0
; FloatMode: 240
; IeeeMode: 1
; LDSByteSize: 0 bytes/workgroup (compile time only)
; SGPRBlocks: 0
; VGPRBlocks: 6
; NumSGPRsForWavesPerEU: 14
; NumVGPRsForWavesPerEU: 51
; Occupancy: 16
; WaveLimiterHint : 1
; COMPUTE_PGM_RSRC2:SCRATCH_EN: 0
; COMPUTE_PGM_RSRC2:USER_SGPR: 2
; COMPUTE_PGM_RSRC2:TRAP_HANDLER: 0
; COMPUTE_PGM_RSRC2:TGID_X_EN: 1
; COMPUTE_PGM_RSRC2:TGID_Y_EN: 0
; COMPUTE_PGM_RSRC2:TGID_Z_EN: 0
; COMPUTE_PGM_RSRC2:TIDIG_COMP_CNT: 0
	.section	.text._ZN9rocsparseL18bsrxmvn_3x3_kernelILj256ELj4E21rocsparse_complex_numIdEllS2_S2_S2_EEvT3_20rocsparse_direction_NS_24const_host_device_scalarIT1_EES3_PKS3_PKT2_SC_S9_PKT4_PKT5_S7_PT6_21rocsparse_index_base_b,"axG",@progbits,_ZN9rocsparseL18bsrxmvn_3x3_kernelILj256ELj4E21rocsparse_complex_numIdEllS2_S2_S2_EEvT3_20rocsparse_direction_NS_24const_host_device_scalarIT1_EES3_PKS3_PKT2_SC_S9_PKT4_PKT5_S7_PT6_21rocsparse_index_base_b,comdat
	.globl	_ZN9rocsparseL18bsrxmvn_3x3_kernelILj256ELj4E21rocsparse_complex_numIdEllS2_S2_S2_EEvT3_20rocsparse_direction_NS_24const_host_device_scalarIT1_EES3_PKS3_PKT2_SC_S9_PKT4_PKT5_S7_PT6_21rocsparse_index_base_b ; -- Begin function _ZN9rocsparseL18bsrxmvn_3x3_kernelILj256ELj4E21rocsparse_complex_numIdEllS2_S2_S2_EEvT3_20rocsparse_direction_NS_24const_host_device_scalarIT1_EES3_PKS3_PKT2_SC_S9_PKT4_PKT5_S7_PT6_21rocsparse_index_base_b
	.p2align	8
	.type	_ZN9rocsparseL18bsrxmvn_3x3_kernelILj256ELj4E21rocsparse_complex_numIdEllS2_S2_S2_EEvT3_20rocsparse_direction_NS_24const_host_device_scalarIT1_EES3_PKS3_PKT2_SC_S9_PKT4_PKT5_S7_PT6_21rocsparse_index_base_b,@function
_ZN9rocsparseL18bsrxmvn_3x3_kernelILj256ELj4E21rocsparse_complex_numIdEllS2_S2_S2_EEvT3_20rocsparse_direction_NS_24const_host_device_scalarIT1_EES3_PKS3_PKT2_SC_S9_PKT4_PKT5_S7_PT6_21rocsparse_index_base_b: ; @_ZN9rocsparseL18bsrxmvn_3x3_kernelILj256ELj4E21rocsparse_complex_numIdEllS2_S2_S2_EEvT3_20rocsparse_direction_NS_24const_host_device_scalarIT1_EES3_PKS3_PKT2_SC_S9_PKT4_PKT5_S7_PT6_21rocsparse_index_base_b
; %bb.0:
	s_clause 0x1
	s_load_b64 s[4:5], s[0:1], 0x70
	s_load_b64 s[2:3], s[0:1], 0x10
	s_add_nc_u64 s[6:7], s[0:1], 16
	s_load_b64 s[8:9], s[0:1], 0x58
	s_wait_kmcnt 0x0
	s_bitcmp1_b32 s5, 0
	s_cselect_b32 s2, s6, s2
	s_cselect_b32 s3, s7, s3
	s_delay_alu instid0(SALU_CYCLE_1)
	v_dual_mov_b32 v1, s2 :: v_dual_mov_b32 v2, s3
	s_add_nc_u64 s[2:3], s[0:1], 0x58
	s_wait_alu 0xfffe
	s_cselect_b32 s2, s2, s8
	s_cselect_b32 s3, s3, s9
	flat_load_b128 v[5:8], v[1:2]
	s_wait_alu 0xfffe
	v_dual_mov_b32 v1, s2 :: v_dual_mov_b32 v2, s3
	flat_load_b128 v[1:4], v[1:2]
	s_wait_loadcnt_dscnt 0x101
	v_cmp_eq_f64_e32 vcc_lo, 0, v[5:6]
	v_cmp_eq_f64_e64 s2, 0, v[7:8]
	s_and_b32 s5, vcc_lo, s2
	s_mov_b32 s2, -1
	s_and_saveexec_b32 s3, s5
	s_cbranch_execz .LBB55_2
; %bb.1:
	s_wait_loadcnt_dscnt 0x0
	v_cmp_neq_f64_e32 vcc_lo, 1.0, v[1:2]
	v_cmp_neq_f64_e64 s2, 0, v[3:4]
	s_wait_alu 0xfffe
	s_or_b32 s2, vcc_lo, s2
	s_wait_alu 0xfffe
	s_or_not1_b32 s2, s2, exec_lo
.LBB55_2:
	s_wait_alu 0xfffe
	s_or_b32 exec_lo, exec_lo, s3
	s_and_saveexec_b32 s3, s2
	s_cbranch_execz .LBB55_8
; %bb.3:
	s_load_b64 s[2:3], s[0:1], 0x28
	v_lshrrev_b32_e32 v9, 2, v0
	v_mov_b32_e32 v12, 0
	s_delay_alu instid0(VALU_DEP_2)
	v_lshl_or_b32 v11, ttmp9, 6, v9
	s_wait_kmcnt 0x0
	s_cmp_lg_u64 s[2:3], 0
	s_cbranch_scc0 .LBB55_9
; %bb.4:
	s_load_b64 s[6:7], s[0:1], 0x20
                                        ; implicit-def: $vgpr17_vgpr18
                                        ; implicit-def: $vgpr9_vgpr10
	s_wait_kmcnt 0x0
	v_cmp_gt_i64_e32 vcc_lo, s[6:7], v[11:12]
	s_mov_b32 s7, 0
	s_mov_b32 s6, 0
	s_and_saveexec_b32 s5, vcc_lo
	s_delay_alu instid0(SALU_CYCLE_1)
	s_xor_b32 s8, exec_lo, s5
	s_cbranch_execz .LBB55_6
; %bb.5:
	v_lshlrev_b64_e32 v[9:10], 3, v[11:12]
	s_mov_b32 s5, 0
	s_mov_b32 s6, exec_lo
	s_delay_alu instid0(VALU_DEP_1) | instskip(NEXT) | instid1(VALU_DEP_1)
	v_add_co_u32 v9, vcc_lo, s2, v9
	v_add_co_ci_u32_e64 v10, null, s3, v10, vcc_lo
	global_load_b64 v[9:10], v[9:10], off
	s_wait_loadcnt 0x0
	v_sub_co_u32 v17, vcc_lo, v9, s4
	s_wait_alu 0xfffd
	v_subrev_co_ci_u32_e64 v18, null, 0, v10, vcc_lo
	v_dual_mov_b32 v10, s5 :: v_dual_mov_b32 v9, s4
.LBB55_6:
	s_or_b32 exec_lo, exec_lo, s8
	s_wait_alu 0xfffe
	s_and_b32 vcc_lo, exec_lo, s7
	s_wait_alu 0xfffe
	s_cbranch_vccnz .LBB55_10
.LBB55_7:
	s_and_b32 exec_lo, exec_lo, s6
	s_cbranch_execnz .LBB55_13
.LBB55_8:
	s_endpgm
.LBB55_9:
	s_mov_b32 s6, 0
                                        ; implicit-def: $vgpr17_vgpr18
                                        ; implicit-def: $vgpr9_vgpr10
	s_cbranch_execz .LBB55_7
.LBB55_10:
	s_load_b64 s[2:3], s[0:1], 0x0
	s_wait_kmcnt 0x0
	v_cmp_gt_i64_e32 vcc_lo, s[2:3], v[11:12]
	s_and_saveexec_b32 s2, vcc_lo
; %bb.11:
	s_mov_b32 s5, 0
	s_or_b32 s6, s6, exec_lo
; %bb.12:
	s_wait_alu 0xfffe
	s_or_b32 exec_lo, exec_lo, s2
	v_dual_mov_b32 v10, s5 :: v_dual_mov_b32 v9, s4
	v_dual_mov_b32 v18, v12 :: v_dual_mov_b32 v17, v11
	s_and_b32 exec_lo, exec_lo, s6
	s_cbranch_execz .LBB55_8
.LBB55_13:
	s_load_b256 s[4:11], s[0:1], 0x30
	s_delay_alu instid0(VALU_DEP_1) | instskip(SKIP_2) | instid1(VALU_DEP_2)
	v_lshlrev_b64_e32 v[11:12], 3, v[17:18]
	v_and_b32_e32 v0, 3, v0
	s_wait_kmcnt 0x0
	v_add_co_u32 v13, vcc_lo, s4, v11
	s_wait_alu 0xfffd
	s_delay_alu instid0(VALU_DEP_3)
	v_add_co_ci_u32_e64 v14, null, s5, v12, vcc_lo
	v_add_co_u32 v11, vcc_lo, s6, v11
	s_wait_alu 0xfffd
	v_add_co_ci_u32_e64 v12, null, s7, v12, vcc_lo
	global_load_b64 v[15:16], v[13:14], off
	v_add_co_u32 v13, vcc_lo, v13, 8
	s_wait_alu 0xfffd
	v_add_co_ci_u32_e64 v14, null, 0, v14, vcc_lo
	s_cmp_eq_u64 s[6:7], 0
	s_cselect_b32 vcc_lo, -1, 0
	s_wait_alu 0xfffe
	v_dual_cndmask_b32 v12, v12, v14 :: v_dual_cndmask_b32 v11, v11, v13
	global_load_b64 v[19:20], v[11:12], off
	s_clause 0x1
	s_load_b32 s3, s[0:1], 0x8
	s_load_b64 s[4:5], s[0:1], 0x50
	s_wait_kmcnt 0x0
	s_cmp_eq_u32 s3, 1
	s_wait_loadcnt 0x1
	v_sub_co_u32 v11, vcc_lo, v15, v9
	s_wait_alu 0xfffd
	v_sub_co_ci_u32_e64 v12, null, v16, v10, vcc_lo
	s_delay_alu instid0(VALU_DEP_2) | instskip(SKIP_1) | instid1(VALU_DEP_2)
	v_add_co_u32 v11, vcc_lo, v11, v0
	s_wait_alu 0xfffd
	v_add_co_ci_u32_e64 v12, null, 0, v12, vcc_lo
	s_delay_alu instid0(VALU_DEP_2) | instskip(NEXT) | instid1(VALU_DEP_1)
	v_mad_co_u64_u32 v[13:14], null, 0x90, v11, s[10:11]
	v_mad_co_u64_u32 v[14:15], null, 0x90, v12, v[14:15]
	s_wait_loadcnt 0x0
	v_sub_co_u32 v15, vcc_lo, v19, v9
	s_wait_alu 0xfffd
	v_sub_co_ci_u32_e64 v16, null, v20, v10, vcc_lo
	s_delay_alu instid0(VALU_DEP_1)
	v_cmp_lt_i64_e64 s2, v[11:12], v[15:16]
	s_cbranch_scc1 .LBB55_19
; %bb.14:
	v_mov_b32_e32 v19, 0
	v_mov_b32_e32 v23, 0
	v_dual_mov_b32 v27, 0 :: v_dual_mov_b32 v20, 0
	v_dual_mov_b32 v21, 0 :: v_dual_mov_b32 v24, 0
	;; [unrolled: 1-line block ×4, first 2 shown]
	v_mov_b32_e32 v26, 0
	v_mov_b32_e32 v30, 0
	s_and_saveexec_b32 s6, s2
	s_cbranch_execz .LBB55_18
; %bb.15:
	v_lshlrev_b64_e32 v[21:22], 3, v[11:12]
	v_mov_b32_e32 v25, 0
	v_dual_mov_b32 v19, 0 :: v_dual_mov_b32 v32, v12
	v_dual_mov_b32 v26, 0 :: v_dual_mov_b32 v27, 0
	s_delay_alu instid0(VALU_DEP_4)
	v_add_co_u32 v33, vcc_lo, s8, v21
	s_wait_alu 0xfffd
	v_add_co_ci_u32_e64 v34, null, s9, v22, vcc_lo
	v_mov_b32_e32 v21, 0
	v_dual_mov_b32 v22, 0 :: v_dual_mov_b32 v23, 0
	v_dual_mov_b32 v29, 0 :: v_dual_mov_b32 v36, v14
	v_dual_mov_b32 v20, 0 :: v_dual_mov_b32 v31, v11
	v_mov_b32_e32 v24, 0
	v_mov_b32_e32 v28, 0
	v_dual_mov_b32 v30, 0 :: v_dual_mov_b32 v35, v13
	s_mov_b32 s7, 0
.LBB55_16:                              ; =>This Inner Loop Header: Depth=1
	global_load_b64 v[41:42], v[33:34], off
	global_load_b128 v[37:40], v[35:36], off offset:48
	v_add_co_u32 v33, s3, v33, 32
	s_wait_alu 0xf1ff
	v_add_co_ci_u32_e64 v34, null, 0, v34, s3
	s_wait_loadcnt 0x1
	v_sub_co_u32 v41, vcc_lo, v41, v9
	s_wait_alu 0xfffd
	v_sub_co_ci_u32_e64 v50, null, v42, v10, vcc_lo
	v_add_co_u32 v31, vcc_lo, v31, 4
	s_delay_alu instid0(VALU_DEP_3)
	v_mad_co_u64_u32 v[81:82], null, v41, 48, s[4:5]
	s_clause 0x1
	global_load_b128 v[41:44], v[35:36], off offset:16
	global_load_b128 v[45:48], v[35:36], off
	s_wait_alu 0xfffd
	v_add_co_ci_u32_e64 v32, null, 0, v32, vcc_lo
	v_mov_b32_e32 v49, v82
	s_delay_alu instid0(VALU_DEP_1)
	v_mad_co_u64_u32 v[57:58], null, v50, 48, v[49:50]
	s_clause 0x1
	global_load_b128 v[49:52], v[35:36], off offset:112
	global_load_b128 v[53:56], v[35:36], off offset:96
	v_mov_b32_e32 v82, v57
	s_clause 0x1
	global_load_b128 v[57:60], v[81:82], off
	global_load_b128 v[61:64], v[81:82], off offset:16
	s_clause 0x3
	global_load_b128 v[65:68], v[35:36], off offset:64
	global_load_b128 v[69:72], v[35:36], off offset:80
	;; [unrolled: 1-line block ×5, first 2 shown]
	v_add_co_u32 v35, vcc_lo, 0x240, v35
	s_wait_alu 0xfffd
	v_add_co_ci_u32_e64 v36, null, 0, v36, vcc_lo
	v_cmp_ge_i64_e32 vcc_lo, v[31:32], v[15:16]
	s_wait_alu 0xfffe
	s_or_b32 s7, vcc_lo, s7
	s_wait_loadcnt 0x6
	v_fma_f64 v[21:22], v[45:46], v[57:58], v[21:22]
	v_fma_f64 v[19:20], v[47:48], v[57:58], v[19:20]
	;; [unrolled: 1-line block ×6, first 2 shown]
	v_fma_f64 v[21:22], -v[47:48], v[59:60], v[21:22]
	v_fma_f64 v[19:20], v[45:46], v[59:60], v[19:20]
	v_fma_f64 v[27:28], -v[39:40], v[59:60], v[27:28]
	v_fma_f64 v[29:30], v[37:38], v[59:60], v[29:30]
	v_fma_f64 v[23:24], -v[55:56], v[59:60], v[23:24]
	v_fma_f64 v[25:26], v[53:54], v[59:60], v[25:26]
	s_wait_loadcnt 0x5
	v_fma_f64 v[21:22], v[41:42], v[61:62], v[21:22]
	v_fma_f64 v[19:20], v[43:44], v[61:62], v[19:20]
	s_wait_loadcnt 0x4
	v_fma_f64 v[27:28], v[65:66], v[61:62], v[27:28]
	v_fma_f64 v[29:30], v[67:68], v[61:62], v[29:30]
	;; [unrolled: 1-line block ×4, first 2 shown]
	v_fma_f64 v[21:22], -v[43:44], v[63:64], v[21:22]
	v_fma_f64 v[19:20], v[41:42], v[63:64], v[19:20]
	v_fma_f64 v[27:28], -v[67:68], v[63:64], v[27:28]
	v_fma_f64 v[29:30], v[65:66], v[63:64], v[29:30]
	v_fma_f64 v[23:24], -v[51:52], v[63:64], v[23:24]
	v_fma_f64 v[25:26], v[49:50], v[63:64], v[25:26]
	s_wait_loadcnt 0x0
	v_fma_f64 v[21:22], v[73:74], v[81:82], v[21:22]
	v_fma_f64 v[19:20], v[75:76], v[81:82], v[19:20]
	;; [unrolled: 1-line block ×6, first 2 shown]
	v_fma_f64 v[21:22], -v[75:76], v[83:84], v[21:22]
	v_fma_f64 v[19:20], v[73:74], v[83:84], v[19:20]
	v_fma_f64 v[27:28], -v[71:72], v[83:84], v[27:28]
	v_fma_f64 v[29:30], v[69:70], v[83:84], v[29:30]
	;; [unrolled: 2-line block ×3, first 2 shown]
	s_wait_alu 0xfffe
	s_and_not1_b32 exec_lo, exec_lo, s7
	s_cbranch_execnz .LBB55_16
; %bb.17:
	s_or_b32 exec_lo, exec_lo, s7
.LBB55_18:
	s_wait_alu 0xfffe
	s_or_b32 exec_lo, exec_lo, s6
	s_cbranch_execz .LBB55_20
	s_branch .LBB55_25
.LBB55_19:
                                        ; implicit-def: $vgpr19_vgpr20
                                        ; implicit-def: $vgpr21_vgpr22
                                        ; implicit-def: $vgpr23_vgpr24
                                        ; implicit-def: $vgpr25_vgpr26
                                        ; implicit-def: $vgpr27_vgpr28
                                        ; implicit-def: $vgpr29_vgpr30
.LBB55_20:
	v_mov_b32_e32 v19, 0
	v_mov_b32_e32 v23, 0
	v_dual_mov_b32 v27, 0 :: v_dual_mov_b32 v20, 0
	v_dual_mov_b32 v21, 0 :: v_dual_mov_b32 v24, 0
	;; [unrolled: 1-line block ×4, first 2 shown]
	v_mov_b32_e32 v26, 0
	v_mov_b32_e32 v30, 0
	s_and_saveexec_b32 s3, s2
	s_cbranch_execz .LBB55_24
; %bb.21:
	v_lshlrev_b64_e32 v[31:32], 3, v[11:12]
	v_mov_b32_e32 v19, 0
	v_mov_b32_e32 v23, 0
	v_dual_mov_b32 v27, 0 :: v_dual_mov_b32 v20, 0
	v_mov_b32_e32 v21, 0
	v_add_co_u32 v31, vcc_lo, s8, v31
	v_dual_mov_b32 v24, 0 :: v_dual_mov_b32 v25, 0
	v_dual_mov_b32 v28, 0 :: v_dual_mov_b32 v29, 0
	v_mov_b32_e32 v22, 0
	v_mov_b32_e32 v26, 0
	v_mov_b32_e32 v30, 0
	s_wait_alu 0xfffd
	v_add_co_ci_u32_e64 v32, null, s9, v32, vcc_lo
	s_mov_b32 s6, 0
.LBB55_22:                              ; =>This Inner Loop Header: Depth=1
	global_load_b64 v[33:34], v[31:32], off
	v_add_co_u32 v31, s2, v31, 32
	s_wait_alu 0xf1ff
	v_add_co_ci_u32_e64 v32, null, 0, v32, s2
	s_wait_loadcnt 0x0
	v_sub_co_u32 v33, vcc_lo, v33, v9
	s_wait_alu 0xfffd
	v_sub_co_ci_u32_e64 v42, null, v34, v10, vcc_lo
	v_add_co_u32 v11, vcc_lo, v11, 4
	s_delay_alu instid0(VALU_DEP_3)
	v_mad_co_u64_u32 v[77:78], null, v33, 48, s[4:5]
	s_clause 0x1
	global_load_b128 v[33:36], v[13:14], off offset:48
	global_load_b128 v[37:40], v[13:14], off offset:32
	s_wait_alu 0xfffd
	v_add_co_ci_u32_e64 v12, null, 0, v12, vcc_lo
	v_mov_b32_e32 v41, v78
	s_delay_alu instid0(VALU_DEP_1)
	v_mad_co_u64_u32 v[49:50], null, v42, 48, v[41:42]
	s_clause 0x1
	global_load_b128 v[41:44], v[13:14], off offset:16
	global_load_b128 v[45:48], v[13:14], off
	v_mov_b32_e32 v78, v49
	s_clause 0x1
	global_load_b128 v[49:52], v[77:78], off
	global_load_b128 v[53:56], v[77:78], off offset:16
	s_clause 0x4
	global_load_b128 v[57:60], v[13:14], off offset:64
	global_load_b128 v[61:64], v[13:14], off offset:80
	;; [unrolled: 1-line block ×6, first 2 shown]
	v_add_co_u32 v13, vcc_lo, 0x240, v13
	s_wait_alu 0xfffd
	v_add_co_ci_u32_e64 v14, null, 0, v14, vcc_lo
	v_cmp_ge_i64_e32 vcc_lo, v[11:12], v[15:16]
	s_wait_alu 0xfffe
	s_or_b32 s6, vcc_lo, s6
	s_wait_loadcnt 0x7
	v_fma_f64 v[21:22], v[45:46], v[49:50], v[21:22]
	v_fma_f64 v[19:20], v[47:48], v[49:50], v[19:20]
	;; [unrolled: 1-line block ×6, first 2 shown]
	v_fma_f64 v[21:22], -v[47:48], v[51:52], v[21:22]
	v_fma_f64 v[19:20], v[45:46], v[51:52], v[19:20]
	v_fma_f64 v[27:28], -v[43:44], v[51:52], v[27:28]
	v_fma_f64 v[29:30], v[41:42], v[51:52], v[29:30]
	v_fma_f64 v[23:24], -v[39:40], v[51:52], v[23:24]
	v_fma_f64 v[25:26], v[37:38], v[51:52], v[25:26]
	s_wait_loadcnt 0x6
	v_fma_f64 v[21:22], v[33:34], v[53:54], v[21:22]
	v_fma_f64 v[19:20], v[35:36], v[53:54], v[19:20]
	s_wait_loadcnt 0x5
	v_fma_f64 v[27:28], v[57:58], v[53:54], v[27:28]
	v_fma_f64 v[29:30], v[59:60], v[53:54], v[29:30]
	;; [unrolled: 3-line block ×3, first 2 shown]
	v_fma_f64 v[21:22], -v[35:36], v[55:56], v[21:22]
	v_fma_f64 v[19:20], v[33:34], v[55:56], v[19:20]
	v_fma_f64 v[27:28], -v[59:60], v[55:56], v[27:28]
	v_fma_f64 v[29:30], v[57:58], v[55:56], v[29:30]
	;; [unrolled: 2-line block ×3, first 2 shown]
	s_wait_loadcnt 0x0
	v_fma_f64 v[21:22], v[69:70], v[77:78], v[21:22]
	v_fma_f64 v[19:20], v[71:72], v[77:78], v[19:20]
	;; [unrolled: 1-line block ×6, first 2 shown]
	v_fma_f64 v[21:22], -v[71:72], v[79:80], v[21:22]
	v_fma_f64 v[19:20], v[69:70], v[79:80], v[19:20]
	v_fma_f64 v[27:28], -v[67:68], v[79:80], v[27:28]
	v_fma_f64 v[29:30], v[65:66], v[79:80], v[29:30]
	;; [unrolled: 2-line block ×3, first 2 shown]
	s_wait_alu 0xfffe
	s_and_not1_b32 exec_lo, exec_lo, s6
	s_cbranch_execnz .LBB55_22
; %bb.23:
	s_or_b32 exec_lo, exec_lo, s6
.LBB55_24:
	s_wait_alu 0xfffe
	s_or_b32 exec_lo, exec_lo, s3
.LBB55_25:
	v_mbcnt_lo_u32_b32 v37, -1, 0
	s_delay_alu instid0(VALU_DEP_1) | instskip(NEXT) | instid1(VALU_DEP_1)
	v_xor_b32_e32 v9, 2, v37
	v_cmp_gt_i32_e32 vcc_lo, 32, v9
	s_wait_alu 0xfffd
	v_cndmask_b32_e32 v9, v37, v9, vcc_lo
	s_delay_alu instid0(VALU_DEP_1)
	v_lshlrev_b32_e32 v31, 2, v9
	ds_bpermute_b32 v9, v31, v21
	ds_bpermute_b32 v10, v31, v22
	;; [unrolled: 1-line block ×12, first 2 shown]
	s_wait_dscnt 0xa
	v_add_f64_e32 v[9:10], v[21:22], v[9:10]
	v_xor_b32_e32 v21, 1, v37
	s_wait_dscnt 0x8
	v_add_f64_e32 v[31:32], v[19:20], v[11:12]
	s_wait_dscnt 0x6
	v_add_f64_e32 v[11:12], v[27:28], v[13:14]
	;; [unrolled: 2-line block ×3, first 2 shown]
	v_cmp_gt_i32_e32 vcc_lo, 32, v21
	s_wait_dscnt 0x2
	v_add_f64_e32 v[13:14], v[23:24], v[33:34]
	s_wait_dscnt 0x0
	v_add_f64_e32 v[15:16], v[25:26], v[35:36]
	s_wait_alu 0xfffd
	v_cndmask_b32_e32 v21, v37, v21, vcc_lo
	v_cmp_eq_u32_e32 vcc_lo, 3, v0
	s_delay_alu instid0(VALU_DEP_2)
	v_lshlrev_b32_e32 v28, 2, v21
	ds_bpermute_b32 v21, v28, v9
	ds_bpermute_b32 v22, v28, v10
	;; [unrolled: 1-line block ×12, first 2 shown]
	s_and_b32 exec_lo, exec_lo, vcc_lo
	s_cbranch_execz .LBB55_8
; %bb.26:
	s_wait_dscnt 0x8
	v_add_f64_e32 v[31:32], v[31:32], v[33:34]
	s_wait_dscnt 0x4
	v_add_f64_e32 v[19:20], v[19:20], v[29:30]
	;; [unrolled: 2-line block ×3, first 2 shown]
	v_add_f64_e32 v[9:10], v[9:10], v[21:22]
	v_add_f64_e32 v[11:12], v[11:12], v[23:24]
	;; [unrolled: 1-line block ×3, first 2 shown]
	v_cmp_eq_f64_e32 vcc_lo, 0, v[1:2]
	v_cmp_eq_f64_e64 s2, 0, v[3:4]
	s_load_b64 s[0:1], s[0:1], 0x68
	v_mul_f64_e64 v[13:14], v[31:32], -v[7:8]
	v_mul_f64_e32 v[23:24], v[5:6], v[31:32]
	v_mul_f64_e64 v[25:26], v[19:20], -v[7:8]
	v_mul_f64_e32 v[19:20], v[5:6], v[19:20]
	;; [unrolled: 2-line block ×3, first 2 shown]
	s_and_b32 s2, vcc_lo, s2
	v_fma_f64 v[13:14], v[5:6], v[9:10], v[13:14]
	v_fma_f64 v[15:16], v[7:8], v[9:10], v[23:24]
	;; [unrolled: 1-line block ×6, first 2 shown]
	s_wait_alu 0xfffe
	s_and_saveexec_b32 s3, s2
	s_wait_alu 0xfffe
	s_xor_b32 s2, exec_lo, s3
	s_cbranch_execz .LBB55_28
; %bb.27:
	s_wait_kmcnt 0x0
	v_mad_co_u64_u32 v[0:1], null, v17, 48, s[0:1]
	s_delay_alu instid0(VALU_DEP_1)
	v_mad_co_u64_u32 v[1:2], null, v18, 48, v[1:2]
                                        ; implicit-def: $vgpr17_vgpr18
	s_clause 0x2
	global_store_b128 v[0:1], v[13:16], off
	global_store_b128 v[0:1], v[9:12], off offset:16
	global_store_b128 v[0:1], v[5:8], off offset:32
                                        ; implicit-def: $vgpr3_vgpr4
                                        ; implicit-def: $vgpr13_vgpr14
                                        ; implicit-def: $vgpr9_vgpr10
                                        ; implicit-def: $vgpr5_vgpr6
.LBB55_28:
	s_wait_alu 0xfffe
	s_and_not1_saveexec_b32 s2, s2
	s_cbranch_execz .LBB55_8
; %bb.29:
	s_wait_kmcnt 0x0
	v_mad_co_u64_u32 v[29:30], null, v17, 48, s[0:1]
	s_delay_alu instid0(VALU_DEP_1) | instskip(NEXT) | instid1(VALU_DEP_1)
	v_mov_b32_e32 v0, v30
	v_mad_co_u64_u32 v[17:18], null, v18, 48, v[0:1]
	s_delay_alu instid0(VALU_DEP_1)
	v_mov_b32_e32 v30, v17
	s_clause 0x2
	global_load_b128 v[17:20], v[29:30], off
	global_load_b128 v[21:24], v[29:30], off offset:16
	global_load_b128 v[25:28], v[29:30], off offset:32
	s_wait_loadcnt 0x2
	v_fma_f64 v[13:14], v[1:2], v[17:18], v[13:14]
	v_fma_f64 v[15:16], v[3:4], v[17:18], v[15:16]
	s_wait_loadcnt 0x1
	v_fma_f64 v[9:10], v[1:2], v[21:22], v[9:10]
	v_fma_f64 v[11:12], v[3:4], v[21:22], v[11:12]
	s_wait_loadcnt 0x0
	v_fma_f64 v[17:18], v[1:2], v[25:26], v[5:6]
	v_fma_f64 v[21:22], v[3:4], v[25:26], v[7:8]
	v_fma_f64 v[5:6], -v[3:4], v[19:20], v[13:14]
	v_fma_f64 v[7:8], v[1:2], v[19:20], v[15:16]
	v_fma_f64 v[9:10], -v[3:4], v[23:24], v[9:10]
	v_fma_f64 v[11:12], v[1:2], v[23:24], v[11:12]
	v_fma_f64 v[13:14], -v[3:4], v[27:28], v[17:18]
	v_fma_f64 v[15:16], v[1:2], v[27:28], v[21:22]
	s_clause 0x2
	global_store_b128 v[29:30], v[5:8], off
	global_store_b128 v[29:30], v[9:12], off offset:16
	global_store_b128 v[29:30], v[13:16], off offset:32
	s_endpgm
	.section	.rodata,"a",@progbits
	.p2align	6, 0x0
	.amdhsa_kernel _ZN9rocsparseL18bsrxmvn_3x3_kernelILj256ELj4E21rocsparse_complex_numIdEllS2_S2_S2_EEvT3_20rocsparse_direction_NS_24const_host_device_scalarIT1_EES3_PKS3_PKT2_SC_S9_PKT4_PKT5_S7_PT6_21rocsparse_index_base_b
		.amdhsa_group_segment_fixed_size 0
		.amdhsa_private_segment_fixed_size 0
		.amdhsa_kernarg_size 120
		.amdhsa_user_sgpr_count 2
		.amdhsa_user_sgpr_dispatch_ptr 0
		.amdhsa_user_sgpr_queue_ptr 0
		.amdhsa_user_sgpr_kernarg_segment_ptr 1
		.amdhsa_user_sgpr_dispatch_id 0
		.amdhsa_user_sgpr_private_segment_size 0
		.amdhsa_wavefront_size32 1
		.amdhsa_uses_dynamic_stack 0
		.amdhsa_enable_private_segment 0
		.amdhsa_system_sgpr_workgroup_id_x 1
		.amdhsa_system_sgpr_workgroup_id_y 0
		.amdhsa_system_sgpr_workgroup_id_z 0
		.amdhsa_system_sgpr_workgroup_info 0
		.amdhsa_system_vgpr_workitem_id 0
		.amdhsa_next_free_vgpr 85
		.amdhsa_next_free_sgpr 12
		.amdhsa_reserve_vcc 1
		.amdhsa_float_round_mode_32 0
		.amdhsa_float_round_mode_16_64 0
		.amdhsa_float_denorm_mode_32 3
		.amdhsa_float_denorm_mode_16_64 3
		.amdhsa_fp16_overflow 0
		.amdhsa_workgroup_processor_mode 1
		.amdhsa_memory_ordered 1
		.amdhsa_forward_progress 1
		.amdhsa_inst_pref_size 24
		.amdhsa_round_robin_scheduling 0
		.amdhsa_exception_fp_ieee_invalid_op 0
		.amdhsa_exception_fp_denorm_src 0
		.amdhsa_exception_fp_ieee_div_zero 0
		.amdhsa_exception_fp_ieee_overflow 0
		.amdhsa_exception_fp_ieee_underflow 0
		.amdhsa_exception_fp_ieee_inexact 0
		.amdhsa_exception_int_div_zero 0
	.end_amdhsa_kernel
	.section	.text._ZN9rocsparseL18bsrxmvn_3x3_kernelILj256ELj4E21rocsparse_complex_numIdEllS2_S2_S2_EEvT3_20rocsparse_direction_NS_24const_host_device_scalarIT1_EES3_PKS3_PKT2_SC_S9_PKT4_PKT5_S7_PT6_21rocsparse_index_base_b,"axG",@progbits,_ZN9rocsparseL18bsrxmvn_3x3_kernelILj256ELj4E21rocsparse_complex_numIdEllS2_S2_S2_EEvT3_20rocsparse_direction_NS_24const_host_device_scalarIT1_EES3_PKS3_PKT2_SC_S9_PKT4_PKT5_S7_PT6_21rocsparse_index_base_b,comdat
.Lfunc_end55:
	.size	_ZN9rocsparseL18bsrxmvn_3x3_kernelILj256ELj4E21rocsparse_complex_numIdEllS2_S2_S2_EEvT3_20rocsparse_direction_NS_24const_host_device_scalarIT1_EES3_PKS3_PKT2_SC_S9_PKT4_PKT5_S7_PT6_21rocsparse_index_base_b, .Lfunc_end55-_ZN9rocsparseL18bsrxmvn_3x3_kernelILj256ELj4E21rocsparse_complex_numIdEllS2_S2_S2_EEvT3_20rocsparse_direction_NS_24const_host_device_scalarIT1_EES3_PKS3_PKT2_SC_S9_PKT4_PKT5_S7_PT6_21rocsparse_index_base_b
                                        ; -- End function
	.set _ZN9rocsparseL18bsrxmvn_3x3_kernelILj256ELj4E21rocsparse_complex_numIdEllS2_S2_S2_EEvT3_20rocsparse_direction_NS_24const_host_device_scalarIT1_EES3_PKS3_PKT2_SC_S9_PKT4_PKT5_S7_PT6_21rocsparse_index_base_b.num_vgpr, 85
	.set _ZN9rocsparseL18bsrxmvn_3x3_kernelILj256ELj4E21rocsparse_complex_numIdEllS2_S2_S2_EEvT3_20rocsparse_direction_NS_24const_host_device_scalarIT1_EES3_PKS3_PKT2_SC_S9_PKT4_PKT5_S7_PT6_21rocsparse_index_base_b.num_agpr, 0
	.set _ZN9rocsparseL18bsrxmvn_3x3_kernelILj256ELj4E21rocsparse_complex_numIdEllS2_S2_S2_EEvT3_20rocsparse_direction_NS_24const_host_device_scalarIT1_EES3_PKS3_PKT2_SC_S9_PKT4_PKT5_S7_PT6_21rocsparse_index_base_b.numbered_sgpr, 12
	.set _ZN9rocsparseL18bsrxmvn_3x3_kernelILj256ELj4E21rocsparse_complex_numIdEllS2_S2_S2_EEvT3_20rocsparse_direction_NS_24const_host_device_scalarIT1_EES3_PKS3_PKT2_SC_S9_PKT4_PKT5_S7_PT6_21rocsparse_index_base_b.num_named_barrier, 0
	.set _ZN9rocsparseL18bsrxmvn_3x3_kernelILj256ELj4E21rocsparse_complex_numIdEllS2_S2_S2_EEvT3_20rocsparse_direction_NS_24const_host_device_scalarIT1_EES3_PKS3_PKT2_SC_S9_PKT4_PKT5_S7_PT6_21rocsparse_index_base_b.private_seg_size, 0
	.set _ZN9rocsparseL18bsrxmvn_3x3_kernelILj256ELj4E21rocsparse_complex_numIdEllS2_S2_S2_EEvT3_20rocsparse_direction_NS_24const_host_device_scalarIT1_EES3_PKS3_PKT2_SC_S9_PKT4_PKT5_S7_PT6_21rocsparse_index_base_b.uses_vcc, 1
	.set _ZN9rocsparseL18bsrxmvn_3x3_kernelILj256ELj4E21rocsparse_complex_numIdEllS2_S2_S2_EEvT3_20rocsparse_direction_NS_24const_host_device_scalarIT1_EES3_PKS3_PKT2_SC_S9_PKT4_PKT5_S7_PT6_21rocsparse_index_base_b.uses_flat_scratch, 0
	.set _ZN9rocsparseL18bsrxmvn_3x3_kernelILj256ELj4E21rocsparse_complex_numIdEllS2_S2_S2_EEvT3_20rocsparse_direction_NS_24const_host_device_scalarIT1_EES3_PKS3_PKT2_SC_S9_PKT4_PKT5_S7_PT6_21rocsparse_index_base_b.has_dyn_sized_stack, 0
	.set _ZN9rocsparseL18bsrxmvn_3x3_kernelILj256ELj4E21rocsparse_complex_numIdEllS2_S2_S2_EEvT3_20rocsparse_direction_NS_24const_host_device_scalarIT1_EES3_PKS3_PKT2_SC_S9_PKT4_PKT5_S7_PT6_21rocsparse_index_base_b.has_recursion, 0
	.set _ZN9rocsparseL18bsrxmvn_3x3_kernelILj256ELj4E21rocsparse_complex_numIdEllS2_S2_S2_EEvT3_20rocsparse_direction_NS_24const_host_device_scalarIT1_EES3_PKS3_PKT2_SC_S9_PKT4_PKT5_S7_PT6_21rocsparse_index_base_b.has_indirect_call, 0
	.section	.AMDGPU.csdata,"",@progbits
; Kernel info:
; codeLenInByte = 3068
; TotalNumSgprs: 14
; NumVgprs: 85
; ScratchSize: 0
; MemoryBound: 1
; FloatMode: 240
; IeeeMode: 1
; LDSByteSize: 0 bytes/workgroup (compile time only)
; SGPRBlocks: 0
; VGPRBlocks: 10
; NumSGPRsForWavesPerEU: 14
; NumVGPRsForWavesPerEU: 85
; Occupancy: 16
; WaveLimiterHint : 1
; COMPUTE_PGM_RSRC2:SCRATCH_EN: 0
; COMPUTE_PGM_RSRC2:USER_SGPR: 2
; COMPUTE_PGM_RSRC2:TRAP_HANDLER: 0
; COMPUTE_PGM_RSRC2:TGID_X_EN: 1
; COMPUTE_PGM_RSRC2:TGID_Y_EN: 0
; COMPUTE_PGM_RSRC2:TGID_Z_EN: 0
; COMPUTE_PGM_RSRC2:TIDIG_COMP_CNT: 0
	.section	.text._ZN9rocsparseL18bsrxmvn_3x3_kernelILj256ELj8E21rocsparse_complex_numIdEllS2_S2_S2_EEvT3_20rocsparse_direction_NS_24const_host_device_scalarIT1_EES3_PKS3_PKT2_SC_S9_PKT4_PKT5_S7_PT6_21rocsparse_index_base_b,"axG",@progbits,_ZN9rocsparseL18bsrxmvn_3x3_kernelILj256ELj8E21rocsparse_complex_numIdEllS2_S2_S2_EEvT3_20rocsparse_direction_NS_24const_host_device_scalarIT1_EES3_PKS3_PKT2_SC_S9_PKT4_PKT5_S7_PT6_21rocsparse_index_base_b,comdat
	.globl	_ZN9rocsparseL18bsrxmvn_3x3_kernelILj256ELj8E21rocsparse_complex_numIdEllS2_S2_S2_EEvT3_20rocsparse_direction_NS_24const_host_device_scalarIT1_EES3_PKS3_PKT2_SC_S9_PKT4_PKT5_S7_PT6_21rocsparse_index_base_b ; -- Begin function _ZN9rocsparseL18bsrxmvn_3x3_kernelILj256ELj8E21rocsparse_complex_numIdEllS2_S2_S2_EEvT3_20rocsparse_direction_NS_24const_host_device_scalarIT1_EES3_PKS3_PKT2_SC_S9_PKT4_PKT5_S7_PT6_21rocsparse_index_base_b
	.p2align	8
	.type	_ZN9rocsparseL18bsrxmvn_3x3_kernelILj256ELj8E21rocsparse_complex_numIdEllS2_S2_S2_EEvT3_20rocsparse_direction_NS_24const_host_device_scalarIT1_EES3_PKS3_PKT2_SC_S9_PKT4_PKT5_S7_PT6_21rocsparse_index_base_b,@function
_ZN9rocsparseL18bsrxmvn_3x3_kernelILj256ELj8E21rocsparse_complex_numIdEllS2_S2_S2_EEvT3_20rocsparse_direction_NS_24const_host_device_scalarIT1_EES3_PKS3_PKT2_SC_S9_PKT4_PKT5_S7_PT6_21rocsparse_index_base_b: ; @_ZN9rocsparseL18bsrxmvn_3x3_kernelILj256ELj8E21rocsparse_complex_numIdEllS2_S2_S2_EEvT3_20rocsparse_direction_NS_24const_host_device_scalarIT1_EES3_PKS3_PKT2_SC_S9_PKT4_PKT5_S7_PT6_21rocsparse_index_base_b
; %bb.0:
	s_clause 0x1
	s_load_b64 s[4:5], s[0:1], 0x70
	s_load_b64 s[2:3], s[0:1], 0x10
	s_add_nc_u64 s[6:7], s[0:1], 16
	s_load_b64 s[8:9], s[0:1], 0x58
	s_wait_kmcnt 0x0
	s_bitcmp1_b32 s5, 0
	s_cselect_b32 s2, s6, s2
	s_cselect_b32 s3, s7, s3
	s_delay_alu instid0(SALU_CYCLE_1)
	v_dual_mov_b32 v1, s2 :: v_dual_mov_b32 v2, s3
	s_add_nc_u64 s[2:3], s[0:1], 0x58
	s_wait_alu 0xfffe
	s_cselect_b32 s2, s2, s8
	s_cselect_b32 s3, s3, s9
	flat_load_b128 v[5:8], v[1:2]
	s_wait_alu 0xfffe
	v_dual_mov_b32 v1, s2 :: v_dual_mov_b32 v2, s3
	flat_load_b128 v[1:4], v[1:2]
	s_wait_loadcnt_dscnt 0x101
	v_cmp_eq_f64_e32 vcc_lo, 0, v[5:6]
	v_cmp_eq_f64_e64 s2, 0, v[7:8]
	s_and_b32 s5, vcc_lo, s2
	s_mov_b32 s2, -1
	s_and_saveexec_b32 s3, s5
	s_cbranch_execz .LBB56_2
; %bb.1:
	s_wait_loadcnt_dscnt 0x0
	v_cmp_neq_f64_e32 vcc_lo, 1.0, v[1:2]
	v_cmp_neq_f64_e64 s2, 0, v[3:4]
	s_wait_alu 0xfffe
	s_or_b32 s2, vcc_lo, s2
	s_wait_alu 0xfffe
	s_or_not1_b32 s2, s2, exec_lo
.LBB56_2:
	s_wait_alu 0xfffe
	s_or_b32 exec_lo, exec_lo, s3
	s_and_saveexec_b32 s3, s2
	s_cbranch_execz .LBB56_8
; %bb.3:
	s_load_b64 s[2:3], s[0:1], 0x28
	v_lshrrev_b32_e32 v9, 3, v0
	v_mov_b32_e32 v12, 0
	s_delay_alu instid0(VALU_DEP_2)
	v_lshl_or_b32 v11, ttmp9, 5, v9
	s_wait_kmcnt 0x0
	s_cmp_lg_u64 s[2:3], 0
	s_cbranch_scc0 .LBB56_9
; %bb.4:
	s_load_b64 s[6:7], s[0:1], 0x20
                                        ; implicit-def: $vgpr17_vgpr18
                                        ; implicit-def: $vgpr9_vgpr10
	s_wait_kmcnt 0x0
	v_cmp_gt_i64_e32 vcc_lo, s[6:7], v[11:12]
	s_mov_b32 s7, 0
	s_mov_b32 s6, 0
	s_and_saveexec_b32 s5, vcc_lo
	s_delay_alu instid0(SALU_CYCLE_1)
	s_xor_b32 s8, exec_lo, s5
	s_cbranch_execz .LBB56_6
; %bb.5:
	v_lshlrev_b64_e32 v[9:10], 3, v[11:12]
	s_mov_b32 s5, 0
	s_mov_b32 s6, exec_lo
	s_delay_alu instid0(VALU_DEP_1) | instskip(NEXT) | instid1(VALU_DEP_1)
	v_add_co_u32 v9, vcc_lo, s2, v9
	v_add_co_ci_u32_e64 v10, null, s3, v10, vcc_lo
	global_load_b64 v[9:10], v[9:10], off
	s_wait_loadcnt 0x0
	v_sub_co_u32 v17, vcc_lo, v9, s4
	s_wait_alu 0xfffd
	v_subrev_co_ci_u32_e64 v18, null, 0, v10, vcc_lo
	v_dual_mov_b32 v10, s5 :: v_dual_mov_b32 v9, s4
.LBB56_6:
	s_or_b32 exec_lo, exec_lo, s8
	s_wait_alu 0xfffe
	s_and_b32 vcc_lo, exec_lo, s7
	s_wait_alu 0xfffe
	s_cbranch_vccnz .LBB56_10
.LBB56_7:
	s_and_b32 exec_lo, exec_lo, s6
	s_cbranch_execnz .LBB56_13
.LBB56_8:
	s_endpgm
.LBB56_9:
	s_mov_b32 s6, 0
                                        ; implicit-def: $vgpr17_vgpr18
                                        ; implicit-def: $vgpr9_vgpr10
	s_cbranch_execz .LBB56_7
.LBB56_10:
	s_load_b64 s[2:3], s[0:1], 0x0
	s_wait_kmcnt 0x0
	v_cmp_gt_i64_e32 vcc_lo, s[2:3], v[11:12]
	s_and_saveexec_b32 s2, vcc_lo
; %bb.11:
	s_mov_b32 s5, 0
	s_or_b32 s6, s6, exec_lo
; %bb.12:
	s_wait_alu 0xfffe
	s_or_b32 exec_lo, exec_lo, s2
	v_dual_mov_b32 v10, s5 :: v_dual_mov_b32 v9, s4
	v_dual_mov_b32 v18, v12 :: v_dual_mov_b32 v17, v11
	s_and_b32 exec_lo, exec_lo, s6
	s_cbranch_execz .LBB56_8
.LBB56_13:
	s_load_b256 s[4:11], s[0:1], 0x30
	s_delay_alu instid0(VALU_DEP_1) | instskip(SKIP_2) | instid1(VALU_DEP_2)
	v_lshlrev_b64_e32 v[11:12], 3, v[17:18]
	v_and_b32_e32 v0, 7, v0
	s_wait_kmcnt 0x0
	v_add_co_u32 v13, vcc_lo, s4, v11
	s_wait_alu 0xfffd
	s_delay_alu instid0(VALU_DEP_3)
	v_add_co_ci_u32_e64 v14, null, s5, v12, vcc_lo
	v_add_co_u32 v11, vcc_lo, s6, v11
	s_wait_alu 0xfffd
	v_add_co_ci_u32_e64 v12, null, s7, v12, vcc_lo
	global_load_b64 v[15:16], v[13:14], off
	v_add_co_u32 v13, vcc_lo, v13, 8
	s_wait_alu 0xfffd
	v_add_co_ci_u32_e64 v14, null, 0, v14, vcc_lo
	s_cmp_eq_u64 s[6:7], 0
	s_cselect_b32 vcc_lo, -1, 0
	s_wait_alu 0xfffe
	v_dual_cndmask_b32 v12, v12, v14 :: v_dual_cndmask_b32 v11, v11, v13
	global_load_b64 v[11:12], v[11:12], off
	s_clause 0x1
	s_load_b32 s3, s[0:1], 0x8
	s_load_b64 s[4:5], s[0:1], 0x50
	s_wait_kmcnt 0x0
	s_cmp_eq_u32 s3, 1
	s_wait_loadcnt 0x1
	v_sub_co_u32 v13, vcc_lo, v15, v9
	s_wait_alu 0xfffd
	v_sub_co_ci_u32_e64 v14, null, v16, v10, vcc_lo
	s_delay_alu instid0(VALU_DEP_2) | instskip(SKIP_1) | instid1(VALU_DEP_2)
	v_add_co_u32 v13, vcc_lo, v13, v0
	s_wait_alu 0xfffd
	v_add_co_ci_u32_e64 v14, null, 0, v14, vcc_lo
	s_delay_alu instid0(VALU_DEP_2) | instskip(SKIP_4) | instid1(VALU_DEP_3)
	v_mad_co_u64_u32 v[15:16], null, 0x90, v13, s[10:11]
	s_wait_loadcnt 0x0
	v_sub_co_u32 v19, vcc_lo, v11, v9
	s_wait_alu 0xfffd
	v_sub_co_ci_u32_e64 v20, null, v12, v10, vcc_lo
	v_mad_co_u64_u32 v[21:22], null, 0x90, v14, v[16:17]
	s_delay_alu instid0(VALU_DEP_2) | instskip(NEXT) | instid1(VALU_DEP_2)
	v_cmp_lt_i64_e64 s2, v[13:14], v[19:20]
	v_mov_b32_e32 v16, v21
	s_cbranch_scc1 .LBB56_19
; %bb.14:
	v_mov_b32_e32 v11, 0
	v_mov_b32_e32 v23, 0
	v_dual_mov_b32 v27, 0 :: v_dual_mov_b32 v12, 0
	v_dual_mov_b32 v21, 0 :: v_dual_mov_b32 v24, 0
	;; [unrolled: 1-line block ×4, first 2 shown]
	v_mov_b32_e32 v26, 0
	v_mov_b32_e32 v30, 0
	s_and_saveexec_b32 s6, s2
	s_cbranch_execz .LBB56_18
; %bb.15:
	v_lshlrev_b64_e32 v[21:22], 3, v[13:14]
	v_mov_b32_e32 v25, 0
	v_dual_mov_b32 v11, 0 :: v_dual_mov_b32 v32, v14
	v_dual_mov_b32 v26, 0 :: v_dual_mov_b32 v27, 0
	s_delay_alu instid0(VALU_DEP_4)
	v_add_co_u32 v33, vcc_lo, s8, v21
	s_wait_alu 0xfffd
	v_add_co_ci_u32_e64 v34, null, s9, v22, vcc_lo
	v_mov_b32_e32 v21, 0
	v_dual_mov_b32 v22, 0 :: v_dual_mov_b32 v23, 0
	v_dual_mov_b32 v29, 0 :: v_dual_mov_b32 v36, v16
	;; [unrolled: 1-line block ×3, first 2 shown]
	v_mov_b32_e32 v24, 0
	v_mov_b32_e32 v28, 0
	v_dual_mov_b32 v30, 0 :: v_dual_mov_b32 v35, v15
	s_mov_b32 s7, 0
.LBB56_16:                              ; =>This Inner Loop Header: Depth=1
	global_load_b64 v[41:42], v[33:34], off
	global_load_b128 v[37:40], v[35:36], off offset:48
	v_add_co_u32 v33, s3, v33, 64
	s_wait_alu 0xf1ff
	v_add_co_ci_u32_e64 v34, null, 0, v34, s3
	s_wait_loadcnt 0x1
	v_sub_co_u32 v41, vcc_lo, v41, v9
	s_wait_alu 0xfffd
	v_sub_co_ci_u32_e64 v50, null, v42, v10, vcc_lo
	v_add_co_u32 v31, vcc_lo, v31, 8
	s_delay_alu instid0(VALU_DEP_3)
	v_mad_co_u64_u32 v[81:82], null, v41, 48, s[4:5]
	s_clause 0x1
	global_load_b128 v[41:44], v[35:36], off offset:16
	global_load_b128 v[45:48], v[35:36], off
	s_wait_alu 0xfffd
	v_add_co_ci_u32_e64 v32, null, 0, v32, vcc_lo
	v_mov_b32_e32 v49, v82
	s_delay_alu instid0(VALU_DEP_1)
	v_mad_co_u64_u32 v[57:58], null, v50, 48, v[49:50]
	s_clause 0x1
	global_load_b128 v[49:52], v[35:36], off offset:112
	global_load_b128 v[53:56], v[35:36], off offset:96
	v_mov_b32_e32 v82, v57
	s_clause 0x1
	global_load_b128 v[57:60], v[81:82], off
	global_load_b128 v[61:64], v[81:82], off offset:16
	s_clause 0x3
	global_load_b128 v[65:68], v[35:36], off offset:64
	global_load_b128 v[69:72], v[35:36], off offset:80
	;; [unrolled: 1-line block ×5, first 2 shown]
	v_add_co_u32 v35, vcc_lo, 0x480, v35
	s_wait_alu 0xfffd
	v_add_co_ci_u32_e64 v36, null, 0, v36, vcc_lo
	v_cmp_ge_i64_e32 vcc_lo, v[31:32], v[19:20]
	s_wait_alu 0xfffe
	s_or_b32 s7, vcc_lo, s7
	s_wait_loadcnt 0x6
	v_fma_f64 v[21:22], v[45:46], v[57:58], v[21:22]
	v_fma_f64 v[11:12], v[47:48], v[57:58], v[11:12]
	;; [unrolled: 1-line block ×6, first 2 shown]
	v_fma_f64 v[21:22], -v[47:48], v[59:60], v[21:22]
	v_fma_f64 v[11:12], v[45:46], v[59:60], v[11:12]
	v_fma_f64 v[27:28], -v[39:40], v[59:60], v[27:28]
	v_fma_f64 v[29:30], v[37:38], v[59:60], v[29:30]
	;; [unrolled: 2-line block ×3, first 2 shown]
	s_wait_loadcnt 0x5
	v_fma_f64 v[21:22], v[41:42], v[61:62], v[21:22]
	v_fma_f64 v[11:12], v[43:44], v[61:62], v[11:12]
	s_wait_loadcnt 0x4
	v_fma_f64 v[27:28], v[65:66], v[61:62], v[27:28]
	v_fma_f64 v[29:30], v[67:68], v[61:62], v[29:30]
	;; [unrolled: 1-line block ×4, first 2 shown]
	v_fma_f64 v[21:22], -v[43:44], v[63:64], v[21:22]
	v_fma_f64 v[11:12], v[41:42], v[63:64], v[11:12]
	v_fma_f64 v[27:28], -v[67:68], v[63:64], v[27:28]
	v_fma_f64 v[29:30], v[65:66], v[63:64], v[29:30]
	;; [unrolled: 2-line block ×3, first 2 shown]
	s_wait_loadcnt 0x0
	v_fma_f64 v[21:22], v[73:74], v[81:82], v[21:22]
	v_fma_f64 v[11:12], v[75:76], v[81:82], v[11:12]
	;; [unrolled: 1-line block ×6, first 2 shown]
	v_fma_f64 v[21:22], -v[75:76], v[83:84], v[21:22]
	v_fma_f64 v[11:12], v[73:74], v[83:84], v[11:12]
	v_fma_f64 v[27:28], -v[71:72], v[83:84], v[27:28]
	v_fma_f64 v[29:30], v[69:70], v[83:84], v[29:30]
	;; [unrolled: 2-line block ×3, first 2 shown]
	s_wait_alu 0xfffe
	s_and_not1_b32 exec_lo, exec_lo, s7
	s_cbranch_execnz .LBB56_16
; %bb.17:
	s_or_b32 exec_lo, exec_lo, s7
.LBB56_18:
	s_wait_alu 0xfffe
	s_or_b32 exec_lo, exec_lo, s6
	s_cbranch_execz .LBB56_20
	s_branch .LBB56_25
.LBB56_19:
                                        ; implicit-def: $vgpr11_vgpr12
                                        ; implicit-def: $vgpr21_vgpr22
                                        ; implicit-def: $vgpr23_vgpr24
                                        ; implicit-def: $vgpr25_vgpr26
                                        ; implicit-def: $vgpr27_vgpr28
                                        ; implicit-def: $vgpr29_vgpr30
.LBB56_20:
	v_mov_b32_e32 v11, 0
	v_mov_b32_e32 v23, 0
	v_dual_mov_b32 v27, 0 :: v_dual_mov_b32 v12, 0
	v_dual_mov_b32 v21, 0 :: v_dual_mov_b32 v24, 0
	;; [unrolled: 1-line block ×4, first 2 shown]
	v_mov_b32_e32 v26, 0
	v_mov_b32_e32 v30, 0
	s_and_saveexec_b32 s3, s2
	s_cbranch_execz .LBB56_24
; %bb.21:
	v_lshlrev_b64_e32 v[31:32], 3, v[13:14]
	v_mov_b32_e32 v11, 0
	v_mov_b32_e32 v23, 0
	v_dual_mov_b32 v27, 0 :: v_dual_mov_b32 v12, 0
	v_mov_b32_e32 v21, 0
	v_add_co_u32 v31, vcc_lo, s8, v31
	v_dual_mov_b32 v24, 0 :: v_dual_mov_b32 v25, 0
	v_dual_mov_b32 v28, 0 :: v_dual_mov_b32 v29, 0
	v_mov_b32_e32 v22, 0
	v_mov_b32_e32 v26, 0
	;; [unrolled: 1-line block ×3, first 2 shown]
	s_wait_alu 0xfffd
	v_add_co_ci_u32_e64 v32, null, s9, v32, vcc_lo
	s_mov_b32 s6, 0
.LBB56_22:                              ; =>This Inner Loop Header: Depth=1
	global_load_b64 v[33:34], v[31:32], off
	v_add_co_u32 v31, s2, v31, 64
	s_wait_alu 0xf1ff
	v_add_co_ci_u32_e64 v32, null, 0, v32, s2
	s_wait_loadcnt 0x0
	v_sub_co_u32 v33, vcc_lo, v33, v9
	s_wait_alu 0xfffd
	v_sub_co_ci_u32_e64 v42, null, v34, v10, vcc_lo
	v_add_co_u32 v13, vcc_lo, v13, 8
	s_delay_alu instid0(VALU_DEP_3)
	v_mad_co_u64_u32 v[77:78], null, v33, 48, s[4:5]
	s_clause 0x1
	global_load_b128 v[33:36], v[15:16], off offset:48
	global_load_b128 v[37:40], v[15:16], off offset:32
	s_wait_alu 0xfffd
	v_add_co_ci_u32_e64 v14, null, 0, v14, vcc_lo
	v_mov_b32_e32 v41, v78
	s_delay_alu instid0(VALU_DEP_1)
	v_mad_co_u64_u32 v[49:50], null, v42, 48, v[41:42]
	s_clause 0x1
	global_load_b128 v[41:44], v[15:16], off offset:16
	global_load_b128 v[45:48], v[15:16], off
	v_mov_b32_e32 v78, v49
	s_clause 0x1
	global_load_b128 v[49:52], v[77:78], off
	global_load_b128 v[53:56], v[77:78], off offset:16
	s_clause 0x4
	global_load_b128 v[57:60], v[15:16], off offset:64
	global_load_b128 v[61:64], v[15:16], off offset:80
	;; [unrolled: 1-line block ×6, first 2 shown]
	v_add_co_u32 v15, vcc_lo, 0x480, v15
	s_wait_alu 0xfffd
	v_add_co_ci_u32_e64 v16, null, 0, v16, vcc_lo
	v_cmp_ge_i64_e32 vcc_lo, v[13:14], v[19:20]
	s_wait_alu 0xfffe
	s_or_b32 s6, vcc_lo, s6
	s_wait_loadcnt 0x7
	v_fma_f64 v[21:22], v[45:46], v[49:50], v[21:22]
	v_fma_f64 v[11:12], v[47:48], v[49:50], v[11:12]
	;; [unrolled: 1-line block ×6, first 2 shown]
	v_fma_f64 v[21:22], -v[47:48], v[51:52], v[21:22]
	v_fma_f64 v[11:12], v[45:46], v[51:52], v[11:12]
	v_fma_f64 v[27:28], -v[43:44], v[51:52], v[27:28]
	v_fma_f64 v[29:30], v[41:42], v[51:52], v[29:30]
	;; [unrolled: 2-line block ×3, first 2 shown]
	s_wait_loadcnt 0x6
	v_fma_f64 v[21:22], v[33:34], v[53:54], v[21:22]
	v_fma_f64 v[11:12], v[35:36], v[53:54], v[11:12]
	s_wait_loadcnt 0x5
	v_fma_f64 v[27:28], v[57:58], v[53:54], v[27:28]
	v_fma_f64 v[29:30], v[59:60], v[53:54], v[29:30]
	;; [unrolled: 3-line block ×3, first 2 shown]
	v_fma_f64 v[21:22], -v[35:36], v[55:56], v[21:22]
	v_fma_f64 v[11:12], v[33:34], v[55:56], v[11:12]
	v_fma_f64 v[27:28], -v[59:60], v[55:56], v[27:28]
	v_fma_f64 v[29:30], v[57:58], v[55:56], v[29:30]
	;; [unrolled: 2-line block ×3, first 2 shown]
	s_wait_loadcnt 0x0
	v_fma_f64 v[21:22], v[69:70], v[77:78], v[21:22]
	v_fma_f64 v[11:12], v[71:72], v[77:78], v[11:12]
	;; [unrolled: 1-line block ×6, first 2 shown]
	v_fma_f64 v[21:22], -v[71:72], v[79:80], v[21:22]
	v_fma_f64 v[11:12], v[69:70], v[79:80], v[11:12]
	v_fma_f64 v[27:28], -v[67:68], v[79:80], v[27:28]
	v_fma_f64 v[29:30], v[65:66], v[79:80], v[29:30]
	;; [unrolled: 2-line block ×3, first 2 shown]
	s_wait_alu 0xfffe
	s_and_not1_b32 exec_lo, exec_lo, s6
	s_cbranch_execnz .LBB56_22
; %bb.23:
	s_or_b32 exec_lo, exec_lo, s6
.LBB56_24:
	s_wait_alu 0xfffe
	s_or_b32 exec_lo, exec_lo, s3
.LBB56_25:
	v_mbcnt_lo_u32_b32 v35, -1, 0
	s_delay_alu instid0(VALU_DEP_1) | instskip(NEXT) | instid1(VALU_DEP_1)
	v_xor_b32_e32 v9, 4, v35
	v_cmp_gt_i32_e32 vcc_lo, 32, v9
	s_wait_alu 0xfffd
	v_cndmask_b32_e32 v9, v35, v9, vcc_lo
	s_delay_alu instid0(VALU_DEP_1)
	v_lshlrev_b32_e32 v34, 2, v9
	ds_bpermute_b32 v13, v34, v11
	ds_bpermute_b32 v14, v34, v12
	;; [unrolled: 1-line block ×6, first 2 shown]
	s_wait_dscnt 0x4
	v_add_f64_e32 v[11:12], v[11:12], v[13:14]
	s_wait_dscnt 0x2
	v_add_f64_e32 v[13:14], v[27:28], v[15:16]
	;; [unrolled: 2-line block ×3, first 2 shown]
	v_xor_b32_e32 v19, 2, v35
	s_delay_alu instid0(VALU_DEP_1)
	v_cmp_gt_i32_e32 vcc_lo, 32, v19
	s_wait_alu 0xfffd
	v_cndmask_b32_e32 v19, v35, v19, vcc_lo
	ds_bpermute_b32 v9, v34, v21
	ds_bpermute_b32 v10, v34, v22
	ds_bpermute_b32 v31, v34, v23
	ds_bpermute_b32 v32, v34, v24
	ds_bpermute_b32 v33, v34, v25
	ds_bpermute_b32 v34, v34, v26
	s_wait_dscnt 0x4
	v_add_f64_e32 v[9:10], v[21:22], v[9:10]
	s_wait_dscnt 0x2
	v_add_f64_e32 v[21:22], v[23:24], v[31:32]
	;; [unrolled: 2-line block ×3, first 2 shown]
	v_lshlrev_b32_e32 v34, 2, v19
	ds_bpermute_b32 v23, v34, v11
	ds_bpermute_b32 v24, v34, v12
	;; [unrolled: 1-line block ×6, first 2 shown]
	s_wait_dscnt 0x4
	v_add_f64_e32 v[23:24], v[11:12], v[23:24]
	s_wait_dscnt 0x2
	v_add_f64_e32 v[11:12], v[13:14], v[27:28]
	ds_bpermute_b32 v19, v34, v9
	ds_bpermute_b32 v20, v34, v10
	;; [unrolled: 1-line block ×6, first 2 shown]
	s_wait_dscnt 0x4
	v_add_f64_e32 v[9:10], v[9:10], v[19:20]
	v_add_f64_e32 v[19:20], v[15:16], v[29:30]
	s_wait_dscnt 0x2
	v_add_f64_e32 v[13:14], v[21:22], v[31:32]
	v_xor_b32_e32 v21, 1, v35
	s_wait_dscnt 0x0
	v_add_f64_e32 v[15:16], v[25:26], v[33:34]
	s_delay_alu instid0(VALU_DEP_2) | instskip(SKIP_3) | instid1(VALU_DEP_2)
	v_cmp_gt_i32_e32 vcc_lo, 32, v21
	s_wait_alu 0xfffd
	v_cndmask_b32_e32 v21, v35, v21, vcc_lo
	v_cmp_eq_u32_e32 vcc_lo, 7, v0
	v_lshlrev_b32_e32 v30, 2, v21
	ds_bpermute_b32 v33, v30, v23
	ds_bpermute_b32 v34, v30, v24
	;; [unrolled: 1-line block ×12, first 2 shown]
	s_and_b32 exec_lo, exec_lo, vcc_lo
	s_cbranch_execz .LBB56_8
; %bb.26:
	s_wait_dscnt 0xa
	v_add_f64_e32 v[23:24], v[23:24], v[33:34]
	s_wait_dscnt 0x4
	v_add_f64_e32 v[19:20], v[19:20], v[31:32]
	s_wait_dscnt 0x0
	v_add_f64_e32 v[15:16], v[15:16], v[29:30]
	v_add_f64_e32 v[9:10], v[9:10], v[21:22]
	v_add_f64_e32 v[11:12], v[11:12], v[25:26]
	;; [unrolled: 1-line block ×3, first 2 shown]
	v_cmp_eq_f64_e32 vcc_lo, 0, v[1:2]
	v_cmp_eq_f64_e64 s2, 0, v[3:4]
	s_load_b64 s[0:1], s[0:1], 0x68
	v_mul_f64_e64 v[13:14], v[23:24], -v[7:8]
	v_mul_f64_e32 v[23:24], v[5:6], v[23:24]
	v_mul_f64_e64 v[25:26], v[19:20], -v[7:8]
	v_mul_f64_e32 v[19:20], v[5:6], v[19:20]
	;; [unrolled: 2-line block ×3, first 2 shown]
	s_and_b32 s2, vcc_lo, s2
	v_fma_f64 v[13:14], v[5:6], v[9:10], v[13:14]
	v_fma_f64 v[15:16], v[7:8], v[9:10], v[23:24]
	;; [unrolled: 1-line block ×6, first 2 shown]
	s_wait_alu 0xfffe
	s_and_saveexec_b32 s3, s2
	s_wait_alu 0xfffe
	s_xor_b32 s2, exec_lo, s3
	s_cbranch_execz .LBB56_28
; %bb.27:
	s_wait_kmcnt 0x0
	v_mad_co_u64_u32 v[0:1], null, v17, 48, s[0:1]
	s_delay_alu instid0(VALU_DEP_1)
	v_mad_co_u64_u32 v[1:2], null, v18, 48, v[1:2]
                                        ; implicit-def: $vgpr17_vgpr18
	s_clause 0x2
	global_store_b128 v[0:1], v[13:16], off
	global_store_b128 v[0:1], v[9:12], off offset:16
	global_store_b128 v[0:1], v[5:8], off offset:32
                                        ; implicit-def: $vgpr3_vgpr4
                                        ; implicit-def: $vgpr13_vgpr14
                                        ; implicit-def: $vgpr9_vgpr10
                                        ; implicit-def: $vgpr5_vgpr6
.LBB56_28:
	s_wait_alu 0xfffe
	s_and_not1_saveexec_b32 s2, s2
	s_cbranch_execz .LBB56_8
; %bb.29:
	s_wait_kmcnt 0x0
	v_mad_co_u64_u32 v[29:30], null, v17, 48, s[0:1]
	s_delay_alu instid0(VALU_DEP_1) | instskip(NEXT) | instid1(VALU_DEP_1)
	v_mov_b32_e32 v0, v30
	v_mad_co_u64_u32 v[17:18], null, v18, 48, v[0:1]
	s_delay_alu instid0(VALU_DEP_1)
	v_mov_b32_e32 v30, v17
	s_clause 0x2
	global_load_b128 v[17:20], v[29:30], off
	global_load_b128 v[21:24], v[29:30], off offset:16
	global_load_b128 v[25:28], v[29:30], off offset:32
	s_wait_loadcnt 0x2
	v_fma_f64 v[13:14], v[1:2], v[17:18], v[13:14]
	v_fma_f64 v[15:16], v[3:4], v[17:18], v[15:16]
	s_wait_loadcnt 0x1
	v_fma_f64 v[9:10], v[1:2], v[21:22], v[9:10]
	v_fma_f64 v[11:12], v[3:4], v[21:22], v[11:12]
	;; [unrolled: 3-line block ×3, first 2 shown]
	v_fma_f64 v[5:6], -v[3:4], v[19:20], v[13:14]
	v_fma_f64 v[7:8], v[1:2], v[19:20], v[15:16]
	v_fma_f64 v[9:10], -v[3:4], v[23:24], v[9:10]
	v_fma_f64 v[11:12], v[1:2], v[23:24], v[11:12]
	;; [unrolled: 2-line block ×3, first 2 shown]
	s_clause 0x2
	global_store_b128 v[29:30], v[5:8], off
	global_store_b128 v[29:30], v[9:12], off offset:16
	global_store_b128 v[29:30], v[13:16], off offset:32
	s_endpgm
	.section	.rodata,"a",@progbits
	.p2align	6, 0x0
	.amdhsa_kernel _ZN9rocsparseL18bsrxmvn_3x3_kernelILj256ELj8E21rocsparse_complex_numIdEllS2_S2_S2_EEvT3_20rocsparse_direction_NS_24const_host_device_scalarIT1_EES3_PKS3_PKT2_SC_S9_PKT4_PKT5_S7_PT6_21rocsparse_index_base_b
		.amdhsa_group_segment_fixed_size 0
		.amdhsa_private_segment_fixed_size 0
		.amdhsa_kernarg_size 120
		.amdhsa_user_sgpr_count 2
		.amdhsa_user_sgpr_dispatch_ptr 0
		.amdhsa_user_sgpr_queue_ptr 0
		.amdhsa_user_sgpr_kernarg_segment_ptr 1
		.amdhsa_user_sgpr_dispatch_id 0
		.amdhsa_user_sgpr_private_segment_size 0
		.amdhsa_wavefront_size32 1
		.amdhsa_uses_dynamic_stack 0
		.amdhsa_enable_private_segment 0
		.amdhsa_system_sgpr_workgroup_id_x 1
		.amdhsa_system_sgpr_workgroup_id_y 0
		.amdhsa_system_sgpr_workgroup_id_z 0
		.amdhsa_system_sgpr_workgroup_info 0
		.amdhsa_system_vgpr_workitem_id 0
		.amdhsa_next_free_vgpr 85
		.amdhsa_next_free_sgpr 12
		.amdhsa_reserve_vcc 1
		.amdhsa_float_round_mode_32 0
		.amdhsa_float_round_mode_16_64 0
		.amdhsa_float_denorm_mode_32 3
		.amdhsa_float_denorm_mode_16_64 3
		.amdhsa_fp16_overflow 0
		.amdhsa_workgroup_processor_mode 1
		.amdhsa_memory_ordered 1
		.amdhsa_forward_progress 1
		.amdhsa_inst_pref_size 26
		.amdhsa_round_robin_scheduling 0
		.amdhsa_exception_fp_ieee_invalid_op 0
		.amdhsa_exception_fp_denorm_src 0
		.amdhsa_exception_fp_ieee_div_zero 0
		.amdhsa_exception_fp_ieee_overflow 0
		.amdhsa_exception_fp_ieee_underflow 0
		.amdhsa_exception_fp_ieee_inexact 0
		.amdhsa_exception_int_div_zero 0
	.end_amdhsa_kernel
	.section	.text._ZN9rocsparseL18bsrxmvn_3x3_kernelILj256ELj8E21rocsparse_complex_numIdEllS2_S2_S2_EEvT3_20rocsparse_direction_NS_24const_host_device_scalarIT1_EES3_PKS3_PKT2_SC_S9_PKT4_PKT5_S7_PT6_21rocsparse_index_base_b,"axG",@progbits,_ZN9rocsparseL18bsrxmvn_3x3_kernelILj256ELj8E21rocsparse_complex_numIdEllS2_S2_S2_EEvT3_20rocsparse_direction_NS_24const_host_device_scalarIT1_EES3_PKS3_PKT2_SC_S9_PKT4_PKT5_S7_PT6_21rocsparse_index_base_b,comdat
.Lfunc_end56:
	.size	_ZN9rocsparseL18bsrxmvn_3x3_kernelILj256ELj8E21rocsparse_complex_numIdEllS2_S2_S2_EEvT3_20rocsparse_direction_NS_24const_host_device_scalarIT1_EES3_PKS3_PKT2_SC_S9_PKT4_PKT5_S7_PT6_21rocsparse_index_base_b, .Lfunc_end56-_ZN9rocsparseL18bsrxmvn_3x3_kernelILj256ELj8E21rocsparse_complex_numIdEllS2_S2_S2_EEvT3_20rocsparse_direction_NS_24const_host_device_scalarIT1_EES3_PKS3_PKT2_SC_S9_PKT4_PKT5_S7_PT6_21rocsparse_index_base_b
                                        ; -- End function
	.set _ZN9rocsparseL18bsrxmvn_3x3_kernelILj256ELj8E21rocsparse_complex_numIdEllS2_S2_S2_EEvT3_20rocsparse_direction_NS_24const_host_device_scalarIT1_EES3_PKS3_PKT2_SC_S9_PKT4_PKT5_S7_PT6_21rocsparse_index_base_b.num_vgpr, 85
	.set _ZN9rocsparseL18bsrxmvn_3x3_kernelILj256ELj8E21rocsparse_complex_numIdEllS2_S2_S2_EEvT3_20rocsparse_direction_NS_24const_host_device_scalarIT1_EES3_PKS3_PKT2_SC_S9_PKT4_PKT5_S7_PT6_21rocsparse_index_base_b.num_agpr, 0
	.set _ZN9rocsparseL18bsrxmvn_3x3_kernelILj256ELj8E21rocsparse_complex_numIdEllS2_S2_S2_EEvT3_20rocsparse_direction_NS_24const_host_device_scalarIT1_EES3_PKS3_PKT2_SC_S9_PKT4_PKT5_S7_PT6_21rocsparse_index_base_b.numbered_sgpr, 12
	.set _ZN9rocsparseL18bsrxmvn_3x3_kernelILj256ELj8E21rocsparse_complex_numIdEllS2_S2_S2_EEvT3_20rocsparse_direction_NS_24const_host_device_scalarIT1_EES3_PKS3_PKT2_SC_S9_PKT4_PKT5_S7_PT6_21rocsparse_index_base_b.num_named_barrier, 0
	.set _ZN9rocsparseL18bsrxmvn_3x3_kernelILj256ELj8E21rocsparse_complex_numIdEllS2_S2_S2_EEvT3_20rocsparse_direction_NS_24const_host_device_scalarIT1_EES3_PKS3_PKT2_SC_S9_PKT4_PKT5_S7_PT6_21rocsparse_index_base_b.private_seg_size, 0
	.set _ZN9rocsparseL18bsrxmvn_3x3_kernelILj256ELj8E21rocsparse_complex_numIdEllS2_S2_S2_EEvT3_20rocsparse_direction_NS_24const_host_device_scalarIT1_EES3_PKS3_PKT2_SC_S9_PKT4_PKT5_S7_PT6_21rocsparse_index_base_b.uses_vcc, 1
	.set _ZN9rocsparseL18bsrxmvn_3x3_kernelILj256ELj8E21rocsparse_complex_numIdEllS2_S2_S2_EEvT3_20rocsparse_direction_NS_24const_host_device_scalarIT1_EES3_PKS3_PKT2_SC_S9_PKT4_PKT5_S7_PT6_21rocsparse_index_base_b.uses_flat_scratch, 0
	.set _ZN9rocsparseL18bsrxmvn_3x3_kernelILj256ELj8E21rocsparse_complex_numIdEllS2_S2_S2_EEvT3_20rocsparse_direction_NS_24const_host_device_scalarIT1_EES3_PKS3_PKT2_SC_S9_PKT4_PKT5_S7_PT6_21rocsparse_index_base_b.has_dyn_sized_stack, 0
	.set _ZN9rocsparseL18bsrxmvn_3x3_kernelILj256ELj8E21rocsparse_complex_numIdEllS2_S2_S2_EEvT3_20rocsparse_direction_NS_24const_host_device_scalarIT1_EES3_PKS3_PKT2_SC_S9_PKT4_PKT5_S7_PT6_21rocsparse_index_base_b.has_recursion, 0
	.set _ZN9rocsparseL18bsrxmvn_3x3_kernelILj256ELj8E21rocsparse_complex_numIdEllS2_S2_S2_EEvT3_20rocsparse_direction_NS_24const_host_device_scalarIT1_EES3_PKS3_PKT2_SC_S9_PKT4_PKT5_S7_PT6_21rocsparse_index_base_b.has_indirect_call, 0
	.section	.AMDGPU.csdata,"",@progbits
; Kernel info:
; codeLenInByte = 3236
; TotalNumSgprs: 14
; NumVgprs: 85
; ScratchSize: 0
; MemoryBound: 1
; FloatMode: 240
; IeeeMode: 1
; LDSByteSize: 0 bytes/workgroup (compile time only)
; SGPRBlocks: 0
; VGPRBlocks: 10
; NumSGPRsForWavesPerEU: 14
; NumVGPRsForWavesPerEU: 85
; Occupancy: 16
; WaveLimiterHint : 1
; COMPUTE_PGM_RSRC2:SCRATCH_EN: 0
; COMPUTE_PGM_RSRC2:USER_SGPR: 2
; COMPUTE_PGM_RSRC2:TRAP_HANDLER: 0
; COMPUTE_PGM_RSRC2:TGID_X_EN: 1
; COMPUTE_PGM_RSRC2:TGID_Y_EN: 0
; COMPUTE_PGM_RSRC2:TGID_Z_EN: 0
; COMPUTE_PGM_RSRC2:TIDIG_COMP_CNT: 0
	.section	.text._ZN9rocsparseL18bsrxmvn_3x3_kernelILj256ELj16E21rocsparse_complex_numIdEllS2_S2_S2_EEvT3_20rocsparse_direction_NS_24const_host_device_scalarIT1_EES3_PKS3_PKT2_SC_S9_PKT4_PKT5_S7_PT6_21rocsparse_index_base_b,"axG",@progbits,_ZN9rocsparseL18bsrxmvn_3x3_kernelILj256ELj16E21rocsparse_complex_numIdEllS2_S2_S2_EEvT3_20rocsparse_direction_NS_24const_host_device_scalarIT1_EES3_PKS3_PKT2_SC_S9_PKT4_PKT5_S7_PT6_21rocsparse_index_base_b,comdat
	.globl	_ZN9rocsparseL18bsrxmvn_3x3_kernelILj256ELj16E21rocsparse_complex_numIdEllS2_S2_S2_EEvT3_20rocsparse_direction_NS_24const_host_device_scalarIT1_EES3_PKS3_PKT2_SC_S9_PKT4_PKT5_S7_PT6_21rocsparse_index_base_b ; -- Begin function _ZN9rocsparseL18bsrxmvn_3x3_kernelILj256ELj16E21rocsparse_complex_numIdEllS2_S2_S2_EEvT3_20rocsparse_direction_NS_24const_host_device_scalarIT1_EES3_PKS3_PKT2_SC_S9_PKT4_PKT5_S7_PT6_21rocsparse_index_base_b
	.p2align	8
	.type	_ZN9rocsparseL18bsrxmvn_3x3_kernelILj256ELj16E21rocsparse_complex_numIdEllS2_S2_S2_EEvT3_20rocsparse_direction_NS_24const_host_device_scalarIT1_EES3_PKS3_PKT2_SC_S9_PKT4_PKT5_S7_PT6_21rocsparse_index_base_b,@function
_ZN9rocsparseL18bsrxmvn_3x3_kernelILj256ELj16E21rocsparse_complex_numIdEllS2_S2_S2_EEvT3_20rocsparse_direction_NS_24const_host_device_scalarIT1_EES3_PKS3_PKT2_SC_S9_PKT4_PKT5_S7_PT6_21rocsparse_index_base_b: ; @_ZN9rocsparseL18bsrxmvn_3x3_kernelILj256ELj16E21rocsparse_complex_numIdEllS2_S2_S2_EEvT3_20rocsparse_direction_NS_24const_host_device_scalarIT1_EES3_PKS3_PKT2_SC_S9_PKT4_PKT5_S7_PT6_21rocsparse_index_base_b
; %bb.0:
	s_clause 0x1
	s_load_b64 s[4:5], s[0:1], 0x70
	s_load_b64 s[2:3], s[0:1], 0x10
	s_add_nc_u64 s[6:7], s[0:1], 16
	s_load_b64 s[8:9], s[0:1], 0x58
	s_wait_kmcnt 0x0
	s_bitcmp1_b32 s5, 0
	s_cselect_b32 s2, s6, s2
	s_cselect_b32 s3, s7, s3
	s_delay_alu instid0(SALU_CYCLE_1)
	v_dual_mov_b32 v1, s2 :: v_dual_mov_b32 v2, s3
	s_add_nc_u64 s[2:3], s[0:1], 0x58
	s_wait_alu 0xfffe
	s_cselect_b32 s2, s2, s8
	s_cselect_b32 s3, s3, s9
	flat_load_b128 v[5:8], v[1:2]
	s_wait_alu 0xfffe
	v_dual_mov_b32 v1, s2 :: v_dual_mov_b32 v2, s3
	flat_load_b128 v[1:4], v[1:2]
	s_wait_loadcnt_dscnt 0x101
	v_cmp_eq_f64_e32 vcc_lo, 0, v[5:6]
	v_cmp_eq_f64_e64 s2, 0, v[7:8]
	s_and_b32 s5, vcc_lo, s2
	s_mov_b32 s2, -1
	s_and_saveexec_b32 s3, s5
	s_cbranch_execz .LBB57_2
; %bb.1:
	s_wait_loadcnt_dscnt 0x0
	v_cmp_neq_f64_e32 vcc_lo, 1.0, v[1:2]
	v_cmp_neq_f64_e64 s2, 0, v[3:4]
	s_wait_alu 0xfffe
	s_or_b32 s2, vcc_lo, s2
	s_wait_alu 0xfffe
	s_or_not1_b32 s2, s2, exec_lo
.LBB57_2:
	s_wait_alu 0xfffe
	s_or_b32 exec_lo, exec_lo, s3
	s_and_saveexec_b32 s3, s2
	s_cbranch_execz .LBB57_8
; %bb.3:
	s_load_b64 s[2:3], s[0:1], 0x28
	v_lshrrev_b32_e32 v9, 4, v0
	v_mov_b32_e32 v12, 0
	s_delay_alu instid0(VALU_DEP_2)
	v_lshl_or_b32 v11, ttmp9, 4, v9
	s_wait_kmcnt 0x0
	s_cmp_lg_u64 s[2:3], 0
	s_cbranch_scc0 .LBB57_9
; %bb.4:
	s_load_b64 s[6:7], s[0:1], 0x20
                                        ; implicit-def: $vgpr17_vgpr18
                                        ; implicit-def: $vgpr9_vgpr10
	s_wait_kmcnt 0x0
	v_cmp_gt_i64_e32 vcc_lo, s[6:7], v[11:12]
	s_mov_b32 s7, 0
	s_mov_b32 s6, 0
	s_and_saveexec_b32 s5, vcc_lo
	s_delay_alu instid0(SALU_CYCLE_1)
	s_xor_b32 s8, exec_lo, s5
	s_cbranch_execz .LBB57_6
; %bb.5:
	v_lshlrev_b64_e32 v[9:10], 3, v[11:12]
	s_mov_b32 s5, 0
	s_mov_b32 s6, exec_lo
	s_delay_alu instid0(VALU_DEP_1) | instskip(NEXT) | instid1(VALU_DEP_1)
	v_add_co_u32 v9, vcc_lo, s2, v9
	v_add_co_ci_u32_e64 v10, null, s3, v10, vcc_lo
	global_load_b64 v[9:10], v[9:10], off
	s_wait_loadcnt 0x0
	v_sub_co_u32 v17, vcc_lo, v9, s4
	s_wait_alu 0xfffd
	v_subrev_co_ci_u32_e64 v18, null, 0, v10, vcc_lo
	v_dual_mov_b32 v10, s5 :: v_dual_mov_b32 v9, s4
.LBB57_6:
	s_or_b32 exec_lo, exec_lo, s8
	s_wait_alu 0xfffe
	s_and_b32 vcc_lo, exec_lo, s7
	s_wait_alu 0xfffe
	s_cbranch_vccnz .LBB57_10
.LBB57_7:
	s_and_b32 exec_lo, exec_lo, s6
	s_cbranch_execnz .LBB57_13
.LBB57_8:
	s_endpgm
.LBB57_9:
	s_mov_b32 s6, 0
                                        ; implicit-def: $vgpr17_vgpr18
                                        ; implicit-def: $vgpr9_vgpr10
	s_cbranch_execz .LBB57_7
.LBB57_10:
	s_load_b64 s[2:3], s[0:1], 0x0
	s_wait_kmcnt 0x0
	v_cmp_gt_i64_e32 vcc_lo, s[2:3], v[11:12]
	s_and_saveexec_b32 s2, vcc_lo
; %bb.11:
	s_mov_b32 s5, 0
	s_or_b32 s6, s6, exec_lo
; %bb.12:
	s_wait_alu 0xfffe
	s_or_b32 exec_lo, exec_lo, s2
	v_dual_mov_b32 v10, s5 :: v_dual_mov_b32 v9, s4
	v_dual_mov_b32 v18, v12 :: v_dual_mov_b32 v17, v11
	s_and_b32 exec_lo, exec_lo, s6
	s_cbranch_execz .LBB57_8
.LBB57_13:
	s_load_b256 s[4:11], s[0:1], 0x30
	s_delay_alu instid0(VALU_DEP_1) | instskip(SKIP_2) | instid1(VALU_DEP_2)
	v_lshlrev_b64_e32 v[11:12], 3, v[17:18]
	v_and_b32_e32 v0, 15, v0
	s_wait_kmcnt 0x0
	v_add_co_u32 v13, vcc_lo, s4, v11
	s_wait_alu 0xfffd
	s_delay_alu instid0(VALU_DEP_3)
	v_add_co_ci_u32_e64 v14, null, s5, v12, vcc_lo
	v_add_co_u32 v11, vcc_lo, s6, v11
	s_wait_alu 0xfffd
	v_add_co_ci_u32_e64 v12, null, s7, v12, vcc_lo
	global_load_b64 v[15:16], v[13:14], off
	v_add_co_u32 v13, vcc_lo, v13, 8
	s_wait_alu 0xfffd
	v_add_co_ci_u32_e64 v14, null, 0, v14, vcc_lo
	s_cmp_eq_u64 s[6:7], 0
	s_cselect_b32 vcc_lo, -1, 0
	s_wait_alu 0xfffe
	v_dual_cndmask_b32 v12, v12, v14 :: v_dual_cndmask_b32 v11, v11, v13
	global_load_b64 v[11:12], v[11:12], off
	s_clause 0x1
	s_load_b32 s3, s[0:1], 0x8
	s_load_b64 s[4:5], s[0:1], 0x50
	s_wait_kmcnt 0x0
	s_cmp_eq_u32 s3, 1
	s_wait_loadcnt 0x1
	v_sub_co_u32 v13, vcc_lo, v15, v9
	s_wait_alu 0xfffd
	v_sub_co_ci_u32_e64 v14, null, v16, v10, vcc_lo
	s_delay_alu instid0(VALU_DEP_2) | instskip(SKIP_1) | instid1(VALU_DEP_2)
	v_add_co_u32 v21, vcc_lo, v13, v0
	s_wait_alu 0xfffd
	v_add_co_ci_u32_e64 v22, null, 0, v14, vcc_lo
	s_delay_alu instid0(VALU_DEP_2) | instskip(SKIP_4) | instid1(VALU_DEP_3)
	v_mad_co_u64_u32 v[25:26], null, 0x90, v21, s[10:11]
	s_wait_loadcnt 0x0
	v_sub_co_u32 v29, vcc_lo, v11, v9
	s_wait_alu 0xfffd
	v_sub_co_ci_u32_e64 v30, null, v12, v10, vcc_lo
	v_mov_b32_e32 v13, v26
	s_delay_alu instid0(VALU_DEP_2) | instskip(NEXT) | instid1(VALU_DEP_2)
	v_cmp_lt_i64_e64 s2, v[21:22], v[29:30]
	v_mad_co_u64_u32 v[13:14], null, 0x90, v22, v[13:14]
	s_delay_alu instid0(VALU_DEP_1)
	v_mov_b32_e32 v26, v13
	s_cbranch_scc1 .LBB57_19
; %bb.14:
	v_mov_b32_e32 v11, 0
	v_mov_b32_e32 v15, 0
	v_dual_mov_b32 v23, 0 :: v_dual_mov_b32 v12, 0
	v_dual_mov_b32 v13, 0 :: v_dual_mov_b32 v16, 0
	;; [unrolled: 1-line block ×4, first 2 shown]
	v_mov_b32_e32 v20, 0
	v_mov_b32_e32 v28, 0
	s_and_saveexec_b32 s6, s2
	s_cbranch_execz .LBB57_18
; %bb.15:
	v_lshlrev_b64_e32 v[13:14], 3, v[21:22]
	v_mov_b32_e32 v19, 0
	v_dual_mov_b32 v11, 0 :: v_dual_mov_b32 v32, v22
	v_dual_mov_b32 v20, 0 :: v_dual_mov_b32 v23, 0
	s_delay_alu instid0(VALU_DEP_4)
	v_add_co_u32 v33, vcc_lo, s8, v13
	s_wait_alu 0xfffd
	v_add_co_ci_u32_e64 v34, null, s9, v14, vcc_lo
	v_mov_b32_e32 v13, 0
	v_dual_mov_b32 v14, 0 :: v_dual_mov_b32 v15, 0
	v_dual_mov_b32 v27, 0 :: v_dual_mov_b32 v36, v26
	;; [unrolled: 1-line block ×3, first 2 shown]
	v_mov_b32_e32 v16, 0
	v_mov_b32_e32 v24, 0
	v_dual_mov_b32 v28, 0 :: v_dual_mov_b32 v35, v25
	s_mov_b32 s7, 0
.LBB57_16:                              ; =>This Inner Loop Header: Depth=1
	global_load_b64 v[41:42], v[33:34], off
	global_load_b128 v[37:40], v[35:36], off offset:48
	v_add_co_u32 v33, s3, 0x80, v33
	s_wait_alu 0xf1ff
	v_add_co_ci_u32_e64 v34, null, 0, v34, s3
	s_wait_loadcnt 0x1
	v_sub_co_u32 v41, vcc_lo, v41, v9
	s_wait_alu 0xfffd
	v_sub_co_ci_u32_e64 v50, null, v42, v10, vcc_lo
	v_add_co_u32 v31, vcc_lo, v31, 16
	s_delay_alu instid0(VALU_DEP_3)
	v_mad_co_u64_u32 v[81:82], null, v41, 48, s[4:5]
	s_clause 0x1
	global_load_b128 v[41:44], v[35:36], off offset:16
	global_load_b128 v[45:48], v[35:36], off
	s_wait_alu 0xfffd
	v_add_co_ci_u32_e64 v32, null, 0, v32, vcc_lo
	v_mov_b32_e32 v49, v82
	s_delay_alu instid0(VALU_DEP_1)
	v_mad_co_u64_u32 v[57:58], null, v50, 48, v[49:50]
	s_clause 0x1
	global_load_b128 v[49:52], v[35:36], off offset:112
	global_load_b128 v[53:56], v[35:36], off offset:96
	v_mov_b32_e32 v82, v57
	s_clause 0x1
	global_load_b128 v[57:60], v[81:82], off
	global_load_b128 v[61:64], v[81:82], off offset:16
	s_clause 0x3
	global_load_b128 v[65:68], v[35:36], off offset:64
	global_load_b128 v[69:72], v[35:36], off offset:80
	;; [unrolled: 1-line block ×5, first 2 shown]
	v_add_co_u32 v35, vcc_lo, 0x900, v35
	s_wait_alu 0xfffd
	v_add_co_ci_u32_e64 v36, null, 0, v36, vcc_lo
	v_cmp_ge_i64_e32 vcc_lo, v[31:32], v[29:30]
	s_wait_alu 0xfffe
	s_or_b32 s7, vcc_lo, s7
	s_wait_loadcnt 0x6
	v_fma_f64 v[13:14], v[45:46], v[57:58], v[13:14]
	v_fma_f64 v[11:12], v[47:48], v[57:58], v[11:12]
	;; [unrolled: 1-line block ×6, first 2 shown]
	v_fma_f64 v[13:14], -v[47:48], v[59:60], v[13:14]
	v_fma_f64 v[11:12], v[45:46], v[59:60], v[11:12]
	v_fma_f64 v[23:24], -v[39:40], v[59:60], v[23:24]
	v_fma_f64 v[27:28], v[37:38], v[59:60], v[27:28]
	;; [unrolled: 2-line block ×3, first 2 shown]
	s_wait_loadcnt 0x5
	v_fma_f64 v[13:14], v[41:42], v[61:62], v[13:14]
	v_fma_f64 v[11:12], v[43:44], v[61:62], v[11:12]
	s_wait_loadcnt 0x4
	v_fma_f64 v[23:24], v[65:66], v[61:62], v[23:24]
	v_fma_f64 v[27:28], v[67:68], v[61:62], v[27:28]
	;; [unrolled: 1-line block ×4, first 2 shown]
	v_fma_f64 v[13:14], -v[43:44], v[63:64], v[13:14]
	v_fma_f64 v[11:12], v[41:42], v[63:64], v[11:12]
	v_fma_f64 v[23:24], -v[67:68], v[63:64], v[23:24]
	v_fma_f64 v[27:28], v[65:66], v[63:64], v[27:28]
	;; [unrolled: 2-line block ×3, first 2 shown]
	s_wait_loadcnt 0x0
	v_fma_f64 v[13:14], v[73:74], v[81:82], v[13:14]
	v_fma_f64 v[11:12], v[75:76], v[81:82], v[11:12]
	;; [unrolled: 1-line block ×6, first 2 shown]
	v_fma_f64 v[13:14], -v[75:76], v[83:84], v[13:14]
	v_fma_f64 v[11:12], v[73:74], v[83:84], v[11:12]
	v_fma_f64 v[23:24], -v[71:72], v[83:84], v[23:24]
	v_fma_f64 v[27:28], v[69:70], v[83:84], v[27:28]
	v_fma_f64 v[15:16], -v[79:80], v[83:84], v[15:16]
	v_fma_f64 v[19:20], v[77:78], v[83:84], v[19:20]
	s_wait_alu 0xfffe
	s_and_not1_b32 exec_lo, exec_lo, s7
	s_cbranch_execnz .LBB57_16
; %bb.17:
	s_or_b32 exec_lo, exec_lo, s7
.LBB57_18:
	s_wait_alu 0xfffe
	s_or_b32 exec_lo, exec_lo, s6
	s_cbranch_execz .LBB57_20
	s_branch .LBB57_25
.LBB57_19:
                                        ; implicit-def: $vgpr11_vgpr12
                                        ; implicit-def: $vgpr13_vgpr14
                                        ; implicit-def: $vgpr15_vgpr16
                                        ; implicit-def: $vgpr19_vgpr20
                                        ; implicit-def: $vgpr23_vgpr24
                                        ; implicit-def: $vgpr27_vgpr28
.LBB57_20:
	v_mov_b32_e32 v11, 0
	v_mov_b32_e32 v15, 0
	v_dual_mov_b32 v23, 0 :: v_dual_mov_b32 v12, 0
	v_dual_mov_b32 v13, 0 :: v_dual_mov_b32 v16, 0
	v_dual_mov_b32 v19, 0 :: v_dual_mov_b32 v24, 0
	v_dual_mov_b32 v27, 0 :: v_dual_mov_b32 v14, 0
	v_mov_b32_e32 v20, 0
	v_mov_b32_e32 v28, 0
	s_and_saveexec_b32 s3, s2
	s_cbranch_execz .LBB57_24
; %bb.21:
	v_lshlrev_b64_e32 v[31:32], 3, v[21:22]
	v_mov_b32_e32 v11, 0
	v_mov_b32_e32 v15, 0
	v_dual_mov_b32 v23, 0 :: v_dual_mov_b32 v12, 0
	v_mov_b32_e32 v13, 0
	v_add_co_u32 v31, vcc_lo, s8, v31
	v_dual_mov_b32 v16, 0 :: v_dual_mov_b32 v19, 0
	v_dual_mov_b32 v24, 0 :: v_dual_mov_b32 v27, 0
	v_mov_b32_e32 v14, 0
	v_mov_b32_e32 v20, 0
	;; [unrolled: 1-line block ×3, first 2 shown]
	s_wait_alu 0xfffd
	v_add_co_ci_u32_e64 v32, null, s9, v32, vcc_lo
	s_mov_b32 s6, 0
.LBB57_22:                              ; =>This Inner Loop Header: Depth=1
	global_load_b64 v[33:34], v[31:32], off
	v_add_co_u32 v31, s2, 0x80, v31
	s_wait_alu 0xf1ff
	v_add_co_ci_u32_e64 v32, null, 0, v32, s2
	s_wait_loadcnt 0x0
	v_sub_co_u32 v33, vcc_lo, v33, v9
	s_wait_alu 0xfffd
	v_sub_co_ci_u32_e64 v42, null, v34, v10, vcc_lo
	v_add_co_u32 v21, vcc_lo, v21, 16
	s_delay_alu instid0(VALU_DEP_3)
	v_mad_co_u64_u32 v[77:78], null, v33, 48, s[4:5]
	s_clause 0x1
	global_load_b128 v[33:36], v[25:26], off offset:48
	global_load_b128 v[37:40], v[25:26], off offset:32
	s_wait_alu 0xfffd
	v_add_co_ci_u32_e64 v22, null, 0, v22, vcc_lo
	v_mov_b32_e32 v41, v78
	s_delay_alu instid0(VALU_DEP_1)
	v_mad_co_u64_u32 v[49:50], null, v42, 48, v[41:42]
	s_clause 0x1
	global_load_b128 v[41:44], v[25:26], off offset:16
	global_load_b128 v[45:48], v[25:26], off
	v_mov_b32_e32 v78, v49
	s_clause 0x1
	global_load_b128 v[49:52], v[77:78], off
	global_load_b128 v[53:56], v[77:78], off offset:16
	s_clause 0x4
	global_load_b128 v[57:60], v[25:26], off offset:64
	global_load_b128 v[61:64], v[25:26], off offset:80
	;; [unrolled: 1-line block ×6, first 2 shown]
	v_add_co_u32 v25, vcc_lo, 0x900, v25
	s_wait_alu 0xfffd
	v_add_co_ci_u32_e64 v26, null, 0, v26, vcc_lo
	v_cmp_ge_i64_e32 vcc_lo, v[21:22], v[29:30]
	s_wait_alu 0xfffe
	s_or_b32 s6, vcc_lo, s6
	s_wait_loadcnt 0x7
	v_fma_f64 v[13:14], v[45:46], v[49:50], v[13:14]
	v_fma_f64 v[11:12], v[47:48], v[49:50], v[11:12]
	;; [unrolled: 1-line block ×6, first 2 shown]
	v_fma_f64 v[13:14], -v[47:48], v[51:52], v[13:14]
	v_fma_f64 v[11:12], v[45:46], v[51:52], v[11:12]
	v_fma_f64 v[23:24], -v[43:44], v[51:52], v[23:24]
	v_fma_f64 v[27:28], v[41:42], v[51:52], v[27:28]
	v_fma_f64 v[15:16], -v[39:40], v[51:52], v[15:16]
	v_fma_f64 v[19:20], v[37:38], v[51:52], v[19:20]
	s_wait_loadcnt 0x6
	v_fma_f64 v[13:14], v[33:34], v[53:54], v[13:14]
	v_fma_f64 v[11:12], v[35:36], v[53:54], v[11:12]
	s_wait_loadcnt 0x5
	v_fma_f64 v[23:24], v[57:58], v[53:54], v[23:24]
	v_fma_f64 v[27:28], v[59:60], v[53:54], v[27:28]
	;; [unrolled: 3-line block ×3, first 2 shown]
	v_fma_f64 v[13:14], -v[35:36], v[55:56], v[13:14]
	v_fma_f64 v[11:12], v[33:34], v[55:56], v[11:12]
	v_fma_f64 v[23:24], -v[59:60], v[55:56], v[23:24]
	v_fma_f64 v[27:28], v[57:58], v[55:56], v[27:28]
	;; [unrolled: 2-line block ×3, first 2 shown]
	s_wait_loadcnt 0x0
	v_fma_f64 v[13:14], v[69:70], v[77:78], v[13:14]
	v_fma_f64 v[11:12], v[71:72], v[77:78], v[11:12]
	;; [unrolled: 1-line block ×6, first 2 shown]
	v_fma_f64 v[13:14], -v[71:72], v[79:80], v[13:14]
	v_fma_f64 v[11:12], v[69:70], v[79:80], v[11:12]
	v_fma_f64 v[23:24], -v[67:68], v[79:80], v[23:24]
	v_fma_f64 v[27:28], v[65:66], v[79:80], v[27:28]
	;; [unrolled: 2-line block ×3, first 2 shown]
	s_wait_alu 0xfffe
	s_and_not1_b32 exec_lo, exec_lo, s6
	s_cbranch_execnz .LBB57_22
; %bb.23:
	s_or_b32 exec_lo, exec_lo, s6
.LBB57_24:
	s_wait_alu 0xfffe
	s_or_b32 exec_lo, exec_lo, s3
.LBB57_25:
	v_mbcnt_lo_u32_b32 v35, -1, 0
	s_delay_alu instid0(VALU_DEP_1) | instskip(NEXT) | instid1(VALU_DEP_1)
	v_xor_b32_e32 v9, 8, v35
	v_cmp_gt_i32_e32 vcc_lo, 32, v9
	s_wait_alu 0xfffd
	v_cndmask_b32_e32 v9, v35, v9, vcc_lo
	s_delay_alu instid0(VALU_DEP_1)
	v_lshlrev_b32_e32 v34, 2, v9
	ds_bpermute_b32 v9, v34, v13
	ds_bpermute_b32 v10, v34, v14
	;; [unrolled: 1-line block ×4, first 2 shown]
	s_wait_dscnt 0x2
	v_add_f64_e32 v[9:10], v[13:14], v[9:10]
	s_wait_dscnt 0x0
	v_add_f64_e32 v[13:14], v[23:24], v[25:26]
	v_xor_b32_e32 v23, 4, v35
	s_delay_alu instid0(VALU_DEP_1)
	v_cmp_gt_i32_e32 vcc_lo, 32, v23
	s_wait_alu 0xfffd
	v_cndmask_b32_e32 v23, v35, v23, vcc_lo
	ds_bpermute_b32 v21, v34, v11
	ds_bpermute_b32 v22, v34, v12
	ds_bpermute_b32 v29, v34, v27
	ds_bpermute_b32 v30, v34, v28
	ds_bpermute_b32 v31, v34, v15
	ds_bpermute_b32 v32, v34, v16
	ds_bpermute_b32 v33, v34, v19
	ds_bpermute_b32 v34, v34, v20
	s_wait_dscnt 0x6
	v_add_f64_e32 v[11:12], v[11:12], v[21:22]
	s_wait_dscnt 0x4
	v_add_f64_e32 v[21:22], v[27:28], v[29:30]
	;; [unrolled: 2-line block ×4, first 2 shown]
	v_lshlrev_b32_e32 v34, 2, v23
	ds_bpermute_b32 v23, v34, v9
	ds_bpermute_b32 v24, v34, v10
	;; [unrolled: 1-line block ×4, first 2 shown]
	s_wait_dscnt 0x2
	v_add_f64_e32 v[9:10], v[9:10], v[23:24]
	s_wait_dscnt 0x0
	v_add_f64_e32 v[13:14], v[13:14], v[27:28]
	ds_bpermute_b32 v25, v34, v11
	ds_bpermute_b32 v26, v34, v12
	;; [unrolled: 1-line block ×8, first 2 shown]
	s_wait_dscnt 0x6
	v_add_f64_e32 v[11:12], v[11:12], v[25:26]
	s_wait_dscnt 0x4
	v_add_f64_e32 v[21:22], v[21:22], v[29:30]
	;; [unrolled: 2-line block ×4, first 2 shown]
	v_xor_b32_e32 v19, 2, v35
	s_delay_alu instid0(VALU_DEP_1) | instskip(SKIP_2) | instid1(VALU_DEP_1)
	v_cmp_gt_i32_e32 vcc_lo, 32, v19
	s_wait_alu 0xfffd
	v_cndmask_b32_e32 v19, v35, v19, vcc_lo
	v_lshlrev_b32_e32 v34, 2, v19
	ds_bpermute_b32 v19, v34, v9
	ds_bpermute_b32 v20, v34, v10
	;; [unrolled: 1-line block ×4, first 2 shown]
	s_wait_dscnt 0x2
	v_add_f64_e32 v[9:10], v[9:10], v[19:20]
	s_wait_dscnt 0x0
	v_add_f64_e32 v[19:20], v[21:22], v[29:30]
	v_xor_b32_e32 v21, 1, v35
	s_delay_alu instid0(VALU_DEP_1)
	v_cmp_gt_i32_e32 vcc_lo, 32, v21
	s_wait_alu 0xfffd
	v_cndmask_b32_e32 v21, v35, v21, vcc_lo
	ds_bpermute_b32 v23, v34, v11
	ds_bpermute_b32 v24, v34, v12
	;; [unrolled: 1-line block ×8, first 2 shown]
	v_lshlrev_b32_e32 v30, 2, v21
	v_cmp_eq_u32_e32 vcc_lo, 15, v0
	ds_bpermute_b32 v21, v30, v9
	ds_bpermute_b32 v22, v30, v10
	s_wait_dscnt 0x8
	v_add_f64_e32 v[23:24], v[11:12], v[23:24]
	s_wait_dscnt 0x6
	v_add_f64_e32 v[11:12], v[13:14], v[27:28]
	;; [unrolled: 2-line block ×3, first 2 shown]
	ds_bpermute_b32 v31, v30, v19
	s_wait_dscnt 0x3
	v_add_f64_e32 v[15:16], v[25:26], v[33:34]
	ds_bpermute_b32 v32, v30, v20
	ds_bpermute_b32 v33, v30, v23
	;; [unrolled: 1-line block ×9, first 2 shown]
	s_and_b32 exec_lo, exec_lo, vcc_lo
	s_cbranch_execz .LBB57_8
; %bb.26:
	s_wait_dscnt 0x6
	v_add_f64_e32 v[23:24], v[23:24], v[33:34]
	v_add_f64_e32 v[19:20], v[19:20], v[31:32]
	s_wait_dscnt 0x0
	v_add_f64_e32 v[15:16], v[15:16], v[29:30]
	v_add_f64_e32 v[9:10], v[9:10], v[21:22]
	;; [unrolled: 1-line block ×4, first 2 shown]
	v_cmp_eq_f64_e32 vcc_lo, 0, v[1:2]
	v_cmp_eq_f64_e64 s2, 0, v[3:4]
	s_load_b64 s[0:1], s[0:1], 0x68
	v_mul_f64_e64 v[13:14], v[23:24], -v[7:8]
	v_mul_f64_e32 v[23:24], v[5:6], v[23:24]
	v_mul_f64_e64 v[25:26], v[19:20], -v[7:8]
	v_mul_f64_e32 v[19:20], v[5:6], v[19:20]
	;; [unrolled: 2-line block ×3, first 2 shown]
	s_and_b32 s2, vcc_lo, s2
	v_fma_f64 v[13:14], v[5:6], v[9:10], v[13:14]
	v_fma_f64 v[15:16], v[7:8], v[9:10], v[23:24]
	;; [unrolled: 1-line block ×6, first 2 shown]
	s_wait_alu 0xfffe
	s_and_saveexec_b32 s3, s2
	s_wait_alu 0xfffe
	s_xor_b32 s2, exec_lo, s3
	s_cbranch_execz .LBB57_28
; %bb.27:
	s_wait_kmcnt 0x0
	v_mad_co_u64_u32 v[0:1], null, v17, 48, s[0:1]
	s_delay_alu instid0(VALU_DEP_1)
	v_mad_co_u64_u32 v[1:2], null, v18, 48, v[1:2]
                                        ; implicit-def: $vgpr17_vgpr18
	s_clause 0x2
	global_store_b128 v[0:1], v[13:16], off
	global_store_b128 v[0:1], v[9:12], off offset:16
	global_store_b128 v[0:1], v[5:8], off offset:32
                                        ; implicit-def: $vgpr3_vgpr4
                                        ; implicit-def: $vgpr13_vgpr14
                                        ; implicit-def: $vgpr9_vgpr10
                                        ; implicit-def: $vgpr5_vgpr6
.LBB57_28:
	s_wait_alu 0xfffe
	s_and_not1_saveexec_b32 s2, s2
	s_cbranch_execz .LBB57_8
; %bb.29:
	s_wait_kmcnt 0x0
	v_mad_co_u64_u32 v[29:30], null, v17, 48, s[0:1]
	s_delay_alu instid0(VALU_DEP_1) | instskip(NEXT) | instid1(VALU_DEP_1)
	v_mov_b32_e32 v0, v30
	v_mad_co_u64_u32 v[17:18], null, v18, 48, v[0:1]
	s_delay_alu instid0(VALU_DEP_1)
	v_mov_b32_e32 v30, v17
	s_clause 0x2
	global_load_b128 v[17:20], v[29:30], off
	global_load_b128 v[21:24], v[29:30], off offset:16
	global_load_b128 v[25:28], v[29:30], off offset:32
	s_wait_loadcnt 0x2
	v_fma_f64 v[13:14], v[1:2], v[17:18], v[13:14]
	v_fma_f64 v[15:16], v[3:4], v[17:18], v[15:16]
	s_wait_loadcnt 0x1
	v_fma_f64 v[9:10], v[1:2], v[21:22], v[9:10]
	v_fma_f64 v[11:12], v[3:4], v[21:22], v[11:12]
	;; [unrolled: 3-line block ×3, first 2 shown]
	v_fma_f64 v[5:6], -v[3:4], v[19:20], v[13:14]
	v_fma_f64 v[7:8], v[1:2], v[19:20], v[15:16]
	v_fma_f64 v[9:10], -v[3:4], v[23:24], v[9:10]
	v_fma_f64 v[11:12], v[1:2], v[23:24], v[11:12]
	;; [unrolled: 2-line block ×3, first 2 shown]
	s_clause 0x2
	global_store_b128 v[29:30], v[5:8], off
	global_store_b128 v[29:30], v[9:12], off offset:16
	global_store_b128 v[29:30], v[13:16], off offset:32
	s_endpgm
	.section	.rodata,"a",@progbits
	.p2align	6, 0x0
	.amdhsa_kernel _ZN9rocsparseL18bsrxmvn_3x3_kernelILj256ELj16E21rocsparse_complex_numIdEllS2_S2_S2_EEvT3_20rocsparse_direction_NS_24const_host_device_scalarIT1_EES3_PKS3_PKT2_SC_S9_PKT4_PKT5_S7_PT6_21rocsparse_index_base_b
		.amdhsa_group_segment_fixed_size 0
		.amdhsa_private_segment_fixed_size 0
		.amdhsa_kernarg_size 120
		.amdhsa_user_sgpr_count 2
		.amdhsa_user_sgpr_dispatch_ptr 0
		.amdhsa_user_sgpr_queue_ptr 0
		.amdhsa_user_sgpr_kernarg_segment_ptr 1
		.amdhsa_user_sgpr_dispatch_id 0
		.amdhsa_user_sgpr_private_segment_size 0
		.amdhsa_wavefront_size32 1
		.amdhsa_uses_dynamic_stack 0
		.amdhsa_enable_private_segment 0
		.amdhsa_system_sgpr_workgroup_id_x 1
		.amdhsa_system_sgpr_workgroup_id_y 0
		.amdhsa_system_sgpr_workgroup_id_z 0
		.amdhsa_system_sgpr_workgroup_info 0
		.amdhsa_system_vgpr_workitem_id 0
		.amdhsa_next_free_vgpr 85
		.amdhsa_next_free_sgpr 12
		.amdhsa_reserve_vcc 1
		.amdhsa_float_round_mode_32 0
		.amdhsa_float_round_mode_16_64 0
		.amdhsa_float_denorm_mode_32 3
		.amdhsa_float_denorm_mode_16_64 3
		.amdhsa_fp16_overflow 0
		.amdhsa_workgroup_processor_mode 1
		.amdhsa_memory_ordered 1
		.amdhsa_forward_progress 1
		.amdhsa_inst_pref_size 27
		.amdhsa_round_robin_scheduling 0
		.amdhsa_exception_fp_ieee_invalid_op 0
		.amdhsa_exception_fp_denorm_src 0
		.amdhsa_exception_fp_ieee_div_zero 0
		.amdhsa_exception_fp_ieee_overflow 0
		.amdhsa_exception_fp_ieee_underflow 0
		.amdhsa_exception_fp_ieee_inexact 0
		.amdhsa_exception_int_div_zero 0
	.end_amdhsa_kernel
	.section	.text._ZN9rocsparseL18bsrxmvn_3x3_kernelILj256ELj16E21rocsparse_complex_numIdEllS2_S2_S2_EEvT3_20rocsparse_direction_NS_24const_host_device_scalarIT1_EES3_PKS3_PKT2_SC_S9_PKT4_PKT5_S7_PT6_21rocsparse_index_base_b,"axG",@progbits,_ZN9rocsparseL18bsrxmvn_3x3_kernelILj256ELj16E21rocsparse_complex_numIdEllS2_S2_S2_EEvT3_20rocsparse_direction_NS_24const_host_device_scalarIT1_EES3_PKS3_PKT2_SC_S9_PKT4_PKT5_S7_PT6_21rocsparse_index_base_b,comdat
.Lfunc_end57:
	.size	_ZN9rocsparseL18bsrxmvn_3x3_kernelILj256ELj16E21rocsparse_complex_numIdEllS2_S2_S2_EEvT3_20rocsparse_direction_NS_24const_host_device_scalarIT1_EES3_PKS3_PKT2_SC_S9_PKT4_PKT5_S7_PT6_21rocsparse_index_base_b, .Lfunc_end57-_ZN9rocsparseL18bsrxmvn_3x3_kernelILj256ELj16E21rocsparse_complex_numIdEllS2_S2_S2_EEvT3_20rocsparse_direction_NS_24const_host_device_scalarIT1_EES3_PKS3_PKT2_SC_S9_PKT4_PKT5_S7_PT6_21rocsparse_index_base_b
                                        ; -- End function
	.set _ZN9rocsparseL18bsrxmvn_3x3_kernelILj256ELj16E21rocsparse_complex_numIdEllS2_S2_S2_EEvT3_20rocsparse_direction_NS_24const_host_device_scalarIT1_EES3_PKS3_PKT2_SC_S9_PKT4_PKT5_S7_PT6_21rocsparse_index_base_b.num_vgpr, 85
	.set _ZN9rocsparseL18bsrxmvn_3x3_kernelILj256ELj16E21rocsparse_complex_numIdEllS2_S2_S2_EEvT3_20rocsparse_direction_NS_24const_host_device_scalarIT1_EES3_PKS3_PKT2_SC_S9_PKT4_PKT5_S7_PT6_21rocsparse_index_base_b.num_agpr, 0
	.set _ZN9rocsparseL18bsrxmvn_3x3_kernelILj256ELj16E21rocsparse_complex_numIdEllS2_S2_S2_EEvT3_20rocsparse_direction_NS_24const_host_device_scalarIT1_EES3_PKS3_PKT2_SC_S9_PKT4_PKT5_S7_PT6_21rocsparse_index_base_b.numbered_sgpr, 12
	.set _ZN9rocsparseL18bsrxmvn_3x3_kernelILj256ELj16E21rocsparse_complex_numIdEllS2_S2_S2_EEvT3_20rocsparse_direction_NS_24const_host_device_scalarIT1_EES3_PKS3_PKT2_SC_S9_PKT4_PKT5_S7_PT6_21rocsparse_index_base_b.num_named_barrier, 0
	.set _ZN9rocsparseL18bsrxmvn_3x3_kernelILj256ELj16E21rocsparse_complex_numIdEllS2_S2_S2_EEvT3_20rocsparse_direction_NS_24const_host_device_scalarIT1_EES3_PKS3_PKT2_SC_S9_PKT4_PKT5_S7_PT6_21rocsparse_index_base_b.private_seg_size, 0
	.set _ZN9rocsparseL18bsrxmvn_3x3_kernelILj256ELj16E21rocsparse_complex_numIdEllS2_S2_S2_EEvT3_20rocsparse_direction_NS_24const_host_device_scalarIT1_EES3_PKS3_PKT2_SC_S9_PKT4_PKT5_S7_PT6_21rocsparse_index_base_b.uses_vcc, 1
	.set _ZN9rocsparseL18bsrxmvn_3x3_kernelILj256ELj16E21rocsparse_complex_numIdEllS2_S2_S2_EEvT3_20rocsparse_direction_NS_24const_host_device_scalarIT1_EES3_PKS3_PKT2_SC_S9_PKT4_PKT5_S7_PT6_21rocsparse_index_base_b.uses_flat_scratch, 0
	.set _ZN9rocsparseL18bsrxmvn_3x3_kernelILj256ELj16E21rocsparse_complex_numIdEllS2_S2_S2_EEvT3_20rocsparse_direction_NS_24const_host_device_scalarIT1_EES3_PKS3_PKT2_SC_S9_PKT4_PKT5_S7_PT6_21rocsparse_index_base_b.has_dyn_sized_stack, 0
	.set _ZN9rocsparseL18bsrxmvn_3x3_kernelILj256ELj16E21rocsparse_complex_numIdEllS2_S2_S2_EEvT3_20rocsparse_direction_NS_24const_host_device_scalarIT1_EES3_PKS3_PKT2_SC_S9_PKT4_PKT5_S7_PT6_21rocsparse_index_base_b.has_recursion, 0
	.set _ZN9rocsparseL18bsrxmvn_3x3_kernelILj256ELj16E21rocsparse_complex_numIdEllS2_S2_S2_EEvT3_20rocsparse_direction_NS_24const_host_device_scalarIT1_EES3_PKS3_PKT2_SC_S9_PKT4_PKT5_S7_PT6_21rocsparse_index_base_b.has_indirect_call, 0
	.section	.AMDGPU.csdata,"",@progbits
; Kernel info:
; codeLenInByte = 3420
; TotalNumSgprs: 14
; NumVgprs: 85
; ScratchSize: 0
; MemoryBound: 1
; FloatMode: 240
; IeeeMode: 1
; LDSByteSize: 0 bytes/workgroup (compile time only)
; SGPRBlocks: 0
; VGPRBlocks: 10
; NumSGPRsForWavesPerEU: 14
; NumVGPRsForWavesPerEU: 85
; Occupancy: 16
; WaveLimiterHint : 1
; COMPUTE_PGM_RSRC2:SCRATCH_EN: 0
; COMPUTE_PGM_RSRC2:USER_SGPR: 2
; COMPUTE_PGM_RSRC2:TRAP_HANDLER: 0
; COMPUTE_PGM_RSRC2:TGID_X_EN: 1
; COMPUTE_PGM_RSRC2:TGID_Y_EN: 0
; COMPUTE_PGM_RSRC2:TGID_Z_EN: 0
; COMPUTE_PGM_RSRC2:TIDIG_COMP_CNT: 0
	.section	.text._ZN9rocsparseL18bsrxmvn_3x3_kernelILj256ELj32E21rocsparse_complex_numIdEllS2_S2_S2_EEvT3_20rocsparse_direction_NS_24const_host_device_scalarIT1_EES3_PKS3_PKT2_SC_S9_PKT4_PKT5_S7_PT6_21rocsparse_index_base_b,"axG",@progbits,_ZN9rocsparseL18bsrxmvn_3x3_kernelILj256ELj32E21rocsparse_complex_numIdEllS2_S2_S2_EEvT3_20rocsparse_direction_NS_24const_host_device_scalarIT1_EES3_PKS3_PKT2_SC_S9_PKT4_PKT5_S7_PT6_21rocsparse_index_base_b,comdat
	.globl	_ZN9rocsparseL18bsrxmvn_3x3_kernelILj256ELj32E21rocsparse_complex_numIdEllS2_S2_S2_EEvT3_20rocsparse_direction_NS_24const_host_device_scalarIT1_EES3_PKS3_PKT2_SC_S9_PKT4_PKT5_S7_PT6_21rocsparse_index_base_b ; -- Begin function _ZN9rocsparseL18bsrxmvn_3x3_kernelILj256ELj32E21rocsparse_complex_numIdEllS2_S2_S2_EEvT3_20rocsparse_direction_NS_24const_host_device_scalarIT1_EES3_PKS3_PKT2_SC_S9_PKT4_PKT5_S7_PT6_21rocsparse_index_base_b
	.p2align	8
	.type	_ZN9rocsparseL18bsrxmvn_3x3_kernelILj256ELj32E21rocsparse_complex_numIdEllS2_S2_S2_EEvT3_20rocsparse_direction_NS_24const_host_device_scalarIT1_EES3_PKS3_PKT2_SC_S9_PKT4_PKT5_S7_PT6_21rocsparse_index_base_b,@function
_ZN9rocsparseL18bsrxmvn_3x3_kernelILj256ELj32E21rocsparse_complex_numIdEllS2_S2_S2_EEvT3_20rocsparse_direction_NS_24const_host_device_scalarIT1_EES3_PKS3_PKT2_SC_S9_PKT4_PKT5_S7_PT6_21rocsparse_index_base_b: ; @_ZN9rocsparseL18bsrxmvn_3x3_kernelILj256ELj32E21rocsparse_complex_numIdEllS2_S2_S2_EEvT3_20rocsparse_direction_NS_24const_host_device_scalarIT1_EES3_PKS3_PKT2_SC_S9_PKT4_PKT5_S7_PT6_21rocsparse_index_base_b
; %bb.0:
	s_clause 0x1
	s_load_b64 s[4:5], s[0:1], 0x70
	s_load_b64 s[2:3], s[0:1], 0x10
	s_add_nc_u64 s[6:7], s[0:1], 16
	s_load_b64 s[8:9], s[0:1], 0x58
	s_wait_kmcnt 0x0
	s_bitcmp1_b32 s5, 0
	s_cselect_b32 s2, s6, s2
	s_cselect_b32 s3, s7, s3
	s_delay_alu instid0(SALU_CYCLE_1)
	v_dual_mov_b32 v1, s2 :: v_dual_mov_b32 v2, s3
	s_add_nc_u64 s[2:3], s[0:1], 0x58
	s_wait_alu 0xfffe
	s_cselect_b32 s2, s2, s8
	s_cselect_b32 s3, s3, s9
	flat_load_b128 v[5:8], v[1:2]
	s_wait_alu 0xfffe
	v_dual_mov_b32 v1, s2 :: v_dual_mov_b32 v2, s3
	flat_load_b128 v[1:4], v[1:2]
	s_wait_loadcnt_dscnt 0x101
	v_cmp_eq_f64_e32 vcc_lo, 0, v[5:6]
	v_cmp_eq_f64_e64 s2, 0, v[7:8]
	s_and_b32 s5, vcc_lo, s2
	s_mov_b32 s2, -1
	s_and_saveexec_b32 s3, s5
	s_cbranch_execz .LBB58_2
; %bb.1:
	s_wait_loadcnt_dscnt 0x0
	v_cmp_neq_f64_e32 vcc_lo, 1.0, v[1:2]
	v_cmp_neq_f64_e64 s2, 0, v[3:4]
	s_wait_alu 0xfffe
	s_or_b32 s2, vcc_lo, s2
	s_wait_alu 0xfffe
	s_or_not1_b32 s2, s2, exec_lo
.LBB58_2:
	s_wait_alu 0xfffe
	s_or_b32 exec_lo, exec_lo, s3
	s_and_saveexec_b32 s3, s2
	s_cbranch_execz .LBB58_8
; %bb.3:
	s_load_b64 s[2:3], s[0:1], 0x28
	v_lshrrev_b32_e32 v9, 5, v0
	v_mov_b32_e32 v12, 0
	s_delay_alu instid0(VALU_DEP_2)
	v_lshl_or_b32 v11, ttmp9, 3, v9
	s_wait_kmcnt 0x0
	s_cmp_lg_u64 s[2:3], 0
	s_cbranch_scc0 .LBB58_9
; %bb.4:
	s_load_b64 s[6:7], s[0:1], 0x20
                                        ; implicit-def: $vgpr17_vgpr18
                                        ; implicit-def: $vgpr9_vgpr10
	s_wait_kmcnt 0x0
	v_cmp_gt_i64_e32 vcc_lo, s[6:7], v[11:12]
	s_mov_b32 s7, 0
	s_mov_b32 s6, 0
	s_and_saveexec_b32 s5, vcc_lo
	s_delay_alu instid0(SALU_CYCLE_1)
	s_xor_b32 s8, exec_lo, s5
	s_cbranch_execz .LBB58_6
; %bb.5:
	v_lshlrev_b64_e32 v[9:10], 3, v[11:12]
	s_mov_b32 s5, 0
	s_mov_b32 s6, exec_lo
	s_delay_alu instid0(VALU_DEP_1) | instskip(NEXT) | instid1(VALU_DEP_1)
	v_add_co_u32 v9, vcc_lo, s2, v9
	v_add_co_ci_u32_e64 v10, null, s3, v10, vcc_lo
	global_load_b64 v[9:10], v[9:10], off
	s_wait_loadcnt 0x0
	v_sub_co_u32 v17, vcc_lo, v9, s4
	s_wait_alu 0xfffd
	v_subrev_co_ci_u32_e64 v18, null, 0, v10, vcc_lo
	v_dual_mov_b32 v10, s5 :: v_dual_mov_b32 v9, s4
.LBB58_6:
	s_or_b32 exec_lo, exec_lo, s8
	s_wait_alu 0xfffe
	s_and_b32 vcc_lo, exec_lo, s7
	s_wait_alu 0xfffe
	s_cbranch_vccnz .LBB58_10
.LBB58_7:
	s_and_b32 exec_lo, exec_lo, s6
	s_cbranch_execnz .LBB58_13
.LBB58_8:
	s_endpgm
.LBB58_9:
	s_mov_b32 s6, 0
                                        ; implicit-def: $vgpr17_vgpr18
                                        ; implicit-def: $vgpr9_vgpr10
	s_cbranch_execz .LBB58_7
.LBB58_10:
	s_load_b64 s[2:3], s[0:1], 0x0
	s_wait_kmcnt 0x0
	v_cmp_gt_i64_e32 vcc_lo, s[2:3], v[11:12]
	s_and_saveexec_b32 s2, vcc_lo
; %bb.11:
	s_mov_b32 s5, 0
	s_or_b32 s6, s6, exec_lo
; %bb.12:
	s_wait_alu 0xfffe
	s_or_b32 exec_lo, exec_lo, s2
	v_dual_mov_b32 v10, s5 :: v_dual_mov_b32 v9, s4
	v_dual_mov_b32 v18, v12 :: v_dual_mov_b32 v17, v11
	s_and_b32 exec_lo, exec_lo, s6
	s_cbranch_execz .LBB58_8
.LBB58_13:
	s_load_b256 s[4:11], s[0:1], 0x30
	s_delay_alu instid0(VALU_DEP_1) | instskip(SKIP_2) | instid1(VALU_DEP_2)
	v_lshlrev_b64_e32 v[11:12], 3, v[17:18]
	v_and_b32_e32 v0, 31, v0
	s_wait_kmcnt 0x0
	v_add_co_u32 v13, vcc_lo, s4, v11
	s_wait_alu 0xfffd
	s_delay_alu instid0(VALU_DEP_3)
	v_add_co_ci_u32_e64 v14, null, s5, v12, vcc_lo
	v_add_co_u32 v11, vcc_lo, s6, v11
	s_wait_alu 0xfffd
	v_add_co_ci_u32_e64 v12, null, s7, v12, vcc_lo
	global_load_b64 v[15:16], v[13:14], off
	v_add_co_u32 v13, vcc_lo, v13, 8
	s_wait_alu 0xfffd
	v_add_co_ci_u32_e64 v14, null, 0, v14, vcc_lo
	s_cmp_eq_u64 s[6:7], 0
	s_cselect_b32 vcc_lo, -1, 0
	s_wait_alu 0xfffe
	v_dual_cndmask_b32 v12, v12, v14 :: v_dual_cndmask_b32 v11, v11, v13
	global_load_b64 v[11:12], v[11:12], off
	s_clause 0x1
	s_load_b32 s3, s[0:1], 0x8
	s_load_b64 s[4:5], s[0:1], 0x50
	s_wait_kmcnt 0x0
	s_cmp_eq_u32 s3, 1
	s_wait_loadcnt 0x1
	v_sub_co_u32 v13, vcc_lo, v15, v9
	s_wait_alu 0xfffd
	v_sub_co_ci_u32_e64 v14, null, v16, v10, vcc_lo
	s_delay_alu instid0(VALU_DEP_2) | instskip(SKIP_1) | instid1(VALU_DEP_2)
	v_add_co_u32 v25, vcc_lo, v13, v0
	s_wait_alu 0xfffd
	v_add_co_ci_u32_e64 v26, null, 0, v14, vcc_lo
	s_delay_alu instid0(VALU_DEP_2) | instskip(SKIP_4) | instid1(VALU_DEP_3)
	v_mad_co_u64_u32 v[27:28], null, 0x90, v25, s[10:11]
	s_wait_loadcnt 0x0
	v_sub_co_u32 v29, vcc_lo, v11, v9
	s_wait_alu 0xfffd
	v_sub_co_ci_u32_e64 v30, null, v12, v10, vcc_lo
	v_mov_b32_e32 v13, v28
	s_delay_alu instid0(VALU_DEP_2) | instskip(NEXT) | instid1(VALU_DEP_2)
	v_cmp_lt_i64_e64 s2, v[25:26], v[29:30]
	v_mad_co_u64_u32 v[13:14], null, 0x90, v26, v[13:14]
	s_delay_alu instid0(VALU_DEP_1)
	v_mov_b32_e32 v28, v13
	s_cbranch_scc1 .LBB58_19
; %bb.14:
	v_mov_b32_e32 v11, 0
	v_mov_b32_e32 v15, 0
	v_dual_mov_b32 v21, 0 :: v_dual_mov_b32 v12, 0
	v_dual_mov_b32 v13, 0 :: v_dual_mov_b32 v16, 0
	;; [unrolled: 1-line block ×4, first 2 shown]
	v_mov_b32_e32 v20, 0
	v_mov_b32_e32 v24, 0
	s_and_saveexec_b32 s6, s2
	s_cbranch_execz .LBB58_18
; %bb.15:
	v_lshlrev_b64_e32 v[13:14], 3, v[25:26]
	v_mov_b32_e32 v19, 0
	v_dual_mov_b32 v11, 0 :: v_dual_mov_b32 v32, v26
	v_dual_mov_b32 v20, 0 :: v_dual_mov_b32 v21, 0
	s_delay_alu instid0(VALU_DEP_4)
	v_add_co_u32 v33, vcc_lo, s8, v13
	s_wait_alu 0xfffd
	v_add_co_ci_u32_e64 v34, null, s9, v14, vcc_lo
	v_mov_b32_e32 v13, 0
	v_dual_mov_b32 v14, 0 :: v_dual_mov_b32 v15, 0
	v_dual_mov_b32 v23, 0 :: v_dual_mov_b32 v36, v28
	;; [unrolled: 1-line block ×3, first 2 shown]
	v_mov_b32_e32 v16, 0
	v_mov_b32_e32 v22, 0
	v_dual_mov_b32 v24, 0 :: v_dual_mov_b32 v35, v27
	s_mov_b32 s7, 0
.LBB58_16:                              ; =>This Inner Loop Header: Depth=1
	global_load_b64 v[41:42], v[33:34], off
	global_load_b128 v[37:40], v[35:36], off offset:48
	v_add_co_u32 v33, s3, 0x100, v33
	s_wait_alu 0xf1ff
	v_add_co_ci_u32_e64 v34, null, 0, v34, s3
	s_wait_loadcnt 0x1
	v_sub_co_u32 v41, vcc_lo, v41, v9
	s_wait_alu 0xfffd
	v_sub_co_ci_u32_e64 v50, null, v42, v10, vcc_lo
	v_add_co_u32 v31, vcc_lo, v31, 32
	s_delay_alu instid0(VALU_DEP_3)
	v_mad_co_u64_u32 v[81:82], null, v41, 48, s[4:5]
	s_clause 0x1
	global_load_b128 v[41:44], v[35:36], off offset:16
	global_load_b128 v[45:48], v[35:36], off
	s_wait_alu 0xfffd
	v_add_co_ci_u32_e64 v32, null, 0, v32, vcc_lo
	v_mov_b32_e32 v49, v82
	s_delay_alu instid0(VALU_DEP_1)
	v_mad_co_u64_u32 v[57:58], null, v50, 48, v[49:50]
	s_clause 0x1
	global_load_b128 v[49:52], v[35:36], off offset:112
	global_load_b128 v[53:56], v[35:36], off offset:96
	v_mov_b32_e32 v82, v57
	s_clause 0x1
	global_load_b128 v[57:60], v[81:82], off
	global_load_b128 v[61:64], v[81:82], off offset:16
	s_clause 0x3
	global_load_b128 v[65:68], v[35:36], off offset:64
	global_load_b128 v[69:72], v[35:36], off offset:80
	;; [unrolled: 1-line block ×5, first 2 shown]
	v_add_co_u32 v35, vcc_lo, 0x1200, v35
	s_wait_alu 0xfffd
	v_add_co_ci_u32_e64 v36, null, 0, v36, vcc_lo
	v_cmp_ge_i64_e32 vcc_lo, v[31:32], v[29:30]
	s_wait_alu 0xfffe
	s_or_b32 s7, vcc_lo, s7
	s_wait_loadcnt 0x6
	v_fma_f64 v[13:14], v[45:46], v[57:58], v[13:14]
	v_fma_f64 v[11:12], v[47:48], v[57:58], v[11:12]
	;; [unrolled: 1-line block ×6, first 2 shown]
	v_fma_f64 v[13:14], -v[47:48], v[59:60], v[13:14]
	v_fma_f64 v[11:12], v[45:46], v[59:60], v[11:12]
	v_fma_f64 v[21:22], -v[39:40], v[59:60], v[21:22]
	v_fma_f64 v[23:24], v[37:38], v[59:60], v[23:24]
	;; [unrolled: 2-line block ×3, first 2 shown]
	s_wait_loadcnt 0x5
	v_fma_f64 v[13:14], v[41:42], v[61:62], v[13:14]
	v_fma_f64 v[11:12], v[43:44], v[61:62], v[11:12]
	s_wait_loadcnt 0x4
	v_fma_f64 v[21:22], v[65:66], v[61:62], v[21:22]
	v_fma_f64 v[23:24], v[67:68], v[61:62], v[23:24]
	;; [unrolled: 1-line block ×4, first 2 shown]
	v_fma_f64 v[13:14], -v[43:44], v[63:64], v[13:14]
	v_fma_f64 v[11:12], v[41:42], v[63:64], v[11:12]
	v_fma_f64 v[21:22], -v[67:68], v[63:64], v[21:22]
	v_fma_f64 v[23:24], v[65:66], v[63:64], v[23:24]
	;; [unrolled: 2-line block ×3, first 2 shown]
	s_wait_loadcnt 0x0
	v_fma_f64 v[13:14], v[73:74], v[81:82], v[13:14]
	v_fma_f64 v[11:12], v[75:76], v[81:82], v[11:12]
	;; [unrolled: 1-line block ×6, first 2 shown]
	v_fma_f64 v[13:14], -v[75:76], v[83:84], v[13:14]
	v_fma_f64 v[11:12], v[73:74], v[83:84], v[11:12]
	v_fma_f64 v[21:22], -v[71:72], v[83:84], v[21:22]
	v_fma_f64 v[23:24], v[69:70], v[83:84], v[23:24]
	;; [unrolled: 2-line block ×3, first 2 shown]
	s_wait_alu 0xfffe
	s_and_not1_b32 exec_lo, exec_lo, s7
	s_cbranch_execnz .LBB58_16
; %bb.17:
	s_or_b32 exec_lo, exec_lo, s7
.LBB58_18:
	s_wait_alu 0xfffe
	s_or_b32 exec_lo, exec_lo, s6
	s_cbranch_execz .LBB58_20
	s_branch .LBB58_25
.LBB58_19:
                                        ; implicit-def: $vgpr11_vgpr12
                                        ; implicit-def: $vgpr13_vgpr14
                                        ; implicit-def: $vgpr15_vgpr16
                                        ; implicit-def: $vgpr19_vgpr20
                                        ; implicit-def: $vgpr21_vgpr22
                                        ; implicit-def: $vgpr23_vgpr24
.LBB58_20:
	v_mov_b32_e32 v11, 0
	v_mov_b32_e32 v15, 0
	v_dual_mov_b32 v21, 0 :: v_dual_mov_b32 v12, 0
	v_dual_mov_b32 v13, 0 :: v_dual_mov_b32 v16, 0
	;; [unrolled: 1-line block ×4, first 2 shown]
	v_mov_b32_e32 v20, 0
	v_mov_b32_e32 v24, 0
	s_and_saveexec_b32 s3, s2
	s_cbranch_execz .LBB58_24
; %bb.21:
	v_lshlrev_b64_e32 v[31:32], 3, v[25:26]
	v_mov_b32_e32 v11, 0
	v_mov_b32_e32 v15, 0
	v_dual_mov_b32 v21, 0 :: v_dual_mov_b32 v12, 0
	v_mov_b32_e32 v13, 0
	v_add_co_u32 v31, vcc_lo, s8, v31
	v_dual_mov_b32 v16, 0 :: v_dual_mov_b32 v19, 0
	v_dual_mov_b32 v22, 0 :: v_dual_mov_b32 v23, 0
	v_mov_b32_e32 v14, 0
	v_mov_b32_e32 v20, 0
	;; [unrolled: 1-line block ×3, first 2 shown]
	s_wait_alu 0xfffd
	v_add_co_ci_u32_e64 v32, null, s9, v32, vcc_lo
	s_mov_b32 s6, 0
.LBB58_22:                              ; =>This Inner Loop Header: Depth=1
	global_load_b64 v[33:34], v[31:32], off
	v_add_co_u32 v31, s2, 0x100, v31
	s_wait_alu 0xf1ff
	v_add_co_ci_u32_e64 v32, null, 0, v32, s2
	s_wait_loadcnt 0x0
	v_sub_co_u32 v33, vcc_lo, v33, v9
	s_wait_alu 0xfffd
	v_sub_co_ci_u32_e64 v42, null, v34, v10, vcc_lo
	v_add_co_u32 v25, vcc_lo, v25, 32
	s_delay_alu instid0(VALU_DEP_3)
	v_mad_co_u64_u32 v[77:78], null, v33, 48, s[4:5]
	s_clause 0x1
	global_load_b128 v[33:36], v[27:28], off offset:48
	global_load_b128 v[37:40], v[27:28], off offset:32
	s_wait_alu 0xfffd
	v_add_co_ci_u32_e64 v26, null, 0, v26, vcc_lo
	v_mov_b32_e32 v41, v78
	s_delay_alu instid0(VALU_DEP_1)
	v_mad_co_u64_u32 v[49:50], null, v42, 48, v[41:42]
	s_clause 0x1
	global_load_b128 v[41:44], v[27:28], off offset:16
	global_load_b128 v[45:48], v[27:28], off
	v_mov_b32_e32 v78, v49
	s_clause 0x1
	global_load_b128 v[49:52], v[77:78], off
	global_load_b128 v[53:56], v[77:78], off offset:16
	s_clause 0x4
	global_load_b128 v[57:60], v[27:28], off offset:64
	global_load_b128 v[61:64], v[27:28], off offset:80
	;; [unrolled: 1-line block ×6, first 2 shown]
	v_add_co_u32 v27, vcc_lo, 0x1200, v27
	s_wait_alu 0xfffd
	v_add_co_ci_u32_e64 v28, null, 0, v28, vcc_lo
	v_cmp_ge_i64_e32 vcc_lo, v[25:26], v[29:30]
	s_wait_alu 0xfffe
	s_or_b32 s6, vcc_lo, s6
	s_wait_loadcnt 0x7
	v_fma_f64 v[13:14], v[45:46], v[49:50], v[13:14]
	v_fma_f64 v[11:12], v[47:48], v[49:50], v[11:12]
	;; [unrolled: 1-line block ×6, first 2 shown]
	v_fma_f64 v[13:14], -v[47:48], v[51:52], v[13:14]
	v_fma_f64 v[11:12], v[45:46], v[51:52], v[11:12]
	v_fma_f64 v[21:22], -v[43:44], v[51:52], v[21:22]
	v_fma_f64 v[23:24], v[41:42], v[51:52], v[23:24]
	;; [unrolled: 2-line block ×3, first 2 shown]
	s_wait_loadcnt 0x6
	v_fma_f64 v[13:14], v[33:34], v[53:54], v[13:14]
	v_fma_f64 v[11:12], v[35:36], v[53:54], v[11:12]
	s_wait_loadcnt 0x5
	v_fma_f64 v[21:22], v[57:58], v[53:54], v[21:22]
	v_fma_f64 v[23:24], v[59:60], v[53:54], v[23:24]
	;; [unrolled: 3-line block ×3, first 2 shown]
	v_fma_f64 v[13:14], -v[35:36], v[55:56], v[13:14]
	v_fma_f64 v[11:12], v[33:34], v[55:56], v[11:12]
	v_fma_f64 v[21:22], -v[59:60], v[55:56], v[21:22]
	v_fma_f64 v[23:24], v[57:58], v[55:56], v[23:24]
	;; [unrolled: 2-line block ×3, first 2 shown]
	s_wait_loadcnt 0x0
	v_fma_f64 v[13:14], v[69:70], v[77:78], v[13:14]
	v_fma_f64 v[11:12], v[71:72], v[77:78], v[11:12]
	;; [unrolled: 1-line block ×6, first 2 shown]
	v_fma_f64 v[13:14], -v[71:72], v[79:80], v[13:14]
	v_fma_f64 v[11:12], v[69:70], v[79:80], v[11:12]
	v_fma_f64 v[21:22], -v[67:68], v[79:80], v[21:22]
	v_fma_f64 v[23:24], v[65:66], v[79:80], v[23:24]
	v_fma_f64 v[15:16], -v[75:76], v[79:80], v[15:16]
	v_fma_f64 v[19:20], v[73:74], v[79:80], v[19:20]
	s_wait_alu 0xfffe
	s_and_not1_b32 exec_lo, exec_lo, s6
	s_cbranch_execnz .LBB58_22
; %bb.23:
	s_or_b32 exec_lo, exec_lo, s6
.LBB58_24:
	s_wait_alu 0xfffe
	s_or_b32 exec_lo, exec_lo, s3
.LBB58_25:
	v_mbcnt_lo_u32_b32 v35, -1, 0
	s_delay_alu instid0(VALU_DEP_1) | instskip(NEXT) | instid1(VALU_DEP_1)
	v_xor_b32_e32 v9, 16, v35
	v_cmp_gt_i32_e32 vcc_lo, 32, v9
	s_wait_alu 0xfffd
	v_cndmask_b32_e32 v9, v35, v9, vcc_lo
	s_delay_alu instid0(VALU_DEP_1)
	v_lshlrev_b32_e32 v34, 2, v9
	ds_bpermute_b32 v9, v34, v13
	ds_bpermute_b32 v10, v34, v14
	;; [unrolled: 1-line block ×6, first 2 shown]
	s_wait_dscnt 0x4
	v_add_f64_e32 v[9:10], v[13:14], v[9:10]
	s_wait_dscnt 0x2
	v_add_f64_e32 v[13:14], v[21:22], v[27:28]
	;; [unrolled: 2-line block ×3, first 2 shown]
	v_xor_b32_e32 v23, 8, v35
	s_delay_alu instid0(VALU_DEP_1)
	v_cmp_gt_i32_e32 vcc_lo, 32, v23
	s_wait_alu 0xfffd
	v_cndmask_b32_e32 v23, v35, v23, vcc_lo
	ds_bpermute_b32 v25, v34, v11
	ds_bpermute_b32 v26, v34, v12
	;; [unrolled: 1-line block ×6, first 2 shown]
	s_wait_dscnt 0x4
	v_add_f64_e32 v[11:12], v[11:12], v[25:26]
	s_wait_dscnt 0x2
	v_add_f64_e32 v[15:16], v[15:16], v[31:32]
	;; [unrolled: 2-line block ×3, first 2 shown]
	v_lshlrev_b32_e32 v34, 2, v23
	ds_bpermute_b32 v23, v34, v9
	ds_bpermute_b32 v24, v34, v10
	;; [unrolled: 1-line block ×6, first 2 shown]
	s_wait_dscnt 0x4
	v_add_f64_e32 v[9:10], v[9:10], v[23:24]
	v_xor_b32_e32 v23, 4, v35
	s_wait_dscnt 0x2
	v_add_f64_e32 v[13:14], v[13:14], v[27:28]
	s_wait_dscnt 0x0
	v_add_f64_e32 v[21:22], v[21:22], v[29:30]
	v_cmp_gt_i32_e32 vcc_lo, 32, v23
	ds_bpermute_b32 v25, v34, v11
	ds_bpermute_b32 v26, v34, v12
	;; [unrolled: 1-line block ×6, first 2 shown]
	s_wait_alu 0xfffd
	v_cndmask_b32_e32 v23, v35, v23, vcc_lo
	s_wait_dscnt 0x4
	v_add_f64_e32 v[11:12], v[11:12], v[25:26]
	s_wait_dscnt 0x2
	v_add_f64_e32 v[15:16], v[15:16], v[31:32]
	;; [unrolled: 2-line block ×3, first 2 shown]
	v_lshlrev_b32_e32 v34, 2, v23
	ds_bpermute_b32 v23, v34, v9
	ds_bpermute_b32 v24, v34, v10
	ds_bpermute_b32 v27, v34, v13
	ds_bpermute_b32 v28, v34, v14
	ds_bpermute_b32 v29, v34, v21
	ds_bpermute_b32 v30, v34, v22
	s_wait_dscnt 0x4
	v_add_f64_e32 v[9:10], v[9:10], v[23:24]
	s_wait_dscnt 0x2
	v_add_f64_e32 v[13:14], v[13:14], v[27:28]
	;; [unrolled: 2-line block ×3, first 2 shown]
	ds_bpermute_b32 v25, v34, v11
	ds_bpermute_b32 v26, v34, v12
	ds_bpermute_b32 v31, v34, v15
	ds_bpermute_b32 v32, v34, v16
	ds_bpermute_b32 v33, v34, v19
	ds_bpermute_b32 v34, v34, v20
	s_wait_dscnt 0x4
	v_add_f64_e32 v[11:12], v[11:12], v[25:26]
	s_wait_dscnt 0x2
	v_add_f64_e32 v[15:16], v[15:16], v[31:32]
	;; [unrolled: 2-line block ×3, first 2 shown]
	v_xor_b32_e32 v19, 2, v35
	s_delay_alu instid0(VALU_DEP_1) | instskip(SKIP_2) | instid1(VALU_DEP_1)
	v_cmp_gt_i32_e32 vcc_lo, 32, v19
	s_wait_alu 0xfffd
	v_cndmask_b32_e32 v19, v35, v19, vcc_lo
	v_lshlrev_b32_e32 v34, 2, v19
	ds_bpermute_b32 v19, v34, v9
	ds_bpermute_b32 v20, v34, v10
	;; [unrolled: 1-line block ×12, first 2 shown]
	s_wait_dscnt 0xa
	v_add_f64_e32 v[9:10], v[9:10], v[19:20]
	s_wait_dscnt 0x6
	v_add_f64_e32 v[19:20], v[21:22], v[29:30]
	v_xor_b32_e32 v21, 1, v35
	s_delay_alu instid0(VALU_DEP_1)
	v_cmp_gt_i32_e32 vcc_lo, 32, v21
	s_wait_dscnt 0x4
	v_add_f64_e32 v[23:24], v[11:12], v[23:24]
	v_add_f64_e32 v[11:12], v[13:14], v[27:28]
	s_wait_dscnt 0x2
	v_add_f64_e32 v[13:14], v[15:16], v[31:32]
	s_wait_alu 0xfffd
	v_cndmask_b32_e32 v21, v35, v21, vcc_lo
	s_wait_dscnt 0x0
	v_add_f64_e32 v[15:16], v[25:26], v[33:34]
	v_cmp_eq_u32_e32 vcc_lo, 31, v0
	s_delay_alu instid0(VALU_DEP_3)
	v_lshlrev_b32_e32 v30, 2, v21
	ds_bpermute_b32 v21, v30, v9
	ds_bpermute_b32 v22, v30, v10
	;; [unrolled: 1-line block ×12, first 2 shown]
	s_and_b32 exec_lo, exec_lo, vcc_lo
	s_cbranch_execz .LBB58_8
; %bb.26:
	s_wait_dscnt 0x6
	v_add_f64_e32 v[23:24], v[23:24], v[33:34]
	v_add_f64_e32 v[19:20], v[19:20], v[31:32]
	s_wait_dscnt 0x0
	v_add_f64_e32 v[15:16], v[15:16], v[29:30]
	v_add_f64_e32 v[9:10], v[9:10], v[21:22]
	;; [unrolled: 1-line block ×4, first 2 shown]
	v_cmp_eq_f64_e32 vcc_lo, 0, v[1:2]
	v_cmp_eq_f64_e64 s2, 0, v[3:4]
	s_load_b64 s[0:1], s[0:1], 0x68
	v_mul_f64_e64 v[13:14], v[23:24], -v[7:8]
	v_mul_f64_e32 v[23:24], v[5:6], v[23:24]
	v_mul_f64_e64 v[25:26], v[19:20], -v[7:8]
	v_mul_f64_e32 v[19:20], v[5:6], v[19:20]
	;; [unrolled: 2-line block ×3, first 2 shown]
	s_and_b32 s2, vcc_lo, s2
	v_fma_f64 v[13:14], v[5:6], v[9:10], v[13:14]
	v_fma_f64 v[15:16], v[7:8], v[9:10], v[23:24]
	;; [unrolled: 1-line block ×6, first 2 shown]
	s_wait_alu 0xfffe
	s_and_saveexec_b32 s3, s2
	s_wait_alu 0xfffe
	s_xor_b32 s2, exec_lo, s3
	s_cbranch_execz .LBB58_28
; %bb.27:
	s_wait_kmcnt 0x0
	v_mad_co_u64_u32 v[0:1], null, v17, 48, s[0:1]
	s_delay_alu instid0(VALU_DEP_1)
	v_mad_co_u64_u32 v[1:2], null, v18, 48, v[1:2]
                                        ; implicit-def: $vgpr17_vgpr18
	s_clause 0x2
	global_store_b128 v[0:1], v[13:16], off
	global_store_b128 v[0:1], v[9:12], off offset:16
	global_store_b128 v[0:1], v[5:8], off offset:32
                                        ; implicit-def: $vgpr3_vgpr4
                                        ; implicit-def: $vgpr13_vgpr14
                                        ; implicit-def: $vgpr9_vgpr10
                                        ; implicit-def: $vgpr5_vgpr6
.LBB58_28:
	s_wait_alu 0xfffe
	s_and_not1_saveexec_b32 s2, s2
	s_cbranch_execz .LBB58_8
; %bb.29:
	s_wait_kmcnt 0x0
	v_mad_co_u64_u32 v[29:30], null, v17, 48, s[0:1]
	s_delay_alu instid0(VALU_DEP_1) | instskip(NEXT) | instid1(VALU_DEP_1)
	v_mov_b32_e32 v0, v30
	v_mad_co_u64_u32 v[17:18], null, v18, 48, v[0:1]
	s_delay_alu instid0(VALU_DEP_1)
	v_mov_b32_e32 v30, v17
	s_clause 0x2
	global_load_b128 v[17:20], v[29:30], off
	global_load_b128 v[21:24], v[29:30], off offset:16
	global_load_b128 v[25:28], v[29:30], off offset:32
	s_wait_loadcnt 0x2
	v_fma_f64 v[13:14], v[1:2], v[17:18], v[13:14]
	v_fma_f64 v[15:16], v[3:4], v[17:18], v[15:16]
	s_wait_loadcnt 0x1
	v_fma_f64 v[9:10], v[1:2], v[21:22], v[9:10]
	v_fma_f64 v[11:12], v[3:4], v[21:22], v[11:12]
	;; [unrolled: 3-line block ×3, first 2 shown]
	v_fma_f64 v[5:6], -v[3:4], v[19:20], v[13:14]
	v_fma_f64 v[7:8], v[1:2], v[19:20], v[15:16]
	v_fma_f64 v[9:10], -v[3:4], v[23:24], v[9:10]
	v_fma_f64 v[11:12], v[1:2], v[23:24], v[11:12]
	;; [unrolled: 2-line block ×3, first 2 shown]
	s_clause 0x2
	global_store_b128 v[29:30], v[5:8], off
	global_store_b128 v[29:30], v[9:12], off offset:16
	global_store_b128 v[29:30], v[13:16], off offset:32
	s_endpgm
	.section	.rodata,"a",@progbits
	.p2align	6, 0x0
	.amdhsa_kernel _ZN9rocsparseL18bsrxmvn_3x3_kernelILj256ELj32E21rocsparse_complex_numIdEllS2_S2_S2_EEvT3_20rocsparse_direction_NS_24const_host_device_scalarIT1_EES3_PKS3_PKT2_SC_S9_PKT4_PKT5_S7_PT6_21rocsparse_index_base_b
		.amdhsa_group_segment_fixed_size 0
		.amdhsa_private_segment_fixed_size 0
		.amdhsa_kernarg_size 120
		.amdhsa_user_sgpr_count 2
		.amdhsa_user_sgpr_dispatch_ptr 0
		.amdhsa_user_sgpr_queue_ptr 0
		.amdhsa_user_sgpr_kernarg_segment_ptr 1
		.amdhsa_user_sgpr_dispatch_id 0
		.amdhsa_user_sgpr_private_segment_size 0
		.amdhsa_wavefront_size32 1
		.amdhsa_uses_dynamic_stack 0
		.amdhsa_enable_private_segment 0
		.amdhsa_system_sgpr_workgroup_id_x 1
		.amdhsa_system_sgpr_workgroup_id_y 0
		.amdhsa_system_sgpr_workgroup_id_z 0
		.amdhsa_system_sgpr_workgroup_info 0
		.amdhsa_system_vgpr_workitem_id 0
		.amdhsa_next_free_vgpr 85
		.amdhsa_next_free_sgpr 12
		.amdhsa_reserve_vcc 1
		.amdhsa_float_round_mode_32 0
		.amdhsa_float_round_mode_16_64 0
		.amdhsa_float_denorm_mode_32 3
		.amdhsa_float_denorm_mode_16_64 3
		.amdhsa_fp16_overflow 0
		.amdhsa_workgroup_processor_mode 1
		.amdhsa_memory_ordered 1
		.amdhsa_forward_progress 1
		.amdhsa_inst_pref_size 28
		.amdhsa_round_robin_scheduling 0
		.amdhsa_exception_fp_ieee_invalid_op 0
		.amdhsa_exception_fp_denorm_src 0
		.amdhsa_exception_fp_ieee_div_zero 0
		.amdhsa_exception_fp_ieee_overflow 0
		.amdhsa_exception_fp_ieee_underflow 0
		.amdhsa_exception_fp_ieee_inexact 0
		.amdhsa_exception_int_div_zero 0
	.end_amdhsa_kernel
	.section	.text._ZN9rocsparseL18bsrxmvn_3x3_kernelILj256ELj32E21rocsparse_complex_numIdEllS2_S2_S2_EEvT3_20rocsparse_direction_NS_24const_host_device_scalarIT1_EES3_PKS3_PKT2_SC_S9_PKT4_PKT5_S7_PT6_21rocsparse_index_base_b,"axG",@progbits,_ZN9rocsparseL18bsrxmvn_3x3_kernelILj256ELj32E21rocsparse_complex_numIdEllS2_S2_S2_EEvT3_20rocsparse_direction_NS_24const_host_device_scalarIT1_EES3_PKS3_PKT2_SC_S9_PKT4_PKT5_S7_PT6_21rocsparse_index_base_b,comdat
.Lfunc_end58:
	.size	_ZN9rocsparseL18bsrxmvn_3x3_kernelILj256ELj32E21rocsparse_complex_numIdEllS2_S2_S2_EEvT3_20rocsparse_direction_NS_24const_host_device_scalarIT1_EES3_PKS3_PKT2_SC_S9_PKT4_PKT5_S7_PT6_21rocsparse_index_base_b, .Lfunc_end58-_ZN9rocsparseL18bsrxmvn_3x3_kernelILj256ELj32E21rocsparse_complex_numIdEllS2_S2_S2_EEvT3_20rocsparse_direction_NS_24const_host_device_scalarIT1_EES3_PKS3_PKT2_SC_S9_PKT4_PKT5_S7_PT6_21rocsparse_index_base_b
                                        ; -- End function
	.set _ZN9rocsparseL18bsrxmvn_3x3_kernelILj256ELj32E21rocsparse_complex_numIdEllS2_S2_S2_EEvT3_20rocsparse_direction_NS_24const_host_device_scalarIT1_EES3_PKS3_PKT2_SC_S9_PKT4_PKT5_S7_PT6_21rocsparse_index_base_b.num_vgpr, 85
	.set _ZN9rocsparseL18bsrxmvn_3x3_kernelILj256ELj32E21rocsparse_complex_numIdEllS2_S2_S2_EEvT3_20rocsparse_direction_NS_24const_host_device_scalarIT1_EES3_PKS3_PKT2_SC_S9_PKT4_PKT5_S7_PT6_21rocsparse_index_base_b.num_agpr, 0
	.set _ZN9rocsparseL18bsrxmvn_3x3_kernelILj256ELj32E21rocsparse_complex_numIdEllS2_S2_S2_EEvT3_20rocsparse_direction_NS_24const_host_device_scalarIT1_EES3_PKS3_PKT2_SC_S9_PKT4_PKT5_S7_PT6_21rocsparse_index_base_b.numbered_sgpr, 12
	.set _ZN9rocsparseL18bsrxmvn_3x3_kernelILj256ELj32E21rocsparse_complex_numIdEllS2_S2_S2_EEvT3_20rocsparse_direction_NS_24const_host_device_scalarIT1_EES3_PKS3_PKT2_SC_S9_PKT4_PKT5_S7_PT6_21rocsparse_index_base_b.num_named_barrier, 0
	.set _ZN9rocsparseL18bsrxmvn_3x3_kernelILj256ELj32E21rocsparse_complex_numIdEllS2_S2_S2_EEvT3_20rocsparse_direction_NS_24const_host_device_scalarIT1_EES3_PKS3_PKT2_SC_S9_PKT4_PKT5_S7_PT6_21rocsparse_index_base_b.private_seg_size, 0
	.set _ZN9rocsparseL18bsrxmvn_3x3_kernelILj256ELj32E21rocsparse_complex_numIdEllS2_S2_S2_EEvT3_20rocsparse_direction_NS_24const_host_device_scalarIT1_EES3_PKS3_PKT2_SC_S9_PKT4_PKT5_S7_PT6_21rocsparse_index_base_b.uses_vcc, 1
	.set _ZN9rocsparseL18bsrxmvn_3x3_kernelILj256ELj32E21rocsparse_complex_numIdEllS2_S2_S2_EEvT3_20rocsparse_direction_NS_24const_host_device_scalarIT1_EES3_PKS3_PKT2_SC_S9_PKT4_PKT5_S7_PT6_21rocsparse_index_base_b.uses_flat_scratch, 0
	.set _ZN9rocsparseL18bsrxmvn_3x3_kernelILj256ELj32E21rocsparse_complex_numIdEllS2_S2_S2_EEvT3_20rocsparse_direction_NS_24const_host_device_scalarIT1_EES3_PKS3_PKT2_SC_S9_PKT4_PKT5_S7_PT6_21rocsparse_index_base_b.has_dyn_sized_stack, 0
	.set _ZN9rocsparseL18bsrxmvn_3x3_kernelILj256ELj32E21rocsparse_complex_numIdEllS2_S2_S2_EEvT3_20rocsparse_direction_NS_24const_host_device_scalarIT1_EES3_PKS3_PKT2_SC_S9_PKT4_PKT5_S7_PT6_21rocsparse_index_base_b.has_recursion, 0
	.set _ZN9rocsparseL18bsrxmvn_3x3_kernelILj256ELj32E21rocsparse_complex_numIdEllS2_S2_S2_EEvT3_20rocsparse_direction_NS_24const_host_device_scalarIT1_EES3_PKS3_PKT2_SC_S9_PKT4_PKT5_S7_PT6_21rocsparse_index_base_b.has_indirect_call, 0
	.section	.AMDGPU.csdata,"",@progbits
; Kernel info:
; codeLenInByte = 3584
; TotalNumSgprs: 14
; NumVgprs: 85
; ScratchSize: 0
; MemoryBound: 1
; FloatMode: 240
; IeeeMode: 1
; LDSByteSize: 0 bytes/workgroup (compile time only)
; SGPRBlocks: 0
; VGPRBlocks: 10
; NumSGPRsForWavesPerEU: 14
; NumVGPRsForWavesPerEU: 85
; Occupancy: 16
; WaveLimiterHint : 1
; COMPUTE_PGM_RSRC2:SCRATCH_EN: 0
; COMPUTE_PGM_RSRC2:USER_SGPR: 2
; COMPUTE_PGM_RSRC2:TRAP_HANDLER: 0
; COMPUTE_PGM_RSRC2:TGID_X_EN: 1
; COMPUTE_PGM_RSRC2:TGID_Y_EN: 0
; COMPUTE_PGM_RSRC2:TGID_Z_EN: 0
; COMPUTE_PGM_RSRC2:TIDIG_COMP_CNT: 0
	.section	.text._ZN9rocsparseL18bsrxmvn_3x3_kernelILj256ELj64E21rocsparse_complex_numIdEllS2_S2_S2_EEvT3_20rocsparse_direction_NS_24const_host_device_scalarIT1_EES3_PKS3_PKT2_SC_S9_PKT4_PKT5_S7_PT6_21rocsparse_index_base_b,"axG",@progbits,_ZN9rocsparseL18bsrxmvn_3x3_kernelILj256ELj64E21rocsparse_complex_numIdEllS2_S2_S2_EEvT3_20rocsparse_direction_NS_24const_host_device_scalarIT1_EES3_PKS3_PKT2_SC_S9_PKT4_PKT5_S7_PT6_21rocsparse_index_base_b,comdat
	.globl	_ZN9rocsparseL18bsrxmvn_3x3_kernelILj256ELj64E21rocsparse_complex_numIdEllS2_S2_S2_EEvT3_20rocsparse_direction_NS_24const_host_device_scalarIT1_EES3_PKS3_PKT2_SC_S9_PKT4_PKT5_S7_PT6_21rocsparse_index_base_b ; -- Begin function _ZN9rocsparseL18bsrxmvn_3x3_kernelILj256ELj64E21rocsparse_complex_numIdEllS2_S2_S2_EEvT3_20rocsparse_direction_NS_24const_host_device_scalarIT1_EES3_PKS3_PKT2_SC_S9_PKT4_PKT5_S7_PT6_21rocsparse_index_base_b
	.p2align	8
	.type	_ZN9rocsparseL18bsrxmvn_3x3_kernelILj256ELj64E21rocsparse_complex_numIdEllS2_S2_S2_EEvT3_20rocsparse_direction_NS_24const_host_device_scalarIT1_EES3_PKS3_PKT2_SC_S9_PKT4_PKT5_S7_PT6_21rocsparse_index_base_b,@function
_ZN9rocsparseL18bsrxmvn_3x3_kernelILj256ELj64E21rocsparse_complex_numIdEllS2_S2_S2_EEvT3_20rocsparse_direction_NS_24const_host_device_scalarIT1_EES3_PKS3_PKT2_SC_S9_PKT4_PKT5_S7_PT6_21rocsparse_index_base_b: ; @_ZN9rocsparseL18bsrxmvn_3x3_kernelILj256ELj64E21rocsparse_complex_numIdEllS2_S2_S2_EEvT3_20rocsparse_direction_NS_24const_host_device_scalarIT1_EES3_PKS3_PKT2_SC_S9_PKT4_PKT5_S7_PT6_21rocsparse_index_base_b
; %bb.0:
	s_clause 0x1
	s_load_b64 s[4:5], s[0:1], 0x70
	s_load_b64 s[2:3], s[0:1], 0x10
	s_add_nc_u64 s[6:7], s[0:1], 16
	s_load_b64 s[8:9], s[0:1], 0x58
	s_wait_kmcnt 0x0
	s_bitcmp1_b32 s5, 0
	s_cselect_b32 s2, s6, s2
	s_cselect_b32 s3, s7, s3
	s_delay_alu instid0(SALU_CYCLE_1)
	v_dual_mov_b32 v1, s2 :: v_dual_mov_b32 v2, s3
	s_add_nc_u64 s[2:3], s[0:1], 0x58
	s_wait_alu 0xfffe
	s_cselect_b32 s2, s2, s8
	s_cselect_b32 s3, s3, s9
	flat_load_b128 v[5:8], v[1:2]
	s_wait_alu 0xfffe
	v_dual_mov_b32 v1, s2 :: v_dual_mov_b32 v2, s3
	flat_load_b128 v[1:4], v[1:2]
	s_wait_loadcnt_dscnt 0x101
	v_cmp_eq_f64_e32 vcc_lo, 0, v[5:6]
	v_cmp_eq_f64_e64 s2, 0, v[7:8]
	s_and_b32 s5, vcc_lo, s2
	s_mov_b32 s2, -1
	s_and_saveexec_b32 s3, s5
	s_cbranch_execz .LBB59_2
; %bb.1:
	s_wait_loadcnt_dscnt 0x0
	v_cmp_neq_f64_e32 vcc_lo, 1.0, v[1:2]
	v_cmp_neq_f64_e64 s2, 0, v[3:4]
	s_wait_alu 0xfffe
	s_or_b32 s2, vcc_lo, s2
	s_wait_alu 0xfffe
	s_or_not1_b32 s2, s2, exec_lo
.LBB59_2:
	s_wait_alu 0xfffe
	s_or_b32 exec_lo, exec_lo, s3
	s_and_saveexec_b32 s3, s2
	s_cbranch_execz .LBB59_8
; %bb.3:
	s_load_b64 s[2:3], s[0:1], 0x28
	v_lshrrev_b32_e32 v9, 6, v0
	v_mov_b32_e32 v12, 0
	s_delay_alu instid0(VALU_DEP_2)
	v_lshl_or_b32 v11, ttmp9, 2, v9
	s_wait_kmcnt 0x0
	s_cmp_lg_u64 s[2:3], 0
	s_cbranch_scc0 .LBB59_9
; %bb.4:
	s_load_b64 s[6:7], s[0:1], 0x20
                                        ; implicit-def: $vgpr17_vgpr18
                                        ; implicit-def: $vgpr9_vgpr10
	s_wait_kmcnt 0x0
	v_cmp_gt_i64_e32 vcc_lo, s[6:7], v[11:12]
	s_mov_b32 s7, 0
	s_mov_b32 s6, 0
	s_and_saveexec_b32 s5, vcc_lo
	s_delay_alu instid0(SALU_CYCLE_1)
	s_xor_b32 s8, exec_lo, s5
	s_cbranch_execz .LBB59_6
; %bb.5:
	v_lshlrev_b64_e32 v[9:10], 3, v[11:12]
	s_mov_b32 s5, 0
	s_mov_b32 s6, exec_lo
	s_delay_alu instid0(VALU_DEP_1) | instskip(NEXT) | instid1(VALU_DEP_1)
	v_add_co_u32 v9, vcc_lo, s2, v9
	v_add_co_ci_u32_e64 v10, null, s3, v10, vcc_lo
	global_load_b64 v[9:10], v[9:10], off
	s_wait_loadcnt 0x0
	v_sub_co_u32 v17, vcc_lo, v9, s4
	s_wait_alu 0xfffd
	v_subrev_co_ci_u32_e64 v18, null, 0, v10, vcc_lo
	v_dual_mov_b32 v10, s5 :: v_dual_mov_b32 v9, s4
.LBB59_6:
	s_or_b32 exec_lo, exec_lo, s8
	s_wait_alu 0xfffe
	s_and_b32 vcc_lo, exec_lo, s7
	s_wait_alu 0xfffe
	s_cbranch_vccnz .LBB59_10
.LBB59_7:
	s_and_b32 exec_lo, exec_lo, s6
	s_cbranch_execnz .LBB59_13
.LBB59_8:
	s_endpgm
.LBB59_9:
	s_mov_b32 s6, 0
                                        ; implicit-def: $vgpr17_vgpr18
                                        ; implicit-def: $vgpr9_vgpr10
	s_cbranch_execz .LBB59_7
.LBB59_10:
	s_load_b64 s[2:3], s[0:1], 0x0
	s_wait_kmcnt 0x0
	v_cmp_gt_i64_e32 vcc_lo, s[2:3], v[11:12]
	s_and_saveexec_b32 s2, vcc_lo
; %bb.11:
	s_mov_b32 s5, 0
	s_or_b32 s6, s6, exec_lo
; %bb.12:
	s_wait_alu 0xfffe
	s_or_b32 exec_lo, exec_lo, s2
	v_dual_mov_b32 v10, s5 :: v_dual_mov_b32 v9, s4
	v_dual_mov_b32 v18, v12 :: v_dual_mov_b32 v17, v11
	s_and_b32 exec_lo, exec_lo, s6
	s_cbranch_execz .LBB59_8
.LBB59_13:
	s_load_b256 s[4:11], s[0:1], 0x30
	s_delay_alu instid0(VALU_DEP_1) | instskip(SKIP_2) | instid1(VALU_DEP_2)
	v_lshlrev_b64_e32 v[11:12], 3, v[17:18]
	v_and_b32_e32 v0, 63, v0
	s_wait_kmcnt 0x0
	v_add_co_u32 v13, vcc_lo, s4, v11
	s_wait_alu 0xfffd
	s_delay_alu instid0(VALU_DEP_3)
	v_add_co_ci_u32_e64 v14, null, s5, v12, vcc_lo
	v_add_co_u32 v11, vcc_lo, s6, v11
	s_wait_alu 0xfffd
	v_add_co_ci_u32_e64 v12, null, s7, v12, vcc_lo
	global_load_b64 v[15:16], v[13:14], off
	v_add_co_u32 v13, vcc_lo, v13, 8
	s_wait_alu 0xfffd
	v_add_co_ci_u32_e64 v14, null, 0, v14, vcc_lo
	s_cmp_eq_u64 s[6:7], 0
	s_cselect_b32 vcc_lo, -1, 0
	s_wait_alu 0xfffe
	v_dual_cndmask_b32 v12, v12, v14 :: v_dual_cndmask_b32 v11, v11, v13
	global_load_b64 v[11:12], v[11:12], off
	s_clause 0x1
	s_load_b32 s3, s[0:1], 0x8
	s_load_b64 s[4:5], s[0:1], 0x50
	s_wait_kmcnt 0x0
	s_cmp_eq_u32 s3, 1
	s_wait_loadcnt 0x1
	v_sub_co_u32 v13, vcc_lo, v15, v9
	s_wait_alu 0xfffd
	v_sub_co_ci_u32_e64 v14, null, v16, v10, vcc_lo
	s_delay_alu instid0(VALU_DEP_2) | instskip(SKIP_1) | instid1(VALU_DEP_2)
	v_add_co_u32 v25, vcc_lo, v13, v0
	s_wait_alu 0xfffd
	v_add_co_ci_u32_e64 v26, null, 0, v14, vcc_lo
	s_delay_alu instid0(VALU_DEP_2) | instskip(SKIP_4) | instid1(VALU_DEP_3)
	v_mad_co_u64_u32 v[27:28], null, 0x90, v25, s[10:11]
	s_wait_loadcnt 0x0
	v_sub_co_u32 v29, vcc_lo, v11, v9
	s_wait_alu 0xfffd
	v_sub_co_ci_u32_e64 v30, null, v12, v10, vcc_lo
	v_mov_b32_e32 v13, v28
	s_delay_alu instid0(VALU_DEP_2) | instskip(NEXT) | instid1(VALU_DEP_2)
	v_cmp_lt_i64_e64 s2, v[25:26], v[29:30]
	v_mad_co_u64_u32 v[13:14], null, 0x90, v26, v[13:14]
	s_delay_alu instid0(VALU_DEP_1)
	v_mov_b32_e32 v28, v13
	s_cbranch_scc1 .LBB59_19
; %bb.14:
	v_mov_b32_e32 v11, 0
	v_mov_b32_e32 v15, 0
	v_dual_mov_b32 v21, 0 :: v_dual_mov_b32 v12, 0
	v_dual_mov_b32 v13, 0 :: v_dual_mov_b32 v16, 0
	;; [unrolled: 1-line block ×4, first 2 shown]
	v_mov_b32_e32 v20, 0
	v_mov_b32_e32 v24, 0
	s_and_saveexec_b32 s6, s2
	s_cbranch_execz .LBB59_18
; %bb.15:
	v_lshlrev_b64_e32 v[13:14], 3, v[25:26]
	v_mov_b32_e32 v19, 0
	v_dual_mov_b32 v11, 0 :: v_dual_mov_b32 v32, v26
	v_dual_mov_b32 v20, 0 :: v_dual_mov_b32 v21, 0
	s_delay_alu instid0(VALU_DEP_4)
	v_add_co_u32 v33, vcc_lo, s8, v13
	s_wait_alu 0xfffd
	v_add_co_ci_u32_e64 v34, null, s9, v14, vcc_lo
	v_mov_b32_e32 v13, 0
	v_dual_mov_b32 v14, 0 :: v_dual_mov_b32 v15, 0
	v_dual_mov_b32 v23, 0 :: v_dual_mov_b32 v36, v28
	;; [unrolled: 1-line block ×3, first 2 shown]
	v_mov_b32_e32 v16, 0
	v_mov_b32_e32 v22, 0
	v_dual_mov_b32 v24, 0 :: v_dual_mov_b32 v35, v27
	s_mov_b32 s7, 0
.LBB59_16:                              ; =>This Inner Loop Header: Depth=1
	global_load_b64 v[41:42], v[33:34], off
	global_load_b128 v[37:40], v[35:36], off offset:48
	v_add_co_u32 v33, s3, 0x200, v33
	s_wait_alu 0xf1ff
	v_add_co_ci_u32_e64 v34, null, 0, v34, s3
	s_wait_loadcnt 0x1
	v_sub_co_u32 v41, vcc_lo, v41, v9
	s_wait_alu 0xfffd
	v_sub_co_ci_u32_e64 v50, null, v42, v10, vcc_lo
	v_add_co_u32 v31, vcc_lo, v31, 64
	s_delay_alu instid0(VALU_DEP_3)
	v_mad_co_u64_u32 v[81:82], null, v41, 48, s[4:5]
	s_clause 0x1
	global_load_b128 v[41:44], v[35:36], off offset:16
	global_load_b128 v[45:48], v[35:36], off
	s_wait_alu 0xfffd
	v_add_co_ci_u32_e64 v32, null, 0, v32, vcc_lo
	v_mov_b32_e32 v49, v82
	s_delay_alu instid0(VALU_DEP_1)
	v_mad_co_u64_u32 v[57:58], null, v50, 48, v[49:50]
	s_clause 0x1
	global_load_b128 v[49:52], v[35:36], off offset:112
	global_load_b128 v[53:56], v[35:36], off offset:96
	v_mov_b32_e32 v82, v57
	s_clause 0x1
	global_load_b128 v[57:60], v[81:82], off
	global_load_b128 v[61:64], v[81:82], off offset:16
	s_clause 0x3
	global_load_b128 v[65:68], v[35:36], off offset:64
	global_load_b128 v[69:72], v[35:36], off offset:80
	;; [unrolled: 1-line block ×5, first 2 shown]
	v_add_co_u32 v35, vcc_lo, 0x2400, v35
	s_wait_alu 0xfffd
	v_add_co_ci_u32_e64 v36, null, 0, v36, vcc_lo
	v_cmp_ge_i64_e32 vcc_lo, v[31:32], v[29:30]
	s_wait_alu 0xfffe
	s_or_b32 s7, vcc_lo, s7
	s_wait_loadcnt 0x6
	v_fma_f64 v[13:14], v[45:46], v[57:58], v[13:14]
	v_fma_f64 v[11:12], v[47:48], v[57:58], v[11:12]
	;; [unrolled: 1-line block ×6, first 2 shown]
	v_fma_f64 v[13:14], -v[47:48], v[59:60], v[13:14]
	v_fma_f64 v[11:12], v[45:46], v[59:60], v[11:12]
	v_fma_f64 v[21:22], -v[39:40], v[59:60], v[21:22]
	v_fma_f64 v[23:24], v[37:38], v[59:60], v[23:24]
	;; [unrolled: 2-line block ×3, first 2 shown]
	s_wait_loadcnt 0x5
	v_fma_f64 v[13:14], v[41:42], v[61:62], v[13:14]
	v_fma_f64 v[11:12], v[43:44], v[61:62], v[11:12]
	s_wait_loadcnt 0x4
	v_fma_f64 v[21:22], v[65:66], v[61:62], v[21:22]
	v_fma_f64 v[23:24], v[67:68], v[61:62], v[23:24]
	;; [unrolled: 1-line block ×4, first 2 shown]
	v_fma_f64 v[13:14], -v[43:44], v[63:64], v[13:14]
	v_fma_f64 v[11:12], v[41:42], v[63:64], v[11:12]
	v_fma_f64 v[21:22], -v[67:68], v[63:64], v[21:22]
	v_fma_f64 v[23:24], v[65:66], v[63:64], v[23:24]
	v_fma_f64 v[15:16], -v[51:52], v[63:64], v[15:16]
	v_fma_f64 v[19:20], v[49:50], v[63:64], v[19:20]
	s_wait_loadcnt 0x0
	v_fma_f64 v[13:14], v[73:74], v[81:82], v[13:14]
	v_fma_f64 v[11:12], v[75:76], v[81:82], v[11:12]
	;; [unrolled: 1-line block ×6, first 2 shown]
	v_fma_f64 v[13:14], -v[75:76], v[83:84], v[13:14]
	v_fma_f64 v[11:12], v[73:74], v[83:84], v[11:12]
	v_fma_f64 v[21:22], -v[71:72], v[83:84], v[21:22]
	v_fma_f64 v[23:24], v[69:70], v[83:84], v[23:24]
	;; [unrolled: 2-line block ×3, first 2 shown]
	s_wait_alu 0xfffe
	s_and_not1_b32 exec_lo, exec_lo, s7
	s_cbranch_execnz .LBB59_16
; %bb.17:
	s_or_b32 exec_lo, exec_lo, s7
.LBB59_18:
	s_wait_alu 0xfffe
	s_or_b32 exec_lo, exec_lo, s6
	s_cbranch_execz .LBB59_20
	s_branch .LBB59_25
.LBB59_19:
                                        ; implicit-def: $vgpr11_vgpr12
                                        ; implicit-def: $vgpr13_vgpr14
                                        ; implicit-def: $vgpr15_vgpr16
                                        ; implicit-def: $vgpr19_vgpr20
                                        ; implicit-def: $vgpr21_vgpr22
                                        ; implicit-def: $vgpr23_vgpr24
.LBB59_20:
	v_mov_b32_e32 v11, 0
	v_mov_b32_e32 v15, 0
	v_dual_mov_b32 v21, 0 :: v_dual_mov_b32 v12, 0
	v_dual_mov_b32 v13, 0 :: v_dual_mov_b32 v16, 0
	;; [unrolled: 1-line block ×4, first 2 shown]
	v_mov_b32_e32 v20, 0
	v_mov_b32_e32 v24, 0
	s_and_saveexec_b32 s3, s2
	s_cbranch_execz .LBB59_24
; %bb.21:
	v_lshlrev_b64_e32 v[31:32], 3, v[25:26]
	v_mov_b32_e32 v11, 0
	v_mov_b32_e32 v15, 0
	v_dual_mov_b32 v21, 0 :: v_dual_mov_b32 v12, 0
	v_mov_b32_e32 v13, 0
	v_add_co_u32 v31, vcc_lo, s8, v31
	v_dual_mov_b32 v16, 0 :: v_dual_mov_b32 v19, 0
	v_dual_mov_b32 v22, 0 :: v_dual_mov_b32 v23, 0
	v_mov_b32_e32 v14, 0
	v_mov_b32_e32 v20, 0
	;; [unrolled: 1-line block ×3, first 2 shown]
	s_wait_alu 0xfffd
	v_add_co_ci_u32_e64 v32, null, s9, v32, vcc_lo
	s_mov_b32 s6, 0
.LBB59_22:                              ; =>This Inner Loop Header: Depth=1
	global_load_b64 v[33:34], v[31:32], off
	v_add_co_u32 v31, s2, 0x200, v31
	s_wait_alu 0xf1ff
	v_add_co_ci_u32_e64 v32, null, 0, v32, s2
	s_wait_loadcnt 0x0
	v_sub_co_u32 v33, vcc_lo, v33, v9
	s_wait_alu 0xfffd
	v_sub_co_ci_u32_e64 v42, null, v34, v10, vcc_lo
	v_add_co_u32 v25, vcc_lo, v25, 64
	s_delay_alu instid0(VALU_DEP_3)
	v_mad_co_u64_u32 v[77:78], null, v33, 48, s[4:5]
	s_clause 0x1
	global_load_b128 v[33:36], v[27:28], off offset:48
	global_load_b128 v[37:40], v[27:28], off offset:32
	s_wait_alu 0xfffd
	v_add_co_ci_u32_e64 v26, null, 0, v26, vcc_lo
	v_mov_b32_e32 v41, v78
	s_delay_alu instid0(VALU_DEP_1)
	v_mad_co_u64_u32 v[49:50], null, v42, 48, v[41:42]
	s_clause 0x1
	global_load_b128 v[41:44], v[27:28], off offset:16
	global_load_b128 v[45:48], v[27:28], off
	v_mov_b32_e32 v78, v49
	s_clause 0x1
	global_load_b128 v[49:52], v[77:78], off
	global_load_b128 v[53:56], v[77:78], off offset:16
	s_clause 0x4
	global_load_b128 v[57:60], v[27:28], off offset:64
	global_load_b128 v[61:64], v[27:28], off offset:80
	;; [unrolled: 1-line block ×6, first 2 shown]
	v_add_co_u32 v27, vcc_lo, 0x2400, v27
	s_wait_alu 0xfffd
	v_add_co_ci_u32_e64 v28, null, 0, v28, vcc_lo
	v_cmp_ge_i64_e32 vcc_lo, v[25:26], v[29:30]
	s_wait_alu 0xfffe
	s_or_b32 s6, vcc_lo, s6
	s_wait_loadcnt 0x7
	v_fma_f64 v[13:14], v[45:46], v[49:50], v[13:14]
	v_fma_f64 v[11:12], v[47:48], v[49:50], v[11:12]
	;; [unrolled: 1-line block ×6, first 2 shown]
	v_fma_f64 v[13:14], -v[47:48], v[51:52], v[13:14]
	v_fma_f64 v[11:12], v[45:46], v[51:52], v[11:12]
	v_fma_f64 v[21:22], -v[43:44], v[51:52], v[21:22]
	v_fma_f64 v[23:24], v[41:42], v[51:52], v[23:24]
	;; [unrolled: 2-line block ×3, first 2 shown]
	s_wait_loadcnt 0x6
	v_fma_f64 v[13:14], v[33:34], v[53:54], v[13:14]
	v_fma_f64 v[11:12], v[35:36], v[53:54], v[11:12]
	s_wait_loadcnt 0x5
	v_fma_f64 v[21:22], v[57:58], v[53:54], v[21:22]
	v_fma_f64 v[23:24], v[59:60], v[53:54], v[23:24]
	;; [unrolled: 3-line block ×3, first 2 shown]
	v_fma_f64 v[13:14], -v[35:36], v[55:56], v[13:14]
	v_fma_f64 v[11:12], v[33:34], v[55:56], v[11:12]
	v_fma_f64 v[21:22], -v[59:60], v[55:56], v[21:22]
	v_fma_f64 v[23:24], v[57:58], v[55:56], v[23:24]
	;; [unrolled: 2-line block ×3, first 2 shown]
	s_wait_loadcnt 0x0
	v_fma_f64 v[13:14], v[69:70], v[77:78], v[13:14]
	v_fma_f64 v[11:12], v[71:72], v[77:78], v[11:12]
	;; [unrolled: 1-line block ×6, first 2 shown]
	v_fma_f64 v[13:14], -v[71:72], v[79:80], v[13:14]
	v_fma_f64 v[11:12], v[69:70], v[79:80], v[11:12]
	v_fma_f64 v[21:22], -v[67:68], v[79:80], v[21:22]
	v_fma_f64 v[23:24], v[65:66], v[79:80], v[23:24]
	;; [unrolled: 2-line block ×3, first 2 shown]
	s_wait_alu 0xfffe
	s_and_not1_b32 exec_lo, exec_lo, s6
	s_cbranch_execnz .LBB59_22
; %bb.23:
	s_or_b32 exec_lo, exec_lo, s6
.LBB59_24:
	s_wait_alu 0xfffe
	s_or_b32 exec_lo, exec_lo, s3
.LBB59_25:
	v_mbcnt_lo_u32_b32 v35, -1, 0
	s_delay_alu instid0(VALU_DEP_1) | instskip(NEXT) | instid1(VALU_DEP_1)
	v_or_b32_e32 v9, 32, v35
	v_cmp_gt_i32_e32 vcc_lo, 32, v9
	s_wait_alu 0xfffd
	v_cndmask_b32_e32 v9, v35, v9, vcc_lo
	s_delay_alu instid0(VALU_DEP_1)
	v_lshlrev_b32_e32 v34, 2, v9
	ds_bpermute_b32 v9, v34, v13
	ds_bpermute_b32 v10, v34, v14
	ds_bpermute_b32 v27, v34, v21
	ds_bpermute_b32 v28, v34, v22
	ds_bpermute_b32 v29, v34, v23
	ds_bpermute_b32 v30, v34, v24
	s_wait_dscnt 0x4
	v_add_f64_e32 v[9:10], v[13:14], v[9:10]
	s_wait_dscnt 0x2
	v_add_f64_e32 v[13:14], v[21:22], v[27:28]
	;; [unrolled: 2-line block ×3, first 2 shown]
	v_xor_b32_e32 v23, 16, v35
	s_delay_alu instid0(VALU_DEP_1)
	v_cmp_gt_i32_e32 vcc_lo, 32, v23
	s_wait_alu 0xfffd
	v_cndmask_b32_e32 v23, v35, v23, vcc_lo
	ds_bpermute_b32 v25, v34, v11
	ds_bpermute_b32 v26, v34, v12
	;; [unrolled: 1-line block ×6, first 2 shown]
	s_wait_dscnt 0x4
	v_add_f64_e32 v[11:12], v[11:12], v[25:26]
	s_wait_dscnt 0x2
	v_add_f64_e32 v[15:16], v[15:16], v[31:32]
	;; [unrolled: 2-line block ×3, first 2 shown]
	v_lshlrev_b32_e32 v34, 2, v23
	ds_bpermute_b32 v23, v34, v9
	ds_bpermute_b32 v24, v34, v10
	;; [unrolled: 1-line block ×6, first 2 shown]
	s_wait_dscnt 0x4
	v_add_f64_e32 v[9:10], v[9:10], v[23:24]
	v_xor_b32_e32 v23, 8, v35
	s_wait_dscnt 0x2
	v_add_f64_e32 v[13:14], v[13:14], v[27:28]
	s_wait_dscnt 0x0
	v_add_f64_e32 v[21:22], v[21:22], v[29:30]
	v_cmp_gt_i32_e32 vcc_lo, 32, v23
	ds_bpermute_b32 v25, v34, v11
	ds_bpermute_b32 v26, v34, v12
	;; [unrolled: 1-line block ×6, first 2 shown]
	s_wait_alu 0xfffd
	v_cndmask_b32_e32 v23, v35, v23, vcc_lo
	s_wait_dscnt 0x4
	v_add_f64_e32 v[11:12], v[11:12], v[25:26]
	s_wait_dscnt 0x2
	v_add_f64_e32 v[15:16], v[15:16], v[31:32]
	;; [unrolled: 2-line block ×3, first 2 shown]
	v_lshlrev_b32_e32 v34, 2, v23
	ds_bpermute_b32 v23, v34, v9
	ds_bpermute_b32 v24, v34, v10
	;; [unrolled: 1-line block ×6, first 2 shown]
	s_wait_dscnt 0x4
	v_add_f64_e32 v[9:10], v[9:10], v[23:24]
	v_xor_b32_e32 v23, 4, v35
	s_wait_dscnt 0x2
	v_add_f64_e32 v[13:14], v[13:14], v[27:28]
	s_wait_dscnt 0x0
	v_add_f64_e32 v[21:22], v[21:22], v[29:30]
	v_cmp_gt_i32_e32 vcc_lo, 32, v23
	ds_bpermute_b32 v25, v34, v11
	ds_bpermute_b32 v26, v34, v12
	;; [unrolled: 1-line block ×6, first 2 shown]
	s_wait_alu 0xfffd
	v_cndmask_b32_e32 v23, v35, v23, vcc_lo
	s_wait_dscnt 0x4
	v_add_f64_e32 v[11:12], v[11:12], v[25:26]
	s_wait_dscnt 0x2
	v_add_f64_e32 v[15:16], v[15:16], v[31:32]
	;; [unrolled: 2-line block ×3, first 2 shown]
	v_lshlrev_b32_e32 v34, 2, v23
	ds_bpermute_b32 v23, v34, v9
	ds_bpermute_b32 v24, v34, v10
	;; [unrolled: 1-line block ×6, first 2 shown]
	s_wait_dscnt 0x4
	v_add_f64_e32 v[9:10], v[9:10], v[23:24]
	s_wait_dscnt 0x2
	v_add_f64_e32 v[13:14], v[13:14], v[27:28]
	;; [unrolled: 2-line block ×3, first 2 shown]
	ds_bpermute_b32 v25, v34, v11
	ds_bpermute_b32 v26, v34, v12
	;; [unrolled: 1-line block ×6, first 2 shown]
	s_wait_dscnt 0x4
	v_add_f64_e32 v[11:12], v[11:12], v[25:26]
	s_wait_dscnt 0x2
	v_add_f64_e32 v[15:16], v[15:16], v[31:32]
	;; [unrolled: 2-line block ×3, first 2 shown]
	v_xor_b32_e32 v19, 2, v35
	s_delay_alu instid0(VALU_DEP_1) | instskip(SKIP_2) | instid1(VALU_DEP_1)
	v_cmp_gt_i32_e32 vcc_lo, 32, v19
	s_wait_alu 0xfffd
	v_cndmask_b32_e32 v19, v35, v19, vcc_lo
	v_lshlrev_b32_e32 v34, 2, v19
	ds_bpermute_b32 v19, v34, v9
	ds_bpermute_b32 v20, v34, v10
	;; [unrolled: 1-line block ×12, first 2 shown]
	s_wait_dscnt 0xa
	v_add_f64_e32 v[9:10], v[9:10], v[19:20]
	s_wait_dscnt 0x6
	v_add_f64_e32 v[19:20], v[21:22], v[29:30]
	v_xor_b32_e32 v21, 1, v35
	s_delay_alu instid0(VALU_DEP_1)
	v_cmp_gt_i32_e32 vcc_lo, 32, v21
	s_wait_dscnt 0x4
	v_add_f64_e32 v[23:24], v[11:12], v[23:24]
	v_add_f64_e32 v[11:12], v[13:14], v[27:28]
	s_wait_dscnt 0x2
	v_add_f64_e32 v[13:14], v[15:16], v[31:32]
	s_wait_alu 0xfffd
	v_cndmask_b32_e32 v21, v35, v21, vcc_lo
	s_wait_dscnt 0x0
	v_add_f64_e32 v[15:16], v[25:26], v[33:34]
	v_cmp_eq_u32_e32 vcc_lo, 63, v0
	s_delay_alu instid0(VALU_DEP_3)
	v_lshlrev_b32_e32 v30, 2, v21
	ds_bpermute_b32 v21, v30, v9
	ds_bpermute_b32 v22, v30, v10
	;; [unrolled: 1-line block ×12, first 2 shown]
	s_and_b32 exec_lo, exec_lo, vcc_lo
	s_cbranch_execz .LBB59_8
; %bb.26:
	s_wait_dscnt 0x6
	v_add_f64_e32 v[23:24], v[23:24], v[33:34]
	v_add_f64_e32 v[19:20], v[19:20], v[31:32]
	s_wait_dscnt 0x0
	v_add_f64_e32 v[15:16], v[15:16], v[29:30]
	v_add_f64_e32 v[9:10], v[9:10], v[21:22]
	v_add_f64_e32 v[11:12], v[11:12], v[25:26]
	v_add_f64_e32 v[21:22], v[13:14], v[27:28]
	v_cmp_eq_f64_e32 vcc_lo, 0, v[1:2]
	v_cmp_eq_f64_e64 s2, 0, v[3:4]
	s_load_b64 s[0:1], s[0:1], 0x68
	v_mul_f64_e64 v[13:14], v[23:24], -v[7:8]
	v_mul_f64_e32 v[23:24], v[5:6], v[23:24]
	v_mul_f64_e64 v[25:26], v[19:20], -v[7:8]
	v_mul_f64_e32 v[19:20], v[5:6], v[19:20]
	;; [unrolled: 2-line block ×3, first 2 shown]
	s_and_b32 s2, vcc_lo, s2
	v_fma_f64 v[13:14], v[5:6], v[9:10], v[13:14]
	v_fma_f64 v[15:16], v[7:8], v[9:10], v[23:24]
	;; [unrolled: 1-line block ×6, first 2 shown]
	s_wait_alu 0xfffe
	s_and_saveexec_b32 s3, s2
	s_wait_alu 0xfffe
	s_xor_b32 s2, exec_lo, s3
	s_cbranch_execz .LBB59_28
; %bb.27:
	s_wait_kmcnt 0x0
	v_mad_co_u64_u32 v[0:1], null, v17, 48, s[0:1]
	s_delay_alu instid0(VALU_DEP_1)
	v_mad_co_u64_u32 v[1:2], null, v18, 48, v[1:2]
                                        ; implicit-def: $vgpr17_vgpr18
	s_clause 0x2
	global_store_b128 v[0:1], v[13:16], off
	global_store_b128 v[0:1], v[9:12], off offset:16
	global_store_b128 v[0:1], v[5:8], off offset:32
                                        ; implicit-def: $vgpr3_vgpr4
                                        ; implicit-def: $vgpr13_vgpr14
                                        ; implicit-def: $vgpr9_vgpr10
                                        ; implicit-def: $vgpr5_vgpr6
.LBB59_28:
	s_wait_alu 0xfffe
	s_and_not1_saveexec_b32 s2, s2
	s_cbranch_execz .LBB59_8
; %bb.29:
	s_wait_kmcnt 0x0
	v_mad_co_u64_u32 v[29:30], null, v17, 48, s[0:1]
	s_delay_alu instid0(VALU_DEP_1) | instskip(NEXT) | instid1(VALU_DEP_1)
	v_mov_b32_e32 v0, v30
	v_mad_co_u64_u32 v[17:18], null, v18, 48, v[0:1]
	s_delay_alu instid0(VALU_DEP_1)
	v_mov_b32_e32 v30, v17
	s_clause 0x2
	global_load_b128 v[17:20], v[29:30], off
	global_load_b128 v[21:24], v[29:30], off offset:16
	global_load_b128 v[25:28], v[29:30], off offset:32
	s_wait_loadcnt 0x2
	v_fma_f64 v[13:14], v[1:2], v[17:18], v[13:14]
	v_fma_f64 v[15:16], v[3:4], v[17:18], v[15:16]
	s_wait_loadcnt 0x1
	v_fma_f64 v[9:10], v[1:2], v[21:22], v[9:10]
	v_fma_f64 v[11:12], v[3:4], v[21:22], v[11:12]
	;; [unrolled: 3-line block ×3, first 2 shown]
	v_fma_f64 v[5:6], -v[3:4], v[19:20], v[13:14]
	v_fma_f64 v[7:8], v[1:2], v[19:20], v[15:16]
	v_fma_f64 v[9:10], -v[3:4], v[23:24], v[9:10]
	v_fma_f64 v[11:12], v[1:2], v[23:24], v[11:12]
	;; [unrolled: 2-line block ×3, first 2 shown]
	s_clause 0x2
	global_store_b128 v[29:30], v[5:8], off
	global_store_b128 v[29:30], v[9:12], off offset:16
	global_store_b128 v[29:30], v[13:16], off offset:32
	s_endpgm
	.section	.rodata,"a",@progbits
	.p2align	6, 0x0
	.amdhsa_kernel _ZN9rocsparseL18bsrxmvn_3x3_kernelILj256ELj64E21rocsparse_complex_numIdEllS2_S2_S2_EEvT3_20rocsparse_direction_NS_24const_host_device_scalarIT1_EES3_PKS3_PKT2_SC_S9_PKT4_PKT5_S7_PT6_21rocsparse_index_base_b
		.amdhsa_group_segment_fixed_size 0
		.amdhsa_private_segment_fixed_size 0
		.amdhsa_kernarg_size 120
		.amdhsa_user_sgpr_count 2
		.amdhsa_user_sgpr_dispatch_ptr 0
		.amdhsa_user_sgpr_queue_ptr 0
		.amdhsa_user_sgpr_kernarg_segment_ptr 1
		.amdhsa_user_sgpr_dispatch_id 0
		.amdhsa_user_sgpr_private_segment_size 0
		.amdhsa_wavefront_size32 1
		.amdhsa_uses_dynamic_stack 0
		.amdhsa_enable_private_segment 0
		.amdhsa_system_sgpr_workgroup_id_x 1
		.amdhsa_system_sgpr_workgroup_id_y 0
		.amdhsa_system_sgpr_workgroup_id_z 0
		.amdhsa_system_sgpr_workgroup_info 0
		.amdhsa_system_vgpr_workitem_id 0
		.amdhsa_next_free_vgpr 85
		.amdhsa_next_free_sgpr 12
		.amdhsa_reserve_vcc 1
		.amdhsa_float_round_mode_32 0
		.amdhsa_float_round_mode_16_64 0
		.amdhsa_float_denorm_mode_32 3
		.amdhsa_float_denorm_mode_16_64 3
		.amdhsa_fp16_overflow 0
		.amdhsa_workgroup_processor_mode 1
		.amdhsa_memory_ordered 1
		.amdhsa_forward_progress 1
		.amdhsa_inst_pref_size 30
		.amdhsa_round_robin_scheduling 0
		.amdhsa_exception_fp_ieee_invalid_op 0
		.amdhsa_exception_fp_denorm_src 0
		.amdhsa_exception_fp_ieee_div_zero 0
		.amdhsa_exception_fp_ieee_overflow 0
		.amdhsa_exception_fp_ieee_underflow 0
		.amdhsa_exception_fp_ieee_inexact 0
		.amdhsa_exception_int_div_zero 0
	.end_amdhsa_kernel
	.section	.text._ZN9rocsparseL18bsrxmvn_3x3_kernelILj256ELj64E21rocsparse_complex_numIdEllS2_S2_S2_EEvT3_20rocsparse_direction_NS_24const_host_device_scalarIT1_EES3_PKS3_PKT2_SC_S9_PKT4_PKT5_S7_PT6_21rocsparse_index_base_b,"axG",@progbits,_ZN9rocsparseL18bsrxmvn_3x3_kernelILj256ELj64E21rocsparse_complex_numIdEllS2_S2_S2_EEvT3_20rocsparse_direction_NS_24const_host_device_scalarIT1_EES3_PKS3_PKT2_SC_S9_PKT4_PKT5_S7_PT6_21rocsparse_index_base_b,comdat
.Lfunc_end59:
	.size	_ZN9rocsparseL18bsrxmvn_3x3_kernelILj256ELj64E21rocsparse_complex_numIdEllS2_S2_S2_EEvT3_20rocsparse_direction_NS_24const_host_device_scalarIT1_EES3_PKS3_PKT2_SC_S9_PKT4_PKT5_S7_PT6_21rocsparse_index_base_b, .Lfunc_end59-_ZN9rocsparseL18bsrxmvn_3x3_kernelILj256ELj64E21rocsparse_complex_numIdEllS2_S2_S2_EEvT3_20rocsparse_direction_NS_24const_host_device_scalarIT1_EES3_PKS3_PKT2_SC_S9_PKT4_PKT5_S7_PT6_21rocsparse_index_base_b
                                        ; -- End function
	.set _ZN9rocsparseL18bsrxmvn_3x3_kernelILj256ELj64E21rocsparse_complex_numIdEllS2_S2_S2_EEvT3_20rocsparse_direction_NS_24const_host_device_scalarIT1_EES3_PKS3_PKT2_SC_S9_PKT4_PKT5_S7_PT6_21rocsparse_index_base_b.num_vgpr, 85
	.set _ZN9rocsparseL18bsrxmvn_3x3_kernelILj256ELj64E21rocsparse_complex_numIdEllS2_S2_S2_EEvT3_20rocsparse_direction_NS_24const_host_device_scalarIT1_EES3_PKS3_PKT2_SC_S9_PKT4_PKT5_S7_PT6_21rocsparse_index_base_b.num_agpr, 0
	.set _ZN9rocsparseL18bsrxmvn_3x3_kernelILj256ELj64E21rocsparse_complex_numIdEllS2_S2_S2_EEvT3_20rocsparse_direction_NS_24const_host_device_scalarIT1_EES3_PKS3_PKT2_SC_S9_PKT4_PKT5_S7_PT6_21rocsparse_index_base_b.numbered_sgpr, 12
	.set _ZN9rocsparseL18bsrxmvn_3x3_kernelILj256ELj64E21rocsparse_complex_numIdEllS2_S2_S2_EEvT3_20rocsparse_direction_NS_24const_host_device_scalarIT1_EES3_PKS3_PKT2_SC_S9_PKT4_PKT5_S7_PT6_21rocsparse_index_base_b.num_named_barrier, 0
	.set _ZN9rocsparseL18bsrxmvn_3x3_kernelILj256ELj64E21rocsparse_complex_numIdEllS2_S2_S2_EEvT3_20rocsparse_direction_NS_24const_host_device_scalarIT1_EES3_PKS3_PKT2_SC_S9_PKT4_PKT5_S7_PT6_21rocsparse_index_base_b.private_seg_size, 0
	.set _ZN9rocsparseL18bsrxmvn_3x3_kernelILj256ELj64E21rocsparse_complex_numIdEllS2_S2_S2_EEvT3_20rocsparse_direction_NS_24const_host_device_scalarIT1_EES3_PKS3_PKT2_SC_S9_PKT4_PKT5_S7_PT6_21rocsparse_index_base_b.uses_vcc, 1
	.set _ZN9rocsparseL18bsrxmvn_3x3_kernelILj256ELj64E21rocsparse_complex_numIdEllS2_S2_S2_EEvT3_20rocsparse_direction_NS_24const_host_device_scalarIT1_EES3_PKS3_PKT2_SC_S9_PKT4_PKT5_S7_PT6_21rocsparse_index_base_b.uses_flat_scratch, 0
	.set _ZN9rocsparseL18bsrxmvn_3x3_kernelILj256ELj64E21rocsparse_complex_numIdEllS2_S2_S2_EEvT3_20rocsparse_direction_NS_24const_host_device_scalarIT1_EES3_PKS3_PKT2_SC_S9_PKT4_PKT5_S7_PT6_21rocsparse_index_base_b.has_dyn_sized_stack, 0
	.set _ZN9rocsparseL18bsrxmvn_3x3_kernelILj256ELj64E21rocsparse_complex_numIdEllS2_S2_S2_EEvT3_20rocsparse_direction_NS_24const_host_device_scalarIT1_EES3_PKS3_PKT2_SC_S9_PKT4_PKT5_S7_PT6_21rocsparse_index_base_b.has_recursion, 0
	.set _ZN9rocsparseL18bsrxmvn_3x3_kernelILj256ELj64E21rocsparse_complex_numIdEllS2_S2_S2_EEvT3_20rocsparse_direction_NS_24const_host_device_scalarIT1_EES3_PKS3_PKT2_SC_S9_PKT4_PKT5_S7_PT6_21rocsparse_index_base_b.has_indirect_call, 0
	.section	.AMDGPU.csdata,"",@progbits
; Kernel info:
; codeLenInByte = 3748
; TotalNumSgprs: 14
; NumVgprs: 85
; ScratchSize: 0
; MemoryBound: 1
; FloatMode: 240
; IeeeMode: 1
; LDSByteSize: 0 bytes/workgroup (compile time only)
; SGPRBlocks: 0
; VGPRBlocks: 10
; NumSGPRsForWavesPerEU: 14
; NumVGPRsForWavesPerEU: 85
; Occupancy: 16
; WaveLimiterHint : 1
; COMPUTE_PGM_RSRC2:SCRATCH_EN: 0
; COMPUTE_PGM_RSRC2:USER_SGPR: 2
; COMPUTE_PGM_RSRC2:TRAP_HANDLER: 0
; COMPUTE_PGM_RSRC2:TGID_X_EN: 1
; COMPUTE_PGM_RSRC2:TGID_Y_EN: 0
; COMPUTE_PGM_RSRC2:TGID_Z_EN: 0
; COMPUTE_PGM_RSRC2:TIDIG_COMP_CNT: 0
	.section	.text._ZN9rocsparseL18bsrxmvn_3x3_kernelILj256ELj4EiiiaaiEEvT3_20rocsparse_direction_NS_24const_host_device_scalarIT1_EES1_PKS1_PKT2_SA_S7_PKT4_PKT5_S5_PT6_21rocsparse_index_base_b,"axG",@progbits,_ZN9rocsparseL18bsrxmvn_3x3_kernelILj256ELj4EiiiaaiEEvT3_20rocsparse_direction_NS_24const_host_device_scalarIT1_EES1_PKS1_PKT2_SA_S7_PKT4_PKT5_S5_PT6_21rocsparse_index_base_b,comdat
	.globl	_ZN9rocsparseL18bsrxmvn_3x3_kernelILj256ELj4EiiiaaiEEvT3_20rocsparse_direction_NS_24const_host_device_scalarIT1_EES1_PKS1_PKT2_SA_S7_PKT4_PKT5_S5_PT6_21rocsparse_index_base_b ; -- Begin function _ZN9rocsparseL18bsrxmvn_3x3_kernelILj256ELj4EiiiaaiEEvT3_20rocsparse_direction_NS_24const_host_device_scalarIT1_EES1_PKS1_PKT2_SA_S7_PKT4_PKT5_S5_PT6_21rocsparse_index_base_b
	.p2align	8
	.type	_ZN9rocsparseL18bsrxmvn_3x3_kernelILj256ELj4EiiiaaiEEvT3_20rocsparse_direction_NS_24const_host_device_scalarIT1_EES1_PKS1_PKT2_SA_S7_PKT4_PKT5_S5_PT6_21rocsparse_index_base_b,@function
_ZN9rocsparseL18bsrxmvn_3x3_kernelILj256ELj4EiiiaaiEEvT3_20rocsparse_direction_NS_24const_host_device_scalarIT1_EES1_PKS1_PKT2_SA_S7_PKT4_PKT5_S5_PT6_21rocsparse_index_base_b: ; @_ZN9rocsparseL18bsrxmvn_3x3_kernelILj256ELj4EiiiaaiEEvT3_20rocsparse_direction_NS_24const_host_device_scalarIT1_EES1_PKS1_PKT2_SA_S7_PKT4_PKT5_S5_PT6_21rocsparse_index_base_b
; %bb.0:
	s_clause 0x1
	s_load_b64 s[12:13], s[0:1], 0x58
	s_load_b64 s[4:5], s[0:1], 0x8
	s_mov_b32 s7, -1
	s_wait_kmcnt 0x0
	s_bitcmp1_b32 s13, 0
                                        ; implicit-def: $sgpr13
	s_cselect_b32 s2, -1, 0
	s_delay_alu instid0(SALU_CYCLE_1) | instskip(NEXT) | instid1(SALU_CYCLE_1)
	s_xor_b32 s6, s2, -1
	s_and_b32 vcc_lo, exec_lo, s6
	s_cbranch_vccnz .LBB60_4
; %bb.1:
	s_load_b64 s[2:3], s[0:1], 0x48
	s_and_not1_b32 vcc_lo, exec_lo, s7
	s_cbranch_vccz .LBB60_5
.LBB60_2:
	s_and_b32 vcc_lo, exec_lo, s6
	s_cbranch_vccz .LBB60_6
.LBB60_3:
	s_wait_kmcnt 0x0
	s_load_b32 s14, s[2:3], 0x0
	s_cbranch_execz .LBB60_7
	s_branch .LBB60_8
.LBB60_4:
	s_load_b32 s13, s[4:5], 0x0
	s_load_b64 s[2:3], s[0:1], 0x48
	s_cbranch_execnz .LBB60_2
.LBB60_5:
	s_wait_kmcnt 0x0
	s_mov_b32 s13, s4
	s_and_b32 vcc_lo, exec_lo, s6
	s_cbranch_vccnz .LBB60_3
.LBB60_6:
	s_wait_kmcnt 0x0
                                        ; implicit-def: $sgpr14
.LBB60_7:
	s_wait_kmcnt 0x0
	s_mov_b32 s14, s2
.LBB60_8:
	s_cmp_lg_u32 s13, 0
	s_mov_b32 s6, 0
	s_cselect_b32 s2, -1, 0
	s_wait_kmcnt 0x0
	s_cmp_lg_u32 s14, 1
	s_cselect_b32 s3, -1, 0
	s_delay_alu instid0(SALU_CYCLE_1) | instskip(NEXT) | instid1(SALU_CYCLE_1)
	s_or_b32 s2, s2, s3
	s_and_not1_b32 vcc_lo, exec_lo, s2
	s_cbranch_vccnz .LBB60_14
; %bb.9:
	s_clause 0x1
	s_load_b64 s[4:5], s[0:1], 0x18
	s_load_b64 s[2:3], s[0:1], 0x0
	v_lshrrev_b32_e32 v1, 2, v0
	s_delay_alu instid0(VALU_DEP_1)
	v_lshl_or_b32 v1, ttmp9, 6, v1
	s_wait_kmcnt 0x0
	s_cmp_lg_u64 s[4:5], 0
	s_cbranch_scc0 .LBB60_15
; %bb.10:
	s_load_b32 s6, s[0:1], 0x10
	s_mov_b32 s7, 0
                                        ; implicit-def: $vgpr2
	s_wait_kmcnt 0x0
	v_cmp_gt_i32_e32 vcc_lo, s6, v1
	s_mov_b32 s6, 0
	s_and_saveexec_b32 s8, vcc_lo
	s_delay_alu instid0(SALU_CYCLE_1)
	s_xor_b32 s8, exec_lo, s8
	s_cbranch_execz .LBB60_12
; %bb.11:
	v_ashrrev_i32_e32 v2, 31, v1
	s_mov_b32 s6, exec_lo
	s_delay_alu instid0(VALU_DEP_1) | instskip(NEXT) | instid1(VALU_DEP_1)
	v_lshlrev_b64_e32 v[2:3], 2, v[1:2]
	v_add_co_u32 v2, vcc_lo, s4, v2
	s_delay_alu instid0(VALU_DEP_1)
	v_add_co_ci_u32_e64 v3, null, s5, v3, vcc_lo
	global_load_b32 v2, v[2:3], off
	s_wait_loadcnt 0x0
	v_subrev_nc_u32_e32 v2, s12, v2
.LBB60_12:
	s_or_b32 exec_lo, exec_lo, s8
	s_delay_alu instid0(SALU_CYCLE_1)
	s_and_b32 vcc_lo, exec_lo, s7
	s_wait_alu 0xfffe
	s_cbranch_vccz .LBB60_16
.LBB60_13:
	v_cmp_gt_i32_e32 vcc_lo, s2, v1
	s_and_not1_b32 s2, s6, exec_lo
	s_and_b32 s4, vcc_lo, exec_lo
	s_wait_alu 0xfffe
	s_or_b32 s6, s2, s4
	s_wait_alu 0xfffe
	s_and_saveexec_b32 s2, s6
	s_cbranch_execnz .LBB60_17
.LBB60_14:
	s_endpgm
.LBB60_15:
                                        ; implicit-def: $vgpr2
	s_cbranch_execnz .LBB60_13
.LBB60_16:
	v_mov_b32_e32 v1, v2
	s_and_saveexec_b32 s2, s6
	s_cbranch_execz .LBB60_14
.LBB60_17:
	s_load_b256 s[4:11], s[0:1], 0x20
	s_delay_alu instid0(VALU_DEP_1) | instskip(SKIP_1) | instid1(VALU_DEP_2)
	v_ashrrev_i32_e32 v2, 31, v1
	v_and_b32_e32 v0, 3, v0
	v_lshlrev_b64_e32 v[2:3], 2, v[1:2]
	s_wait_kmcnt 0x0
	s_delay_alu instid0(VALU_DEP_1) | instskip(SKIP_1) | instid1(VALU_DEP_2)
	v_add_co_u32 v4, vcc_lo, s4, v2
	s_wait_alu 0xfffd
	v_add_co_ci_u32_e64 v5, null, s5, v3, vcc_lo
	v_add_co_u32 v2, vcc_lo, s6, v2
	s_wait_alu 0xfffd
	v_add_co_ci_u32_e64 v3, null, s7, v3, vcc_lo
	;; [unrolled: 3-line block ×3, first 2 shown]
	s_cmp_eq_u64 s[6:7], 0
	global_load_b32 v4, v[4:5], off
	s_cselect_b32 vcc_lo, -1, 0
	s_load_b64 s[4:5], s[0:1], 0x40
	v_dual_cndmask_b32 v3, v3, v7 :: v_dual_cndmask_b32 v2, v2, v6
	s_cmp_eq_u32 s3, 1
	global_load_b32 v3, v[2:3], off
	s_wait_loadcnt 0x1
	v_subrev_nc_u32_e32 v2, s12, v4
	s_delay_alu instid0(VALU_DEP_1) | instskip(SKIP_2) | instid1(VALU_DEP_2)
	v_add_nc_u32_e32 v2, v2, v0
	s_wait_loadcnt 0x0
	v_subrev_nc_u32_e32 v13, s12, v3
	v_mad_co_i64_i32 v[4:5], null, v2, 9, s[10:11]
	s_delay_alu instid0(VALU_DEP_2)
	v_cmp_lt_i32_e64 s2, v2, v13
	s_cbranch_scc1 .LBB60_23
; %bb.18:
	v_dual_mov_b32 v10, 0 :: v_dual_mov_b32 v11, 0
	v_mov_b32_e32 v12, 0
	s_and_saveexec_b32 s3, s2
	s_cbranch_execz .LBB60_22
; %bb.19:
	v_dual_mov_b32 v10, 0 :: v_dual_mov_b32 v7, v5
	v_dual_mov_b32 v12, 0 :: v_dual_mov_b32 v11, 0
	v_mov_b32_e32 v6, v4
	v_mov_b32_e32 v8, v2
	s_mov_b32 s6, 0
.LBB60_20:                              ; =>This Inner Loop Header: Depth=1
	s_delay_alu instid0(VALU_DEP_1) | instskip(NEXT) | instid1(VALU_DEP_1)
	v_ashrrev_i32_e32 v9, 31, v8
	v_lshlrev_b64_e32 v[14:15], 2, v[8:9]
	v_add_nc_u32_e32 v8, 4, v8
	s_delay_alu instid0(VALU_DEP_2) | instskip(SKIP_1) | instid1(VALU_DEP_3)
	v_add_co_u32 v14, vcc_lo, s8, v14
	s_wait_alu 0xfffd
	v_add_co_ci_u32_e64 v15, null, s9, v15, vcc_lo
	global_load_b32 v3, v[14:15], off
	s_wait_loadcnt 0x0
	v_subrev_nc_u32_e32 v3, s12, v3
	s_delay_alu instid0(VALU_DEP_1) | instskip(NEXT) | instid1(VALU_DEP_1)
	v_lshl_add_u32 v3, v3, 1, v3
	v_ashrrev_i32_e32 v9, 31, v3
	s_wait_kmcnt 0x0
	v_add_co_u32 v14, vcc_lo, s4, v3
	s_wait_alu 0xfffd
	s_delay_alu instid0(VALU_DEP_2)
	v_add_co_ci_u32_e64 v15, null, s5, v9, vcc_lo
	s_clause 0x1
	global_load_b64 v[16:17], v[6:7], off
	global_load_i8 v3, v[6:7], off offset:8
	s_clause 0x1
	global_load_u16 v9, v[14:15], off
	global_load_i8 v14, v[14:15], off offset:2
	v_add_co_u32 v6, vcc_lo, v6, 36
	s_wait_alu 0xfffd
	v_add_co_ci_u32_e64 v7, null, 0, v7, vcc_lo
	v_cmp_ge_i32_e32 vcc_lo, v8, v13
	s_wait_alu 0xfffe
	s_or_b32 s6, vcc_lo, s6
	s_wait_loadcnt 0x3
	v_lshrrev_b32_e32 v15, 16, v16
	v_lshrrev_b32_e32 v18, 8, v16
	s_wait_loadcnt 0x1
	v_lshrrev_b32_e32 v20, 8, v9
	v_bfe_i32 v19, v16, 0, 8
	v_perm_b32 v16, v17, v16, 0xc050403
	v_bfe_i32 v15, v15, 0, 8
	v_bfe_i32 v18, v18, 0, 8
	v_bfe_i32 v20, v20, 0, 8
	v_perm_b32 v3, v3, v17, 0xc040302
	v_bfe_i32 v17, v9, 0, 8
	s_wait_loadcnt 0x0
	v_perm_b32 v9, v14, v9, 0xc040100
	v_perm_b32 v15, v15, v18, 0x5040100
	;; [unrolled: 1-line block ×3, first 2 shown]
	v_mad_i32_i24 v12, v17, v19, v12
	s_delay_alu instid0(VALU_DEP_4) | instskip(SKIP_1) | instid1(VALU_DEP_4)
	v_dot4_i32_iu8 v11, v9, v16, v11 neg_lo:[1,1,0]
	v_dot4_i32_iu8 v10, v9, v3, v10 neg_lo:[1,1,0]
	v_pk_mul_lo_u16 v15, v18, v15
	s_delay_alu instid0(VALU_DEP_1) | instskip(SKIP_1) | instid1(VALU_DEP_1)
	v_bfe_i32 v14, v15, 0, 16
	v_ashrrev_i32_e32 v15, 16, v15
	v_add3_u32 v12, v12, v14, v15
	s_wait_alu 0xfffe
	s_and_not1_b32 exec_lo, exec_lo, s6
	s_cbranch_execnz .LBB60_20
; %bb.21:
	s_or_b32 exec_lo, exec_lo, s6
.LBB60_22:
	s_wait_alu 0xfffe
	s_or_b32 exec_lo, exec_lo, s3
	s_cbranch_execz .LBB60_24
	s_branch .LBB60_29
.LBB60_23:
                                        ; implicit-def: $vgpr10
                                        ; implicit-def: $vgpr11
                                        ; implicit-def: $vgpr12
.LBB60_24:
	v_dual_mov_b32 v10, 0 :: v_dual_mov_b32 v11, 0
	v_mov_b32_e32 v12, 0
	s_and_saveexec_b32 s3, s2
	s_cbranch_execz .LBB60_28
; %bb.25:
	v_dual_mov_b32 v12, 0 :: v_dual_mov_b32 v11, 0
	v_mov_b32_e32 v10, 0
	s_mov_b32 s2, 0
.LBB60_26:                              ; =>This Inner Loop Header: Depth=1
	v_ashrrev_i32_e32 v3, 31, v2
	s_delay_alu instid0(VALU_DEP_1) | instskip(SKIP_1) | instid1(VALU_DEP_2)
	v_lshlrev_b64_e32 v[6:7], 2, v[2:3]
	v_add_nc_u32_e32 v2, 4, v2
	v_add_co_u32 v6, vcc_lo, s8, v6
	s_wait_alu 0xfffd
	s_delay_alu instid0(VALU_DEP_3)
	v_add_co_ci_u32_e64 v7, null, s9, v7, vcc_lo
	global_load_b32 v3, v[6:7], off
	global_load_b64 v[6:7], v[4:5], off
	s_wait_loadcnt 0x1
	v_subrev_nc_u32_e32 v3, s12, v3
	s_wait_loadcnt 0x0
	v_perm_b32 v15, v6, v6, 0xc0c0c02
	v_perm_b32 v16, v7, v6, 0xc0c0603
	s_delay_alu instid0(VALU_DEP_3) | instskip(NEXT) | instid1(VALU_DEP_1)
	v_lshl_add_u32 v3, v3, 1, v3
	v_ashrrev_i32_e32 v9, 31, v3
	s_wait_kmcnt 0x0
	v_add_co_u32 v8, vcc_lo, s4, v3
	s_wait_alu 0xfffd
	s_delay_alu instid0(VALU_DEP_2)
	v_add_co_ci_u32_e64 v9, null, s5, v9, vcc_lo
	global_load_i8 v3, v[4:5], off offset:8
	s_clause 0x1
	global_load_u16 v14, v[8:9], off
	global_load_i8 v8, v[8:9], off offset:2
	v_bfe_i32 v9, v6, 0, 8
	v_perm_b32 v6, v7, v6, 0xc070401
	v_add_co_u32 v4, vcc_lo, v4, 36
	s_wait_alu 0xfffd
	v_add_co_ci_u32_e64 v5, null, 0, v5, vcc_lo
	v_cmp_ge_i32_e32 vcc_lo, v2, v13
	s_wait_alu 0xfffe
	s_or_b32 s2, vcc_lo, s2
	s_wait_loadcnt 0x2
	v_perm_b32 v3, v3, v7, 0xc04010c
	s_wait_loadcnt 0x1
	v_bfe_i32 v7, v14, 0, 8
	s_delay_alu instid0(VALU_DEP_2) | instskip(SKIP_4) | instid1(VALU_DEP_2)
	v_or_b32_e32 v3, v3, v15
	s_wait_loadcnt 0x0
	v_perm_b32 v15, v8, v14, 0xc0c0401
	v_perm_b32 v8, v8, v14, 0xc040100
	v_mad_i32_i24 v7, v7, v9, v12
	v_dot4_i32_iu8 v11, v8, v6, v11 neg_lo:[1,1,0]
	v_dot4_i32_iu8 v10, v8, v3, v10 neg_lo:[1,1,0]
	s_delay_alu instid0(VALU_DEP_3)
	v_dot4_i32_iu8 v12, v15, v16, v7 neg_lo:[1,1,0]
	s_wait_alu 0xfffe
	s_and_not1_b32 exec_lo, exec_lo, s2
	s_cbranch_execnz .LBB60_26
; %bb.27:
	s_or_b32 exec_lo, exec_lo, s2
.LBB60_28:
	s_wait_alu 0xfffe
	s_or_b32 exec_lo, exec_lo, s3
.LBB60_29:
	v_mbcnt_lo_u32_b32 v2, -1, 0
	s_mov_b32 s2, -1
	s_delay_alu instid0(VALU_DEP_1) | instskip(NEXT) | instid1(VALU_DEP_1)
	v_xor_b32_e32 v3, 2, v2
	v_cmp_gt_i32_e32 vcc_lo, 32, v3
	s_wait_alu 0xfffd
	v_cndmask_b32_e32 v3, v2, v3, vcc_lo
	s_delay_alu instid0(VALU_DEP_1) | instskip(SKIP_4) | instid1(VALU_DEP_1)
	v_lshlrev_b32_e32 v3, 2, v3
	ds_bpermute_b32 v4, v3, v12
	ds_bpermute_b32 v5, v3, v11
	;; [unrolled: 1-line block ×3, first 2 shown]
	v_xor_b32_e32 v3, 1, v2
	v_cmp_gt_i32_e32 vcc_lo, 32, v3
	s_wait_alu 0xfffd
	v_cndmask_b32_e32 v2, v2, v3, vcc_lo
	v_cmp_eq_u32_e32 vcc_lo, 3, v0
	s_delay_alu instid0(VALU_DEP_2)
	v_lshlrev_b32_e32 v7, 2, v2
	s_wait_dscnt 0x2
	v_add_nc_u32_e32 v2, v4, v12
	s_wait_dscnt 0x1
	v_add_nc_u32_e32 v3, v5, v11
	;; [unrolled: 2-line block ×3, first 2 shown]
	ds_bpermute_b32 v5, v7, v2
	ds_bpermute_b32 v6, v7, v3
	;; [unrolled: 1-line block ×3, first 2 shown]
	s_and_b32 exec_lo, exec_lo, vcc_lo
	s_cbranch_execz .LBB60_14
; %bb.30:
	s_load_b64 s[0:1], s[0:1], 0x50
	s_wait_dscnt 0x2
	v_add_nc_u32_e32 v0, v5, v2
	s_wait_dscnt 0x1
	v_add_nc_u32_e32 v2, v6, v3
	;; [unrolled: 2-line block ×3, first 2 shown]
	v_lshl_add_u32 v3, v1, 1, v1
	s_cmp_eq_u32 s14, 0
	v_mul_lo_u32 v0, v0, s13
	v_mul_lo_u32 v1, v2, s13
	;; [unrolled: 1-line block ×3, first 2 shown]
	v_ashrrev_i32_e32 v4, 31, v3
	s_cbranch_scc1 .LBB60_32
; %bb.31:
	s_delay_alu instid0(VALU_DEP_1) | instskip(SKIP_2) | instid1(VALU_DEP_1)
	v_lshlrev_b64_e32 v[5:6], 2, v[3:4]
	s_mov_b32 s2, 0
	s_wait_kmcnt 0x0
	v_add_co_u32 v10, vcc_lo, s0, v5
	s_wait_alu 0xfffd
	s_delay_alu instid0(VALU_DEP_2)
	v_add_co_ci_u32_e64 v11, null, s1, v6, vcc_lo
	global_load_b96 v[5:7], v[10:11], off
	s_wait_loadcnt 0x0
	v_mad_co_u64_u32 v[12:13], null, v7, s14, v[2:3]
	v_mad_co_u64_u32 v[7:8], null, v5, s14, v[0:1]
	;; [unrolled: 1-line block ×3, first 2 shown]
	s_delay_alu instid0(VALU_DEP_3)
	v_mov_b32_e32 v9, v12
	global_store_b96 v[10:11], v[7:9], off
.LBB60_32:
	s_wait_alu 0xfffe
	s_and_not1_b32 vcc_lo, exec_lo, s2
	s_wait_alu 0xfffe
	s_cbranch_vccnz .LBB60_14
; %bb.33:
	v_lshlrev_b64_e32 v[3:4], 2, v[3:4]
	s_wait_kmcnt 0x0
	s_delay_alu instid0(VALU_DEP_1) | instskip(SKIP_1) | instid1(VALU_DEP_2)
	v_add_co_u32 v3, vcc_lo, s0, v3
	s_wait_alu 0xfffd
	v_add_co_ci_u32_e64 v4, null, s1, v4, vcc_lo
	global_store_b96 v[3:4], v[0:2], off
	s_endpgm
	.section	.rodata,"a",@progbits
	.p2align	6, 0x0
	.amdhsa_kernel _ZN9rocsparseL18bsrxmvn_3x3_kernelILj256ELj4EiiiaaiEEvT3_20rocsparse_direction_NS_24const_host_device_scalarIT1_EES1_PKS1_PKT2_SA_S7_PKT4_PKT5_S5_PT6_21rocsparse_index_base_b
		.amdhsa_group_segment_fixed_size 0
		.amdhsa_private_segment_fixed_size 0
		.amdhsa_kernarg_size 96
		.amdhsa_user_sgpr_count 2
		.amdhsa_user_sgpr_dispatch_ptr 0
		.amdhsa_user_sgpr_queue_ptr 0
		.amdhsa_user_sgpr_kernarg_segment_ptr 1
		.amdhsa_user_sgpr_dispatch_id 0
		.amdhsa_user_sgpr_private_segment_size 0
		.amdhsa_wavefront_size32 1
		.amdhsa_uses_dynamic_stack 0
		.amdhsa_enable_private_segment 0
		.amdhsa_system_sgpr_workgroup_id_x 1
		.amdhsa_system_sgpr_workgroup_id_y 0
		.amdhsa_system_sgpr_workgroup_id_z 0
		.amdhsa_system_sgpr_workgroup_info 0
		.amdhsa_system_vgpr_workitem_id 0
		.amdhsa_next_free_vgpr 21
		.amdhsa_next_free_sgpr 15
		.amdhsa_reserve_vcc 1
		.amdhsa_float_round_mode_32 0
		.amdhsa_float_round_mode_16_64 0
		.amdhsa_float_denorm_mode_32 3
		.amdhsa_float_denorm_mode_16_64 3
		.amdhsa_fp16_overflow 0
		.amdhsa_workgroup_processor_mode 1
		.amdhsa_memory_ordered 1
		.amdhsa_forward_progress 1
		.amdhsa_inst_pref_size 15
		.amdhsa_round_robin_scheduling 0
		.amdhsa_exception_fp_ieee_invalid_op 0
		.amdhsa_exception_fp_denorm_src 0
		.amdhsa_exception_fp_ieee_div_zero 0
		.amdhsa_exception_fp_ieee_overflow 0
		.amdhsa_exception_fp_ieee_underflow 0
		.amdhsa_exception_fp_ieee_inexact 0
		.amdhsa_exception_int_div_zero 0
	.end_amdhsa_kernel
	.section	.text._ZN9rocsparseL18bsrxmvn_3x3_kernelILj256ELj4EiiiaaiEEvT3_20rocsparse_direction_NS_24const_host_device_scalarIT1_EES1_PKS1_PKT2_SA_S7_PKT4_PKT5_S5_PT6_21rocsparse_index_base_b,"axG",@progbits,_ZN9rocsparseL18bsrxmvn_3x3_kernelILj256ELj4EiiiaaiEEvT3_20rocsparse_direction_NS_24const_host_device_scalarIT1_EES1_PKS1_PKT2_SA_S7_PKT4_PKT5_S5_PT6_21rocsparse_index_base_b,comdat
.Lfunc_end60:
	.size	_ZN9rocsparseL18bsrxmvn_3x3_kernelILj256ELj4EiiiaaiEEvT3_20rocsparse_direction_NS_24const_host_device_scalarIT1_EES1_PKS1_PKT2_SA_S7_PKT4_PKT5_S5_PT6_21rocsparse_index_base_b, .Lfunc_end60-_ZN9rocsparseL18bsrxmvn_3x3_kernelILj256ELj4EiiiaaiEEvT3_20rocsparse_direction_NS_24const_host_device_scalarIT1_EES1_PKS1_PKT2_SA_S7_PKT4_PKT5_S5_PT6_21rocsparse_index_base_b
                                        ; -- End function
	.set _ZN9rocsparseL18bsrxmvn_3x3_kernelILj256ELj4EiiiaaiEEvT3_20rocsparse_direction_NS_24const_host_device_scalarIT1_EES1_PKS1_PKT2_SA_S7_PKT4_PKT5_S5_PT6_21rocsparse_index_base_b.num_vgpr, 21
	.set _ZN9rocsparseL18bsrxmvn_3x3_kernelILj256ELj4EiiiaaiEEvT3_20rocsparse_direction_NS_24const_host_device_scalarIT1_EES1_PKS1_PKT2_SA_S7_PKT4_PKT5_S5_PT6_21rocsparse_index_base_b.num_agpr, 0
	.set _ZN9rocsparseL18bsrxmvn_3x3_kernelILj256ELj4EiiiaaiEEvT3_20rocsparse_direction_NS_24const_host_device_scalarIT1_EES1_PKS1_PKT2_SA_S7_PKT4_PKT5_S5_PT6_21rocsparse_index_base_b.numbered_sgpr, 15
	.set _ZN9rocsparseL18bsrxmvn_3x3_kernelILj256ELj4EiiiaaiEEvT3_20rocsparse_direction_NS_24const_host_device_scalarIT1_EES1_PKS1_PKT2_SA_S7_PKT4_PKT5_S5_PT6_21rocsparse_index_base_b.num_named_barrier, 0
	.set _ZN9rocsparseL18bsrxmvn_3x3_kernelILj256ELj4EiiiaaiEEvT3_20rocsparse_direction_NS_24const_host_device_scalarIT1_EES1_PKS1_PKT2_SA_S7_PKT4_PKT5_S5_PT6_21rocsparse_index_base_b.private_seg_size, 0
	.set _ZN9rocsparseL18bsrxmvn_3x3_kernelILj256ELj4EiiiaaiEEvT3_20rocsparse_direction_NS_24const_host_device_scalarIT1_EES1_PKS1_PKT2_SA_S7_PKT4_PKT5_S5_PT6_21rocsparse_index_base_b.uses_vcc, 1
	.set _ZN9rocsparseL18bsrxmvn_3x3_kernelILj256ELj4EiiiaaiEEvT3_20rocsparse_direction_NS_24const_host_device_scalarIT1_EES1_PKS1_PKT2_SA_S7_PKT4_PKT5_S5_PT6_21rocsparse_index_base_b.uses_flat_scratch, 0
	.set _ZN9rocsparseL18bsrxmvn_3x3_kernelILj256ELj4EiiiaaiEEvT3_20rocsparse_direction_NS_24const_host_device_scalarIT1_EES1_PKS1_PKT2_SA_S7_PKT4_PKT5_S5_PT6_21rocsparse_index_base_b.has_dyn_sized_stack, 0
	.set _ZN9rocsparseL18bsrxmvn_3x3_kernelILj256ELj4EiiiaaiEEvT3_20rocsparse_direction_NS_24const_host_device_scalarIT1_EES1_PKS1_PKT2_SA_S7_PKT4_PKT5_S5_PT6_21rocsparse_index_base_b.has_recursion, 0
	.set _ZN9rocsparseL18bsrxmvn_3x3_kernelILj256ELj4EiiiaaiEEvT3_20rocsparse_direction_NS_24const_host_device_scalarIT1_EES1_PKS1_PKT2_SA_S7_PKT4_PKT5_S5_PT6_21rocsparse_index_base_b.has_indirect_call, 0
	.section	.AMDGPU.csdata,"",@progbits
; Kernel info:
; codeLenInByte = 1832
; TotalNumSgprs: 17
; NumVgprs: 21
; ScratchSize: 0
; MemoryBound: 0
; FloatMode: 240
; IeeeMode: 1
; LDSByteSize: 0 bytes/workgroup (compile time only)
; SGPRBlocks: 0
; VGPRBlocks: 2
; NumSGPRsForWavesPerEU: 17
; NumVGPRsForWavesPerEU: 21
; Occupancy: 16
; WaveLimiterHint : 1
; COMPUTE_PGM_RSRC2:SCRATCH_EN: 0
; COMPUTE_PGM_RSRC2:USER_SGPR: 2
; COMPUTE_PGM_RSRC2:TRAP_HANDLER: 0
; COMPUTE_PGM_RSRC2:TGID_X_EN: 1
; COMPUTE_PGM_RSRC2:TGID_Y_EN: 0
; COMPUTE_PGM_RSRC2:TGID_Z_EN: 0
; COMPUTE_PGM_RSRC2:TIDIG_COMP_CNT: 0
	.section	.text._ZN9rocsparseL18bsrxmvn_3x3_kernelILj256ELj8EiiiaaiEEvT3_20rocsparse_direction_NS_24const_host_device_scalarIT1_EES1_PKS1_PKT2_SA_S7_PKT4_PKT5_S5_PT6_21rocsparse_index_base_b,"axG",@progbits,_ZN9rocsparseL18bsrxmvn_3x3_kernelILj256ELj8EiiiaaiEEvT3_20rocsparse_direction_NS_24const_host_device_scalarIT1_EES1_PKS1_PKT2_SA_S7_PKT4_PKT5_S5_PT6_21rocsparse_index_base_b,comdat
	.globl	_ZN9rocsparseL18bsrxmvn_3x3_kernelILj256ELj8EiiiaaiEEvT3_20rocsparse_direction_NS_24const_host_device_scalarIT1_EES1_PKS1_PKT2_SA_S7_PKT4_PKT5_S5_PT6_21rocsparse_index_base_b ; -- Begin function _ZN9rocsparseL18bsrxmvn_3x3_kernelILj256ELj8EiiiaaiEEvT3_20rocsparse_direction_NS_24const_host_device_scalarIT1_EES1_PKS1_PKT2_SA_S7_PKT4_PKT5_S5_PT6_21rocsparse_index_base_b
	.p2align	8
	.type	_ZN9rocsparseL18bsrxmvn_3x3_kernelILj256ELj8EiiiaaiEEvT3_20rocsparse_direction_NS_24const_host_device_scalarIT1_EES1_PKS1_PKT2_SA_S7_PKT4_PKT5_S5_PT6_21rocsparse_index_base_b,@function
_ZN9rocsparseL18bsrxmvn_3x3_kernelILj256ELj8EiiiaaiEEvT3_20rocsparse_direction_NS_24const_host_device_scalarIT1_EES1_PKS1_PKT2_SA_S7_PKT4_PKT5_S5_PT6_21rocsparse_index_base_b: ; @_ZN9rocsparseL18bsrxmvn_3x3_kernelILj256ELj8EiiiaaiEEvT3_20rocsparse_direction_NS_24const_host_device_scalarIT1_EES1_PKS1_PKT2_SA_S7_PKT4_PKT5_S5_PT6_21rocsparse_index_base_b
; %bb.0:
	s_clause 0x1
	s_load_b64 s[12:13], s[0:1], 0x58
	s_load_b64 s[4:5], s[0:1], 0x8
	s_mov_b32 s7, -1
	s_wait_kmcnt 0x0
	s_bitcmp1_b32 s13, 0
                                        ; implicit-def: $sgpr13
	s_cselect_b32 s2, -1, 0
	s_delay_alu instid0(SALU_CYCLE_1) | instskip(NEXT) | instid1(SALU_CYCLE_1)
	s_xor_b32 s6, s2, -1
	s_and_b32 vcc_lo, exec_lo, s6
	s_cbranch_vccnz .LBB61_4
; %bb.1:
	s_load_b64 s[2:3], s[0:1], 0x48
	s_and_not1_b32 vcc_lo, exec_lo, s7
	s_cbranch_vccz .LBB61_5
.LBB61_2:
	s_and_b32 vcc_lo, exec_lo, s6
	s_cbranch_vccz .LBB61_6
.LBB61_3:
	s_wait_kmcnt 0x0
	s_load_b32 s14, s[2:3], 0x0
	s_cbranch_execz .LBB61_7
	s_branch .LBB61_8
.LBB61_4:
	s_load_b32 s13, s[4:5], 0x0
	s_load_b64 s[2:3], s[0:1], 0x48
	s_cbranch_execnz .LBB61_2
.LBB61_5:
	s_wait_kmcnt 0x0
	s_mov_b32 s13, s4
	s_and_b32 vcc_lo, exec_lo, s6
	s_cbranch_vccnz .LBB61_3
.LBB61_6:
	s_wait_kmcnt 0x0
                                        ; implicit-def: $sgpr14
.LBB61_7:
	s_wait_kmcnt 0x0
	s_mov_b32 s14, s2
.LBB61_8:
	s_cmp_lg_u32 s13, 0
	s_mov_b32 s6, 0
	s_cselect_b32 s2, -1, 0
	s_wait_kmcnt 0x0
	s_cmp_lg_u32 s14, 1
	s_cselect_b32 s3, -1, 0
	s_delay_alu instid0(SALU_CYCLE_1) | instskip(NEXT) | instid1(SALU_CYCLE_1)
	s_or_b32 s2, s2, s3
	s_and_not1_b32 vcc_lo, exec_lo, s2
	s_cbranch_vccnz .LBB61_14
; %bb.9:
	s_clause 0x1
	s_load_b64 s[4:5], s[0:1], 0x18
	s_load_b64 s[2:3], s[0:1], 0x0
	v_lshrrev_b32_e32 v1, 3, v0
	s_delay_alu instid0(VALU_DEP_1)
	v_lshl_or_b32 v1, ttmp9, 5, v1
	s_wait_kmcnt 0x0
	s_cmp_lg_u64 s[4:5], 0
	s_cbranch_scc0 .LBB61_15
; %bb.10:
	s_load_b32 s6, s[0:1], 0x10
	s_mov_b32 s7, 0
                                        ; implicit-def: $vgpr2
	s_wait_kmcnt 0x0
	v_cmp_gt_i32_e32 vcc_lo, s6, v1
	s_mov_b32 s6, 0
	s_and_saveexec_b32 s8, vcc_lo
	s_delay_alu instid0(SALU_CYCLE_1)
	s_xor_b32 s8, exec_lo, s8
	s_cbranch_execz .LBB61_12
; %bb.11:
	v_ashrrev_i32_e32 v2, 31, v1
	s_mov_b32 s6, exec_lo
	s_delay_alu instid0(VALU_DEP_1) | instskip(NEXT) | instid1(VALU_DEP_1)
	v_lshlrev_b64_e32 v[2:3], 2, v[1:2]
	v_add_co_u32 v2, vcc_lo, s4, v2
	s_delay_alu instid0(VALU_DEP_1)
	v_add_co_ci_u32_e64 v3, null, s5, v3, vcc_lo
	global_load_b32 v2, v[2:3], off
	s_wait_loadcnt 0x0
	v_subrev_nc_u32_e32 v2, s12, v2
.LBB61_12:
	s_or_b32 exec_lo, exec_lo, s8
	s_delay_alu instid0(SALU_CYCLE_1)
	s_and_b32 vcc_lo, exec_lo, s7
	s_wait_alu 0xfffe
	s_cbranch_vccz .LBB61_16
.LBB61_13:
	v_cmp_gt_i32_e32 vcc_lo, s2, v1
	s_and_not1_b32 s2, s6, exec_lo
	s_and_b32 s4, vcc_lo, exec_lo
	s_wait_alu 0xfffe
	s_or_b32 s6, s2, s4
	s_wait_alu 0xfffe
	s_and_saveexec_b32 s2, s6
	s_cbranch_execnz .LBB61_17
.LBB61_14:
	s_endpgm
.LBB61_15:
                                        ; implicit-def: $vgpr2
	s_cbranch_execnz .LBB61_13
.LBB61_16:
	v_mov_b32_e32 v1, v2
	s_and_saveexec_b32 s2, s6
	s_cbranch_execz .LBB61_14
.LBB61_17:
	s_load_b256 s[4:11], s[0:1], 0x20
	s_delay_alu instid0(VALU_DEP_1) | instskip(SKIP_1) | instid1(VALU_DEP_2)
	v_ashrrev_i32_e32 v2, 31, v1
	v_and_b32_e32 v0, 7, v0
	v_lshlrev_b64_e32 v[2:3], 2, v[1:2]
	s_wait_kmcnt 0x0
	s_delay_alu instid0(VALU_DEP_1) | instskip(SKIP_1) | instid1(VALU_DEP_2)
	v_add_co_u32 v4, vcc_lo, s4, v2
	s_wait_alu 0xfffd
	v_add_co_ci_u32_e64 v5, null, s5, v3, vcc_lo
	v_add_co_u32 v2, vcc_lo, s6, v2
	s_wait_alu 0xfffd
	v_add_co_ci_u32_e64 v3, null, s7, v3, vcc_lo
	;; [unrolled: 3-line block ×3, first 2 shown]
	s_cmp_eq_u64 s[6:7], 0
	global_load_b32 v4, v[4:5], off
	s_cselect_b32 vcc_lo, -1, 0
	s_load_b64 s[4:5], s[0:1], 0x40
	v_dual_cndmask_b32 v3, v3, v7 :: v_dual_cndmask_b32 v2, v2, v6
	s_cmp_eq_u32 s3, 1
	global_load_b32 v3, v[2:3], off
	s_wait_loadcnt 0x1
	v_subrev_nc_u32_e32 v2, s12, v4
	s_delay_alu instid0(VALU_DEP_1) | instskip(SKIP_2) | instid1(VALU_DEP_2)
	v_add_nc_u32_e32 v2, v2, v0
	s_wait_loadcnt 0x0
	v_subrev_nc_u32_e32 v13, s12, v3
	v_mad_co_i64_i32 v[4:5], null, v2, 9, s[10:11]
	s_delay_alu instid0(VALU_DEP_2)
	v_cmp_lt_i32_e64 s2, v2, v13
	s_cbranch_scc1 .LBB61_23
; %bb.18:
	v_dual_mov_b32 v10, 0 :: v_dual_mov_b32 v11, 0
	v_mov_b32_e32 v12, 0
	s_and_saveexec_b32 s3, s2
	s_cbranch_execz .LBB61_22
; %bb.19:
	v_dual_mov_b32 v10, 0 :: v_dual_mov_b32 v7, v5
	v_dual_mov_b32 v12, 0 :: v_dual_mov_b32 v11, 0
	v_mov_b32_e32 v6, v4
	v_mov_b32_e32 v8, v2
	s_mov_b32 s6, 0
.LBB61_20:                              ; =>This Inner Loop Header: Depth=1
	s_delay_alu instid0(VALU_DEP_1) | instskip(NEXT) | instid1(VALU_DEP_1)
	v_ashrrev_i32_e32 v9, 31, v8
	v_lshlrev_b64_e32 v[14:15], 2, v[8:9]
	v_add_nc_u32_e32 v8, 8, v8
	s_delay_alu instid0(VALU_DEP_2) | instskip(SKIP_1) | instid1(VALU_DEP_3)
	v_add_co_u32 v14, vcc_lo, s8, v14
	s_wait_alu 0xfffd
	v_add_co_ci_u32_e64 v15, null, s9, v15, vcc_lo
	global_load_b32 v3, v[14:15], off
	s_wait_loadcnt 0x0
	v_subrev_nc_u32_e32 v3, s12, v3
	s_delay_alu instid0(VALU_DEP_1) | instskip(NEXT) | instid1(VALU_DEP_1)
	v_lshl_add_u32 v3, v3, 1, v3
	v_ashrrev_i32_e32 v9, 31, v3
	s_wait_kmcnt 0x0
	v_add_co_u32 v14, vcc_lo, s4, v3
	s_wait_alu 0xfffd
	s_delay_alu instid0(VALU_DEP_2)
	v_add_co_ci_u32_e64 v15, null, s5, v9, vcc_lo
	s_clause 0x1
	global_load_b64 v[16:17], v[6:7], off
	global_load_i8 v3, v[6:7], off offset:8
	s_clause 0x1
	global_load_u16 v9, v[14:15], off
	global_load_i8 v14, v[14:15], off offset:2
	v_add_co_u32 v6, vcc_lo, 0x48, v6
	s_wait_alu 0xfffd
	v_add_co_ci_u32_e64 v7, null, 0, v7, vcc_lo
	v_cmp_ge_i32_e32 vcc_lo, v8, v13
	s_wait_alu 0xfffe
	s_or_b32 s6, vcc_lo, s6
	s_wait_loadcnt 0x3
	v_lshrrev_b32_e32 v15, 16, v16
	v_lshrrev_b32_e32 v18, 8, v16
	s_wait_loadcnt 0x1
	v_lshrrev_b32_e32 v20, 8, v9
	v_bfe_i32 v19, v16, 0, 8
	v_perm_b32 v16, v17, v16, 0xc050403
	v_bfe_i32 v15, v15, 0, 8
	v_bfe_i32 v18, v18, 0, 8
	;; [unrolled: 1-line block ×3, first 2 shown]
	v_perm_b32 v3, v3, v17, 0xc040302
	v_bfe_i32 v17, v9, 0, 8
	s_wait_loadcnt 0x0
	v_perm_b32 v9, v14, v9, 0xc040100
	v_perm_b32 v15, v15, v18, 0x5040100
	;; [unrolled: 1-line block ×3, first 2 shown]
	v_mad_i32_i24 v12, v17, v19, v12
	s_delay_alu instid0(VALU_DEP_4) | instskip(SKIP_1) | instid1(VALU_DEP_4)
	v_dot4_i32_iu8 v11, v9, v16, v11 neg_lo:[1,1,0]
	v_dot4_i32_iu8 v10, v9, v3, v10 neg_lo:[1,1,0]
	v_pk_mul_lo_u16 v15, v18, v15
	s_delay_alu instid0(VALU_DEP_1) | instskip(SKIP_1) | instid1(VALU_DEP_1)
	v_bfe_i32 v14, v15, 0, 16
	v_ashrrev_i32_e32 v15, 16, v15
	v_add3_u32 v12, v12, v14, v15
	s_wait_alu 0xfffe
	s_and_not1_b32 exec_lo, exec_lo, s6
	s_cbranch_execnz .LBB61_20
; %bb.21:
	s_or_b32 exec_lo, exec_lo, s6
.LBB61_22:
	s_wait_alu 0xfffe
	s_or_b32 exec_lo, exec_lo, s3
	s_cbranch_execz .LBB61_24
	s_branch .LBB61_29
.LBB61_23:
                                        ; implicit-def: $vgpr10
                                        ; implicit-def: $vgpr11
                                        ; implicit-def: $vgpr12
.LBB61_24:
	v_dual_mov_b32 v10, 0 :: v_dual_mov_b32 v11, 0
	v_mov_b32_e32 v12, 0
	s_and_saveexec_b32 s3, s2
	s_cbranch_execz .LBB61_28
; %bb.25:
	v_dual_mov_b32 v12, 0 :: v_dual_mov_b32 v11, 0
	v_mov_b32_e32 v10, 0
	s_mov_b32 s2, 0
.LBB61_26:                              ; =>This Inner Loop Header: Depth=1
	v_ashrrev_i32_e32 v3, 31, v2
	s_delay_alu instid0(VALU_DEP_1) | instskip(SKIP_1) | instid1(VALU_DEP_2)
	v_lshlrev_b64_e32 v[6:7], 2, v[2:3]
	v_add_nc_u32_e32 v2, 8, v2
	v_add_co_u32 v6, vcc_lo, s8, v6
	s_wait_alu 0xfffd
	s_delay_alu instid0(VALU_DEP_3)
	v_add_co_ci_u32_e64 v7, null, s9, v7, vcc_lo
	global_load_b32 v3, v[6:7], off
	global_load_b64 v[6:7], v[4:5], off
	s_wait_loadcnt 0x1
	v_subrev_nc_u32_e32 v3, s12, v3
	s_wait_loadcnt 0x0
	v_perm_b32 v15, v6, v6, 0xc0c0c02
	v_perm_b32 v16, v7, v6, 0xc0c0603
	s_delay_alu instid0(VALU_DEP_3) | instskip(NEXT) | instid1(VALU_DEP_1)
	v_lshl_add_u32 v3, v3, 1, v3
	v_ashrrev_i32_e32 v9, 31, v3
	s_wait_kmcnt 0x0
	v_add_co_u32 v8, vcc_lo, s4, v3
	s_wait_alu 0xfffd
	s_delay_alu instid0(VALU_DEP_2)
	v_add_co_ci_u32_e64 v9, null, s5, v9, vcc_lo
	global_load_i8 v3, v[4:5], off offset:8
	s_clause 0x1
	global_load_u16 v14, v[8:9], off
	global_load_i8 v8, v[8:9], off offset:2
	v_bfe_i32 v9, v6, 0, 8
	v_perm_b32 v6, v7, v6, 0xc070401
	v_add_co_u32 v4, vcc_lo, 0x48, v4
	s_wait_alu 0xfffd
	v_add_co_ci_u32_e64 v5, null, 0, v5, vcc_lo
	v_cmp_ge_i32_e32 vcc_lo, v2, v13
	s_wait_alu 0xfffe
	s_or_b32 s2, vcc_lo, s2
	s_wait_loadcnt 0x2
	v_perm_b32 v3, v3, v7, 0xc04010c
	s_wait_loadcnt 0x1
	v_bfe_i32 v7, v14, 0, 8
	s_delay_alu instid0(VALU_DEP_2) | instskip(SKIP_4) | instid1(VALU_DEP_2)
	v_or_b32_e32 v3, v3, v15
	s_wait_loadcnt 0x0
	v_perm_b32 v15, v8, v14, 0xc0c0401
	v_perm_b32 v8, v8, v14, 0xc040100
	v_mad_i32_i24 v7, v7, v9, v12
	v_dot4_i32_iu8 v11, v8, v6, v11 neg_lo:[1,1,0]
	v_dot4_i32_iu8 v10, v8, v3, v10 neg_lo:[1,1,0]
	s_delay_alu instid0(VALU_DEP_3)
	v_dot4_i32_iu8 v12, v15, v16, v7 neg_lo:[1,1,0]
	s_wait_alu 0xfffe
	s_and_not1_b32 exec_lo, exec_lo, s2
	s_cbranch_execnz .LBB61_26
; %bb.27:
	s_or_b32 exec_lo, exec_lo, s2
.LBB61_28:
	s_wait_alu 0xfffe
	s_or_b32 exec_lo, exec_lo, s3
.LBB61_29:
	v_mbcnt_lo_u32_b32 v2, -1, 0
	s_mov_b32 s2, -1
	s_delay_alu instid0(VALU_DEP_1) | instskip(SKIP_2) | instid1(VALU_DEP_3)
	v_xor_b32_e32 v3, 4, v2
	v_xor_b32_e32 v6, 2, v2
	;; [unrolled: 1-line block ×3, first 2 shown]
	v_cmp_gt_i32_e32 vcc_lo, 32, v3
	s_wait_alu 0xfffd
	v_cndmask_b32_e32 v3, v2, v3, vcc_lo
	v_cmp_gt_i32_e32 vcc_lo, 32, v6
	s_wait_alu 0xfffd
	v_cndmask_b32_e32 v6, v2, v6, vcc_lo
	v_cmp_gt_i32_e32 vcc_lo, 32, v9
	s_delay_alu instid0(VALU_DEP_2)
	v_lshlrev_b32_e32 v6, 2, v6
	s_wait_alu 0xfffd
	v_dual_cndmask_b32 v2, v2, v9 :: v_dual_lshlrev_b32 v3, 2, v3
	v_cmp_eq_u32_e32 vcc_lo, 7, v0
	ds_bpermute_b32 v4, v3, v12
	ds_bpermute_b32 v5, v3, v11
	;; [unrolled: 1-line block ×3, first 2 shown]
	v_lshlrev_b32_e32 v9, 2, v2
	s_wait_dscnt 0x2
	v_add_nc_u32_e32 v4, v4, v12
	s_wait_dscnt 0x1
	v_add_nc_u32_e32 v5, v5, v11
	s_wait_dscnt 0x0
	v_add_nc_u32_e32 v7, v3, v10
	ds_bpermute_b32 v3, v6, v4
	ds_bpermute_b32 v8, v6, v5
	;; [unrolled: 1-line block ×3, first 2 shown]
	s_wait_dscnt 0x2
	v_add_nc_u32_e32 v2, v3, v4
	s_wait_dscnt 0x1
	v_add_nc_u32_e32 v3, v8, v5
	;; [unrolled: 2-line block ×3, first 2 shown]
	ds_bpermute_b32 v5, v9, v2
	ds_bpermute_b32 v6, v9, v3
	;; [unrolled: 1-line block ×3, first 2 shown]
	s_and_b32 exec_lo, exec_lo, vcc_lo
	s_cbranch_execz .LBB61_14
; %bb.30:
	s_load_b64 s[0:1], s[0:1], 0x50
	s_wait_dscnt 0x2
	v_add_nc_u32_e32 v0, v5, v2
	s_wait_dscnt 0x1
	v_add_nc_u32_e32 v2, v6, v3
	;; [unrolled: 2-line block ×3, first 2 shown]
	v_lshl_add_u32 v3, v1, 1, v1
	s_cmp_eq_u32 s14, 0
	v_mul_lo_u32 v0, v0, s13
	v_mul_lo_u32 v1, v2, s13
	;; [unrolled: 1-line block ×3, first 2 shown]
	v_ashrrev_i32_e32 v4, 31, v3
	s_cbranch_scc1 .LBB61_32
; %bb.31:
	s_delay_alu instid0(VALU_DEP_1) | instskip(SKIP_2) | instid1(VALU_DEP_1)
	v_lshlrev_b64_e32 v[5:6], 2, v[3:4]
	s_mov_b32 s2, 0
	s_wait_kmcnt 0x0
	v_add_co_u32 v10, vcc_lo, s0, v5
	s_wait_alu 0xfffd
	s_delay_alu instid0(VALU_DEP_2)
	v_add_co_ci_u32_e64 v11, null, s1, v6, vcc_lo
	global_load_b96 v[5:7], v[10:11], off
	s_wait_loadcnt 0x0
	v_mad_co_u64_u32 v[12:13], null, v7, s14, v[2:3]
	v_mad_co_u64_u32 v[7:8], null, v5, s14, v[0:1]
	;; [unrolled: 1-line block ×3, first 2 shown]
	s_delay_alu instid0(VALU_DEP_3)
	v_mov_b32_e32 v9, v12
	global_store_b96 v[10:11], v[7:9], off
.LBB61_32:
	s_wait_alu 0xfffe
	s_and_not1_b32 vcc_lo, exec_lo, s2
	s_wait_alu 0xfffe
	s_cbranch_vccnz .LBB61_14
; %bb.33:
	v_lshlrev_b64_e32 v[3:4], 2, v[3:4]
	s_wait_kmcnt 0x0
	s_delay_alu instid0(VALU_DEP_1) | instskip(SKIP_1) | instid1(VALU_DEP_2)
	v_add_co_u32 v3, vcc_lo, s0, v3
	s_wait_alu 0xfffd
	v_add_co_ci_u32_e64 v4, null, s1, v4, vcc_lo
	global_store_b96 v[3:4], v[0:2], off
	s_endpgm
	.section	.rodata,"a",@progbits
	.p2align	6, 0x0
	.amdhsa_kernel _ZN9rocsparseL18bsrxmvn_3x3_kernelILj256ELj8EiiiaaiEEvT3_20rocsparse_direction_NS_24const_host_device_scalarIT1_EES1_PKS1_PKT2_SA_S7_PKT4_PKT5_S5_PT6_21rocsparse_index_base_b
		.amdhsa_group_segment_fixed_size 0
		.amdhsa_private_segment_fixed_size 0
		.amdhsa_kernarg_size 96
		.amdhsa_user_sgpr_count 2
		.amdhsa_user_sgpr_dispatch_ptr 0
		.amdhsa_user_sgpr_queue_ptr 0
		.amdhsa_user_sgpr_kernarg_segment_ptr 1
		.amdhsa_user_sgpr_dispatch_id 0
		.amdhsa_user_sgpr_private_segment_size 0
		.amdhsa_wavefront_size32 1
		.amdhsa_uses_dynamic_stack 0
		.amdhsa_enable_private_segment 0
		.amdhsa_system_sgpr_workgroup_id_x 1
		.amdhsa_system_sgpr_workgroup_id_y 0
		.amdhsa_system_sgpr_workgroup_id_z 0
		.amdhsa_system_sgpr_workgroup_info 0
		.amdhsa_system_vgpr_workitem_id 0
		.amdhsa_next_free_vgpr 21
		.amdhsa_next_free_sgpr 15
		.amdhsa_reserve_vcc 1
		.amdhsa_float_round_mode_32 0
		.amdhsa_float_round_mode_16_64 0
		.amdhsa_float_denorm_mode_32 3
		.amdhsa_float_denorm_mode_16_64 3
		.amdhsa_fp16_overflow 0
		.amdhsa_workgroup_processor_mode 1
		.amdhsa_memory_ordered 1
		.amdhsa_forward_progress 1
		.amdhsa_inst_pref_size 15
		.amdhsa_round_robin_scheduling 0
		.amdhsa_exception_fp_ieee_invalid_op 0
		.amdhsa_exception_fp_denorm_src 0
		.amdhsa_exception_fp_ieee_div_zero 0
		.amdhsa_exception_fp_ieee_overflow 0
		.amdhsa_exception_fp_ieee_underflow 0
		.amdhsa_exception_fp_ieee_inexact 0
		.amdhsa_exception_int_div_zero 0
	.end_amdhsa_kernel
	.section	.text._ZN9rocsparseL18bsrxmvn_3x3_kernelILj256ELj8EiiiaaiEEvT3_20rocsparse_direction_NS_24const_host_device_scalarIT1_EES1_PKS1_PKT2_SA_S7_PKT4_PKT5_S5_PT6_21rocsparse_index_base_b,"axG",@progbits,_ZN9rocsparseL18bsrxmvn_3x3_kernelILj256ELj8EiiiaaiEEvT3_20rocsparse_direction_NS_24const_host_device_scalarIT1_EES1_PKS1_PKT2_SA_S7_PKT4_PKT5_S5_PT6_21rocsparse_index_base_b,comdat
.Lfunc_end61:
	.size	_ZN9rocsparseL18bsrxmvn_3x3_kernelILj256ELj8EiiiaaiEEvT3_20rocsparse_direction_NS_24const_host_device_scalarIT1_EES1_PKS1_PKT2_SA_S7_PKT4_PKT5_S5_PT6_21rocsparse_index_base_b, .Lfunc_end61-_ZN9rocsparseL18bsrxmvn_3x3_kernelILj256ELj8EiiiaaiEEvT3_20rocsparse_direction_NS_24const_host_device_scalarIT1_EES1_PKS1_PKT2_SA_S7_PKT4_PKT5_S5_PT6_21rocsparse_index_base_b
                                        ; -- End function
	.set _ZN9rocsparseL18bsrxmvn_3x3_kernelILj256ELj8EiiiaaiEEvT3_20rocsparse_direction_NS_24const_host_device_scalarIT1_EES1_PKS1_PKT2_SA_S7_PKT4_PKT5_S5_PT6_21rocsparse_index_base_b.num_vgpr, 21
	.set _ZN9rocsparseL18bsrxmvn_3x3_kernelILj256ELj8EiiiaaiEEvT3_20rocsparse_direction_NS_24const_host_device_scalarIT1_EES1_PKS1_PKT2_SA_S7_PKT4_PKT5_S5_PT6_21rocsparse_index_base_b.num_agpr, 0
	.set _ZN9rocsparseL18bsrxmvn_3x3_kernelILj256ELj8EiiiaaiEEvT3_20rocsparse_direction_NS_24const_host_device_scalarIT1_EES1_PKS1_PKT2_SA_S7_PKT4_PKT5_S5_PT6_21rocsparse_index_base_b.numbered_sgpr, 15
	.set _ZN9rocsparseL18bsrxmvn_3x3_kernelILj256ELj8EiiiaaiEEvT3_20rocsparse_direction_NS_24const_host_device_scalarIT1_EES1_PKS1_PKT2_SA_S7_PKT4_PKT5_S5_PT6_21rocsparse_index_base_b.num_named_barrier, 0
	.set _ZN9rocsparseL18bsrxmvn_3x3_kernelILj256ELj8EiiiaaiEEvT3_20rocsparse_direction_NS_24const_host_device_scalarIT1_EES1_PKS1_PKT2_SA_S7_PKT4_PKT5_S5_PT6_21rocsparse_index_base_b.private_seg_size, 0
	.set _ZN9rocsparseL18bsrxmvn_3x3_kernelILj256ELj8EiiiaaiEEvT3_20rocsparse_direction_NS_24const_host_device_scalarIT1_EES1_PKS1_PKT2_SA_S7_PKT4_PKT5_S5_PT6_21rocsparse_index_base_b.uses_vcc, 1
	.set _ZN9rocsparseL18bsrxmvn_3x3_kernelILj256ELj8EiiiaaiEEvT3_20rocsparse_direction_NS_24const_host_device_scalarIT1_EES1_PKS1_PKT2_SA_S7_PKT4_PKT5_S5_PT6_21rocsparse_index_base_b.uses_flat_scratch, 0
	.set _ZN9rocsparseL18bsrxmvn_3x3_kernelILj256ELj8EiiiaaiEEvT3_20rocsparse_direction_NS_24const_host_device_scalarIT1_EES1_PKS1_PKT2_SA_S7_PKT4_PKT5_S5_PT6_21rocsparse_index_base_b.has_dyn_sized_stack, 0
	.set _ZN9rocsparseL18bsrxmvn_3x3_kernelILj256ELj8EiiiaaiEEvT3_20rocsparse_direction_NS_24const_host_device_scalarIT1_EES1_PKS1_PKT2_SA_S7_PKT4_PKT5_S5_PT6_21rocsparse_index_base_b.has_recursion, 0
	.set _ZN9rocsparseL18bsrxmvn_3x3_kernelILj256ELj8EiiiaaiEEvT3_20rocsparse_direction_NS_24const_host_device_scalarIT1_EES1_PKS1_PKT2_SA_S7_PKT4_PKT5_S5_PT6_21rocsparse_index_base_b.has_indirect_call, 0
	.section	.AMDGPU.csdata,"",@progbits
; Kernel info:
; codeLenInByte = 1904
; TotalNumSgprs: 17
; NumVgprs: 21
; ScratchSize: 0
; MemoryBound: 0
; FloatMode: 240
; IeeeMode: 1
; LDSByteSize: 0 bytes/workgroup (compile time only)
; SGPRBlocks: 0
; VGPRBlocks: 2
; NumSGPRsForWavesPerEU: 17
; NumVGPRsForWavesPerEU: 21
; Occupancy: 16
; WaveLimiterHint : 1
; COMPUTE_PGM_RSRC2:SCRATCH_EN: 0
; COMPUTE_PGM_RSRC2:USER_SGPR: 2
; COMPUTE_PGM_RSRC2:TRAP_HANDLER: 0
; COMPUTE_PGM_RSRC2:TGID_X_EN: 1
; COMPUTE_PGM_RSRC2:TGID_Y_EN: 0
; COMPUTE_PGM_RSRC2:TGID_Z_EN: 0
; COMPUTE_PGM_RSRC2:TIDIG_COMP_CNT: 0
	.section	.text._ZN9rocsparseL18bsrxmvn_3x3_kernelILj256ELj16EiiiaaiEEvT3_20rocsparse_direction_NS_24const_host_device_scalarIT1_EES1_PKS1_PKT2_SA_S7_PKT4_PKT5_S5_PT6_21rocsparse_index_base_b,"axG",@progbits,_ZN9rocsparseL18bsrxmvn_3x3_kernelILj256ELj16EiiiaaiEEvT3_20rocsparse_direction_NS_24const_host_device_scalarIT1_EES1_PKS1_PKT2_SA_S7_PKT4_PKT5_S5_PT6_21rocsparse_index_base_b,comdat
	.globl	_ZN9rocsparseL18bsrxmvn_3x3_kernelILj256ELj16EiiiaaiEEvT3_20rocsparse_direction_NS_24const_host_device_scalarIT1_EES1_PKS1_PKT2_SA_S7_PKT4_PKT5_S5_PT6_21rocsparse_index_base_b ; -- Begin function _ZN9rocsparseL18bsrxmvn_3x3_kernelILj256ELj16EiiiaaiEEvT3_20rocsparse_direction_NS_24const_host_device_scalarIT1_EES1_PKS1_PKT2_SA_S7_PKT4_PKT5_S5_PT6_21rocsparse_index_base_b
	.p2align	8
	.type	_ZN9rocsparseL18bsrxmvn_3x3_kernelILj256ELj16EiiiaaiEEvT3_20rocsparse_direction_NS_24const_host_device_scalarIT1_EES1_PKS1_PKT2_SA_S7_PKT4_PKT5_S5_PT6_21rocsparse_index_base_b,@function
_ZN9rocsparseL18bsrxmvn_3x3_kernelILj256ELj16EiiiaaiEEvT3_20rocsparse_direction_NS_24const_host_device_scalarIT1_EES1_PKS1_PKT2_SA_S7_PKT4_PKT5_S5_PT6_21rocsparse_index_base_b: ; @_ZN9rocsparseL18bsrxmvn_3x3_kernelILj256ELj16EiiiaaiEEvT3_20rocsparse_direction_NS_24const_host_device_scalarIT1_EES1_PKS1_PKT2_SA_S7_PKT4_PKT5_S5_PT6_21rocsparse_index_base_b
; %bb.0:
	s_clause 0x1
	s_load_b64 s[12:13], s[0:1], 0x58
	s_load_b64 s[4:5], s[0:1], 0x8
	s_mov_b32 s7, -1
	s_wait_kmcnt 0x0
	s_bitcmp1_b32 s13, 0
                                        ; implicit-def: $sgpr13
	s_cselect_b32 s2, -1, 0
	s_delay_alu instid0(SALU_CYCLE_1) | instskip(NEXT) | instid1(SALU_CYCLE_1)
	s_xor_b32 s6, s2, -1
	s_and_b32 vcc_lo, exec_lo, s6
	s_cbranch_vccnz .LBB62_4
; %bb.1:
	s_load_b64 s[2:3], s[0:1], 0x48
	s_and_not1_b32 vcc_lo, exec_lo, s7
	s_cbranch_vccz .LBB62_5
.LBB62_2:
	s_and_b32 vcc_lo, exec_lo, s6
	s_cbranch_vccz .LBB62_6
.LBB62_3:
	s_wait_kmcnt 0x0
	s_load_b32 s14, s[2:3], 0x0
	s_cbranch_execz .LBB62_7
	s_branch .LBB62_8
.LBB62_4:
	s_load_b32 s13, s[4:5], 0x0
	s_load_b64 s[2:3], s[0:1], 0x48
	s_cbranch_execnz .LBB62_2
.LBB62_5:
	s_wait_kmcnt 0x0
	s_mov_b32 s13, s4
	s_and_b32 vcc_lo, exec_lo, s6
	s_cbranch_vccnz .LBB62_3
.LBB62_6:
	s_wait_kmcnt 0x0
                                        ; implicit-def: $sgpr14
.LBB62_7:
	s_wait_kmcnt 0x0
	s_mov_b32 s14, s2
.LBB62_8:
	s_cmp_lg_u32 s13, 0
	s_mov_b32 s6, 0
	s_cselect_b32 s2, -1, 0
	s_wait_kmcnt 0x0
	s_cmp_lg_u32 s14, 1
	s_cselect_b32 s3, -1, 0
	s_delay_alu instid0(SALU_CYCLE_1) | instskip(NEXT) | instid1(SALU_CYCLE_1)
	s_or_b32 s2, s2, s3
	s_and_not1_b32 vcc_lo, exec_lo, s2
	s_cbranch_vccnz .LBB62_14
; %bb.9:
	s_clause 0x1
	s_load_b64 s[4:5], s[0:1], 0x18
	s_load_b64 s[2:3], s[0:1], 0x0
	v_lshrrev_b32_e32 v1, 4, v0
	s_delay_alu instid0(VALU_DEP_1)
	v_lshl_or_b32 v1, ttmp9, 4, v1
	s_wait_kmcnt 0x0
	s_cmp_lg_u64 s[4:5], 0
	s_cbranch_scc0 .LBB62_15
; %bb.10:
	s_load_b32 s6, s[0:1], 0x10
	s_mov_b32 s7, 0
                                        ; implicit-def: $vgpr2
	s_wait_kmcnt 0x0
	v_cmp_gt_i32_e32 vcc_lo, s6, v1
	s_mov_b32 s6, 0
	s_and_saveexec_b32 s8, vcc_lo
	s_delay_alu instid0(SALU_CYCLE_1)
	s_xor_b32 s8, exec_lo, s8
	s_cbranch_execz .LBB62_12
; %bb.11:
	v_ashrrev_i32_e32 v2, 31, v1
	s_mov_b32 s6, exec_lo
	s_delay_alu instid0(VALU_DEP_1) | instskip(NEXT) | instid1(VALU_DEP_1)
	v_lshlrev_b64_e32 v[2:3], 2, v[1:2]
	v_add_co_u32 v2, vcc_lo, s4, v2
	s_delay_alu instid0(VALU_DEP_1)
	v_add_co_ci_u32_e64 v3, null, s5, v3, vcc_lo
	global_load_b32 v2, v[2:3], off
	s_wait_loadcnt 0x0
	v_subrev_nc_u32_e32 v2, s12, v2
.LBB62_12:
	s_or_b32 exec_lo, exec_lo, s8
	s_delay_alu instid0(SALU_CYCLE_1)
	s_and_b32 vcc_lo, exec_lo, s7
	s_wait_alu 0xfffe
	s_cbranch_vccz .LBB62_16
.LBB62_13:
	v_cmp_gt_i32_e32 vcc_lo, s2, v1
	s_and_not1_b32 s2, s6, exec_lo
	s_and_b32 s4, vcc_lo, exec_lo
	s_wait_alu 0xfffe
	s_or_b32 s6, s2, s4
	s_wait_alu 0xfffe
	s_and_saveexec_b32 s2, s6
	s_cbranch_execnz .LBB62_17
.LBB62_14:
	s_endpgm
.LBB62_15:
                                        ; implicit-def: $vgpr2
	s_cbranch_execnz .LBB62_13
.LBB62_16:
	v_mov_b32_e32 v1, v2
	s_and_saveexec_b32 s2, s6
	s_cbranch_execz .LBB62_14
.LBB62_17:
	s_load_b256 s[4:11], s[0:1], 0x20
	s_delay_alu instid0(VALU_DEP_1) | instskip(SKIP_1) | instid1(VALU_DEP_2)
	v_ashrrev_i32_e32 v2, 31, v1
	v_and_b32_e32 v0, 15, v0
	v_lshlrev_b64_e32 v[2:3], 2, v[1:2]
	s_wait_kmcnt 0x0
	s_delay_alu instid0(VALU_DEP_1) | instskip(SKIP_1) | instid1(VALU_DEP_2)
	v_add_co_u32 v4, vcc_lo, s4, v2
	s_wait_alu 0xfffd
	v_add_co_ci_u32_e64 v5, null, s5, v3, vcc_lo
	v_add_co_u32 v2, vcc_lo, s6, v2
	s_wait_alu 0xfffd
	v_add_co_ci_u32_e64 v3, null, s7, v3, vcc_lo
	v_add_co_u32 v6, vcc_lo, v4, 4
	s_wait_alu 0xfffd
	v_add_co_ci_u32_e64 v7, null, 0, v5, vcc_lo
	s_cmp_eq_u64 s[6:7], 0
	global_load_b32 v4, v[4:5], off
	s_cselect_b32 vcc_lo, -1, 0
	s_load_b64 s[4:5], s[0:1], 0x40
	v_dual_cndmask_b32 v3, v3, v7 :: v_dual_cndmask_b32 v2, v2, v6
	s_cmp_eq_u32 s3, 1
	global_load_b32 v3, v[2:3], off
	s_wait_loadcnt 0x1
	v_subrev_nc_u32_e32 v2, s12, v4
	s_delay_alu instid0(VALU_DEP_1) | instskip(SKIP_2) | instid1(VALU_DEP_2)
	v_add_nc_u32_e32 v2, v2, v0
	s_wait_loadcnt 0x0
	v_subrev_nc_u32_e32 v13, s12, v3
	v_mad_co_i64_i32 v[4:5], null, v2, 9, s[10:11]
	s_delay_alu instid0(VALU_DEP_2)
	v_cmp_lt_i32_e64 s2, v2, v13
	s_cbranch_scc1 .LBB62_23
; %bb.18:
	v_dual_mov_b32 v10, 0 :: v_dual_mov_b32 v11, 0
	v_mov_b32_e32 v12, 0
	s_and_saveexec_b32 s3, s2
	s_cbranch_execz .LBB62_22
; %bb.19:
	v_dual_mov_b32 v10, 0 :: v_dual_mov_b32 v7, v5
	v_dual_mov_b32 v12, 0 :: v_dual_mov_b32 v11, 0
	v_mov_b32_e32 v6, v4
	v_mov_b32_e32 v8, v2
	s_mov_b32 s6, 0
.LBB62_20:                              ; =>This Inner Loop Header: Depth=1
	s_delay_alu instid0(VALU_DEP_1) | instskip(NEXT) | instid1(VALU_DEP_1)
	v_ashrrev_i32_e32 v9, 31, v8
	v_lshlrev_b64_e32 v[14:15], 2, v[8:9]
	v_add_nc_u32_e32 v8, 16, v8
	s_delay_alu instid0(VALU_DEP_2) | instskip(SKIP_1) | instid1(VALU_DEP_3)
	v_add_co_u32 v14, vcc_lo, s8, v14
	s_wait_alu 0xfffd
	v_add_co_ci_u32_e64 v15, null, s9, v15, vcc_lo
	global_load_b32 v3, v[14:15], off
	s_wait_loadcnt 0x0
	v_subrev_nc_u32_e32 v3, s12, v3
	s_delay_alu instid0(VALU_DEP_1) | instskip(NEXT) | instid1(VALU_DEP_1)
	v_lshl_add_u32 v3, v3, 1, v3
	v_ashrrev_i32_e32 v9, 31, v3
	s_wait_kmcnt 0x0
	v_add_co_u32 v14, vcc_lo, s4, v3
	s_wait_alu 0xfffd
	s_delay_alu instid0(VALU_DEP_2)
	v_add_co_ci_u32_e64 v15, null, s5, v9, vcc_lo
	s_clause 0x1
	global_load_b64 v[16:17], v[6:7], off
	global_load_i8 v3, v[6:7], off offset:8
	s_clause 0x1
	global_load_u16 v9, v[14:15], off
	global_load_i8 v14, v[14:15], off offset:2
	v_add_co_u32 v6, vcc_lo, 0x90, v6
	s_wait_alu 0xfffd
	v_add_co_ci_u32_e64 v7, null, 0, v7, vcc_lo
	v_cmp_ge_i32_e32 vcc_lo, v8, v13
	s_wait_alu 0xfffe
	s_or_b32 s6, vcc_lo, s6
	s_wait_loadcnt 0x3
	v_lshrrev_b32_e32 v15, 16, v16
	v_lshrrev_b32_e32 v18, 8, v16
	s_wait_loadcnt 0x1
	v_lshrrev_b32_e32 v20, 8, v9
	v_bfe_i32 v19, v16, 0, 8
	v_perm_b32 v16, v17, v16, 0xc050403
	v_bfe_i32 v15, v15, 0, 8
	v_bfe_i32 v18, v18, 0, 8
	;; [unrolled: 1-line block ×3, first 2 shown]
	v_perm_b32 v3, v3, v17, 0xc040302
	v_bfe_i32 v17, v9, 0, 8
	s_wait_loadcnt 0x0
	v_perm_b32 v9, v14, v9, 0xc040100
	v_perm_b32 v15, v15, v18, 0x5040100
	;; [unrolled: 1-line block ×3, first 2 shown]
	v_mad_i32_i24 v12, v17, v19, v12
	s_delay_alu instid0(VALU_DEP_4) | instskip(SKIP_1) | instid1(VALU_DEP_4)
	v_dot4_i32_iu8 v11, v9, v16, v11 neg_lo:[1,1,0]
	v_dot4_i32_iu8 v10, v9, v3, v10 neg_lo:[1,1,0]
	v_pk_mul_lo_u16 v15, v18, v15
	s_delay_alu instid0(VALU_DEP_1) | instskip(SKIP_1) | instid1(VALU_DEP_1)
	v_bfe_i32 v14, v15, 0, 16
	v_ashrrev_i32_e32 v15, 16, v15
	v_add3_u32 v12, v12, v14, v15
	s_wait_alu 0xfffe
	s_and_not1_b32 exec_lo, exec_lo, s6
	s_cbranch_execnz .LBB62_20
; %bb.21:
	s_or_b32 exec_lo, exec_lo, s6
.LBB62_22:
	s_wait_alu 0xfffe
	s_or_b32 exec_lo, exec_lo, s3
	s_cbranch_execz .LBB62_24
	s_branch .LBB62_29
.LBB62_23:
                                        ; implicit-def: $vgpr10
                                        ; implicit-def: $vgpr11
                                        ; implicit-def: $vgpr12
.LBB62_24:
	v_dual_mov_b32 v10, 0 :: v_dual_mov_b32 v11, 0
	v_mov_b32_e32 v12, 0
	s_and_saveexec_b32 s3, s2
	s_cbranch_execz .LBB62_28
; %bb.25:
	v_dual_mov_b32 v12, 0 :: v_dual_mov_b32 v11, 0
	v_mov_b32_e32 v10, 0
	s_mov_b32 s2, 0
.LBB62_26:                              ; =>This Inner Loop Header: Depth=1
	v_ashrrev_i32_e32 v3, 31, v2
	s_delay_alu instid0(VALU_DEP_1) | instskip(SKIP_1) | instid1(VALU_DEP_2)
	v_lshlrev_b64_e32 v[6:7], 2, v[2:3]
	v_add_nc_u32_e32 v2, 16, v2
	v_add_co_u32 v6, vcc_lo, s8, v6
	s_wait_alu 0xfffd
	s_delay_alu instid0(VALU_DEP_3)
	v_add_co_ci_u32_e64 v7, null, s9, v7, vcc_lo
	global_load_b32 v3, v[6:7], off
	global_load_b64 v[6:7], v[4:5], off
	s_wait_loadcnt 0x1
	v_subrev_nc_u32_e32 v3, s12, v3
	s_wait_loadcnt 0x0
	v_perm_b32 v15, v6, v6, 0xc0c0c02
	v_perm_b32 v16, v7, v6, 0xc0c0603
	s_delay_alu instid0(VALU_DEP_3) | instskip(NEXT) | instid1(VALU_DEP_1)
	v_lshl_add_u32 v3, v3, 1, v3
	v_ashrrev_i32_e32 v9, 31, v3
	s_wait_kmcnt 0x0
	v_add_co_u32 v8, vcc_lo, s4, v3
	s_wait_alu 0xfffd
	s_delay_alu instid0(VALU_DEP_2)
	v_add_co_ci_u32_e64 v9, null, s5, v9, vcc_lo
	global_load_i8 v3, v[4:5], off offset:8
	s_clause 0x1
	global_load_u16 v14, v[8:9], off
	global_load_i8 v8, v[8:9], off offset:2
	v_bfe_i32 v9, v6, 0, 8
	v_perm_b32 v6, v7, v6, 0xc070401
	v_add_co_u32 v4, vcc_lo, 0x90, v4
	s_wait_alu 0xfffd
	v_add_co_ci_u32_e64 v5, null, 0, v5, vcc_lo
	v_cmp_ge_i32_e32 vcc_lo, v2, v13
	s_wait_alu 0xfffe
	s_or_b32 s2, vcc_lo, s2
	s_wait_loadcnt 0x2
	v_perm_b32 v3, v3, v7, 0xc04010c
	s_wait_loadcnt 0x1
	v_bfe_i32 v7, v14, 0, 8
	s_delay_alu instid0(VALU_DEP_2) | instskip(SKIP_4) | instid1(VALU_DEP_2)
	v_or_b32_e32 v3, v3, v15
	s_wait_loadcnt 0x0
	v_perm_b32 v15, v8, v14, 0xc0c0401
	v_perm_b32 v8, v8, v14, 0xc040100
	v_mad_i32_i24 v7, v7, v9, v12
	v_dot4_i32_iu8 v11, v8, v6, v11 neg_lo:[1,1,0]
	v_dot4_i32_iu8 v10, v8, v3, v10 neg_lo:[1,1,0]
	s_delay_alu instid0(VALU_DEP_3)
	v_dot4_i32_iu8 v12, v15, v16, v7 neg_lo:[1,1,0]
	s_wait_alu 0xfffe
	s_and_not1_b32 exec_lo, exec_lo, s2
	s_cbranch_execnz .LBB62_26
; %bb.27:
	s_or_b32 exec_lo, exec_lo, s2
.LBB62_28:
	s_wait_alu 0xfffe
	s_or_b32 exec_lo, exec_lo, s3
.LBB62_29:
	v_mbcnt_lo_u32_b32 v2, -1, 0
	s_mov_b32 s2, -1
	s_delay_alu instid0(VALU_DEP_1) | instskip(SKIP_2) | instid1(VALU_DEP_3)
	v_xor_b32_e32 v3, 8, v2
	v_xor_b32_e32 v6, 4, v2
	;; [unrolled: 1-line block ×3, first 2 shown]
	v_cmp_gt_i32_e32 vcc_lo, 32, v3
	s_wait_alu 0xfffd
	v_cndmask_b32_e32 v3, v2, v3, vcc_lo
	v_cmp_gt_i32_e32 vcc_lo, 32, v6
	s_wait_alu 0xfffd
	v_cndmask_b32_e32 v6, v2, v6, vcc_lo
	v_cmp_gt_i32_e32 vcc_lo, 32, v9
	s_delay_alu instid0(VALU_DEP_2)
	v_lshlrev_b32_e32 v6, 2, v6
	v_lshlrev_b32_e32 v3, 2, v3
	s_wait_alu 0xfffd
	v_cndmask_b32_e32 v9, v2, v9, vcc_lo
	ds_bpermute_b32 v4, v3, v12
	ds_bpermute_b32 v5, v3, v11
	;; [unrolled: 1-line block ×3, first 2 shown]
	v_lshlrev_b32_e32 v9, 2, v9
	s_wait_dscnt 0x2
	v_add_nc_u32_e32 v4, v4, v12
	s_wait_dscnt 0x1
	v_add_nc_u32_e32 v5, v5, v11
	;; [unrolled: 2-line block ×3, first 2 shown]
	ds_bpermute_b32 v7, v6, v4
	ds_bpermute_b32 v8, v6, v5
	;; [unrolled: 1-line block ×3, first 2 shown]
	s_wait_dscnt 0x2
	v_add_nc_u32_e32 v4, v7, v4
	s_wait_dscnt 0x1
	v_add_nc_u32_e32 v5, v8, v5
	;; [unrolled: 2-line block ×3, first 2 shown]
	ds_bpermute_b32 v3, v9, v4
	ds_bpermute_b32 v7, v9, v5
	ds_bpermute_b32 v8, v9, v6
	v_xor_b32_e32 v9, 1, v2
	s_delay_alu instid0(VALU_DEP_1) | instskip(SKIP_3) | instid1(VALU_DEP_2)
	v_cmp_gt_i32_e32 vcc_lo, 32, v9
	s_wait_alu 0xfffd
	v_cndmask_b32_e32 v2, v2, v9, vcc_lo
	v_cmp_eq_u32_e32 vcc_lo, 15, v0
	v_lshlrev_b32_e32 v9, 2, v2
	s_wait_dscnt 0x2
	v_add_nc_u32_e32 v2, v3, v4
	s_wait_dscnt 0x1
	v_add_nc_u32_e32 v3, v7, v5
	;; [unrolled: 2-line block ×3, first 2 shown]
	ds_bpermute_b32 v5, v9, v2
	ds_bpermute_b32 v6, v9, v3
	;; [unrolled: 1-line block ×3, first 2 shown]
	s_and_b32 exec_lo, exec_lo, vcc_lo
	s_cbranch_execz .LBB62_14
; %bb.30:
	s_load_b64 s[0:1], s[0:1], 0x50
	s_wait_dscnt 0x2
	v_add_nc_u32_e32 v0, v5, v2
	s_wait_dscnt 0x1
	v_add_nc_u32_e32 v2, v6, v3
	;; [unrolled: 2-line block ×3, first 2 shown]
	v_lshl_add_u32 v3, v1, 1, v1
	s_cmp_eq_u32 s14, 0
	v_mul_lo_u32 v0, v0, s13
	v_mul_lo_u32 v1, v2, s13
	;; [unrolled: 1-line block ×3, first 2 shown]
	v_ashrrev_i32_e32 v4, 31, v3
	s_cbranch_scc1 .LBB62_32
; %bb.31:
	s_delay_alu instid0(VALU_DEP_1) | instskip(SKIP_2) | instid1(VALU_DEP_1)
	v_lshlrev_b64_e32 v[5:6], 2, v[3:4]
	s_mov_b32 s2, 0
	s_wait_kmcnt 0x0
	v_add_co_u32 v10, vcc_lo, s0, v5
	s_wait_alu 0xfffd
	s_delay_alu instid0(VALU_DEP_2)
	v_add_co_ci_u32_e64 v11, null, s1, v6, vcc_lo
	global_load_b96 v[5:7], v[10:11], off
	s_wait_loadcnt 0x0
	v_mad_co_u64_u32 v[12:13], null, v7, s14, v[2:3]
	v_mad_co_u64_u32 v[7:8], null, v5, s14, v[0:1]
	;; [unrolled: 1-line block ×3, first 2 shown]
	s_delay_alu instid0(VALU_DEP_3)
	v_mov_b32_e32 v9, v12
	global_store_b96 v[10:11], v[7:9], off
.LBB62_32:
	s_wait_alu 0xfffe
	s_and_not1_b32 vcc_lo, exec_lo, s2
	s_wait_alu 0xfffe
	s_cbranch_vccnz .LBB62_14
; %bb.33:
	v_lshlrev_b64_e32 v[3:4], 2, v[3:4]
	s_wait_kmcnt 0x0
	s_delay_alu instid0(VALU_DEP_1) | instskip(SKIP_1) | instid1(VALU_DEP_2)
	v_add_co_u32 v3, vcc_lo, s0, v3
	s_wait_alu 0xfffd
	v_add_co_ci_u32_e64 v4, null, s1, v4, vcc_lo
	global_store_b96 v[3:4], v[0:2], off
	s_endpgm
	.section	.rodata,"a",@progbits
	.p2align	6, 0x0
	.amdhsa_kernel _ZN9rocsparseL18bsrxmvn_3x3_kernelILj256ELj16EiiiaaiEEvT3_20rocsparse_direction_NS_24const_host_device_scalarIT1_EES1_PKS1_PKT2_SA_S7_PKT4_PKT5_S5_PT6_21rocsparse_index_base_b
		.amdhsa_group_segment_fixed_size 0
		.amdhsa_private_segment_fixed_size 0
		.amdhsa_kernarg_size 96
		.amdhsa_user_sgpr_count 2
		.amdhsa_user_sgpr_dispatch_ptr 0
		.amdhsa_user_sgpr_queue_ptr 0
		.amdhsa_user_sgpr_kernarg_segment_ptr 1
		.amdhsa_user_sgpr_dispatch_id 0
		.amdhsa_user_sgpr_private_segment_size 0
		.amdhsa_wavefront_size32 1
		.amdhsa_uses_dynamic_stack 0
		.amdhsa_enable_private_segment 0
		.amdhsa_system_sgpr_workgroup_id_x 1
		.amdhsa_system_sgpr_workgroup_id_y 0
		.amdhsa_system_sgpr_workgroup_id_z 0
		.amdhsa_system_sgpr_workgroup_info 0
		.amdhsa_system_vgpr_workitem_id 0
		.amdhsa_next_free_vgpr 21
		.amdhsa_next_free_sgpr 15
		.amdhsa_reserve_vcc 1
		.amdhsa_float_round_mode_32 0
		.amdhsa_float_round_mode_16_64 0
		.amdhsa_float_denorm_mode_32 3
		.amdhsa_float_denorm_mode_16_64 3
		.amdhsa_fp16_overflow 0
		.amdhsa_workgroup_processor_mode 1
		.amdhsa_memory_ordered 1
		.amdhsa_forward_progress 1
		.amdhsa_inst_pref_size 16
		.amdhsa_round_robin_scheduling 0
		.amdhsa_exception_fp_ieee_invalid_op 0
		.amdhsa_exception_fp_denorm_src 0
		.amdhsa_exception_fp_ieee_div_zero 0
		.amdhsa_exception_fp_ieee_overflow 0
		.amdhsa_exception_fp_ieee_underflow 0
		.amdhsa_exception_fp_ieee_inexact 0
		.amdhsa_exception_int_div_zero 0
	.end_amdhsa_kernel
	.section	.text._ZN9rocsparseL18bsrxmvn_3x3_kernelILj256ELj16EiiiaaiEEvT3_20rocsparse_direction_NS_24const_host_device_scalarIT1_EES1_PKS1_PKT2_SA_S7_PKT4_PKT5_S5_PT6_21rocsparse_index_base_b,"axG",@progbits,_ZN9rocsparseL18bsrxmvn_3x3_kernelILj256ELj16EiiiaaiEEvT3_20rocsparse_direction_NS_24const_host_device_scalarIT1_EES1_PKS1_PKT2_SA_S7_PKT4_PKT5_S5_PT6_21rocsparse_index_base_b,comdat
.Lfunc_end62:
	.size	_ZN9rocsparseL18bsrxmvn_3x3_kernelILj256ELj16EiiiaaiEEvT3_20rocsparse_direction_NS_24const_host_device_scalarIT1_EES1_PKS1_PKT2_SA_S7_PKT4_PKT5_S5_PT6_21rocsparse_index_base_b, .Lfunc_end62-_ZN9rocsparseL18bsrxmvn_3x3_kernelILj256ELj16EiiiaaiEEvT3_20rocsparse_direction_NS_24const_host_device_scalarIT1_EES1_PKS1_PKT2_SA_S7_PKT4_PKT5_S5_PT6_21rocsparse_index_base_b
                                        ; -- End function
	.set _ZN9rocsparseL18bsrxmvn_3x3_kernelILj256ELj16EiiiaaiEEvT3_20rocsparse_direction_NS_24const_host_device_scalarIT1_EES1_PKS1_PKT2_SA_S7_PKT4_PKT5_S5_PT6_21rocsparse_index_base_b.num_vgpr, 21
	.set _ZN9rocsparseL18bsrxmvn_3x3_kernelILj256ELj16EiiiaaiEEvT3_20rocsparse_direction_NS_24const_host_device_scalarIT1_EES1_PKS1_PKT2_SA_S7_PKT4_PKT5_S5_PT6_21rocsparse_index_base_b.num_agpr, 0
	.set _ZN9rocsparseL18bsrxmvn_3x3_kernelILj256ELj16EiiiaaiEEvT3_20rocsparse_direction_NS_24const_host_device_scalarIT1_EES1_PKS1_PKT2_SA_S7_PKT4_PKT5_S5_PT6_21rocsparse_index_base_b.numbered_sgpr, 15
	.set _ZN9rocsparseL18bsrxmvn_3x3_kernelILj256ELj16EiiiaaiEEvT3_20rocsparse_direction_NS_24const_host_device_scalarIT1_EES1_PKS1_PKT2_SA_S7_PKT4_PKT5_S5_PT6_21rocsparse_index_base_b.num_named_barrier, 0
	.set _ZN9rocsparseL18bsrxmvn_3x3_kernelILj256ELj16EiiiaaiEEvT3_20rocsparse_direction_NS_24const_host_device_scalarIT1_EES1_PKS1_PKT2_SA_S7_PKT4_PKT5_S5_PT6_21rocsparse_index_base_b.private_seg_size, 0
	.set _ZN9rocsparseL18bsrxmvn_3x3_kernelILj256ELj16EiiiaaiEEvT3_20rocsparse_direction_NS_24const_host_device_scalarIT1_EES1_PKS1_PKT2_SA_S7_PKT4_PKT5_S5_PT6_21rocsparse_index_base_b.uses_vcc, 1
	.set _ZN9rocsparseL18bsrxmvn_3x3_kernelILj256ELj16EiiiaaiEEvT3_20rocsparse_direction_NS_24const_host_device_scalarIT1_EES1_PKS1_PKT2_SA_S7_PKT4_PKT5_S5_PT6_21rocsparse_index_base_b.uses_flat_scratch, 0
	.set _ZN9rocsparseL18bsrxmvn_3x3_kernelILj256ELj16EiiiaaiEEvT3_20rocsparse_direction_NS_24const_host_device_scalarIT1_EES1_PKS1_PKT2_SA_S7_PKT4_PKT5_S5_PT6_21rocsparse_index_base_b.has_dyn_sized_stack, 0
	.set _ZN9rocsparseL18bsrxmvn_3x3_kernelILj256ELj16EiiiaaiEEvT3_20rocsparse_direction_NS_24const_host_device_scalarIT1_EES1_PKS1_PKT2_SA_S7_PKT4_PKT5_S5_PT6_21rocsparse_index_base_b.has_recursion, 0
	.set _ZN9rocsparseL18bsrxmvn_3x3_kernelILj256ELj16EiiiaaiEEvT3_20rocsparse_direction_NS_24const_host_device_scalarIT1_EES1_PKS1_PKT2_SA_S7_PKT4_PKT5_S5_PT6_21rocsparse_index_base_b.has_indirect_call, 0
	.section	.AMDGPU.csdata,"",@progbits
; Kernel info:
; codeLenInByte = 1976
; TotalNumSgprs: 17
; NumVgprs: 21
; ScratchSize: 0
; MemoryBound: 0
; FloatMode: 240
; IeeeMode: 1
; LDSByteSize: 0 bytes/workgroup (compile time only)
; SGPRBlocks: 0
; VGPRBlocks: 2
; NumSGPRsForWavesPerEU: 17
; NumVGPRsForWavesPerEU: 21
; Occupancy: 16
; WaveLimiterHint : 1
; COMPUTE_PGM_RSRC2:SCRATCH_EN: 0
; COMPUTE_PGM_RSRC2:USER_SGPR: 2
; COMPUTE_PGM_RSRC2:TRAP_HANDLER: 0
; COMPUTE_PGM_RSRC2:TGID_X_EN: 1
; COMPUTE_PGM_RSRC2:TGID_Y_EN: 0
; COMPUTE_PGM_RSRC2:TGID_Z_EN: 0
; COMPUTE_PGM_RSRC2:TIDIG_COMP_CNT: 0
	.section	.text._ZN9rocsparseL18bsrxmvn_3x3_kernelILj256ELj32EiiiaaiEEvT3_20rocsparse_direction_NS_24const_host_device_scalarIT1_EES1_PKS1_PKT2_SA_S7_PKT4_PKT5_S5_PT6_21rocsparse_index_base_b,"axG",@progbits,_ZN9rocsparseL18bsrxmvn_3x3_kernelILj256ELj32EiiiaaiEEvT3_20rocsparse_direction_NS_24const_host_device_scalarIT1_EES1_PKS1_PKT2_SA_S7_PKT4_PKT5_S5_PT6_21rocsparse_index_base_b,comdat
	.globl	_ZN9rocsparseL18bsrxmvn_3x3_kernelILj256ELj32EiiiaaiEEvT3_20rocsparse_direction_NS_24const_host_device_scalarIT1_EES1_PKS1_PKT2_SA_S7_PKT4_PKT5_S5_PT6_21rocsparse_index_base_b ; -- Begin function _ZN9rocsparseL18bsrxmvn_3x3_kernelILj256ELj32EiiiaaiEEvT3_20rocsparse_direction_NS_24const_host_device_scalarIT1_EES1_PKS1_PKT2_SA_S7_PKT4_PKT5_S5_PT6_21rocsparse_index_base_b
	.p2align	8
	.type	_ZN9rocsparseL18bsrxmvn_3x3_kernelILj256ELj32EiiiaaiEEvT3_20rocsparse_direction_NS_24const_host_device_scalarIT1_EES1_PKS1_PKT2_SA_S7_PKT4_PKT5_S5_PT6_21rocsparse_index_base_b,@function
_ZN9rocsparseL18bsrxmvn_3x3_kernelILj256ELj32EiiiaaiEEvT3_20rocsparse_direction_NS_24const_host_device_scalarIT1_EES1_PKS1_PKT2_SA_S7_PKT4_PKT5_S5_PT6_21rocsparse_index_base_b: ; @_ZN9rocsparseL18bsrxmvn_3x3_kernelILj256ELj32EiiiaaiEEvT3_20rocsparse_direction_NS_24const_host_device_scalarIT1_EES1_PKS1_PKT2_SA_S7_PKT4_PKT5_S5_PT6_21rocsparse_index_base_b
; %bb.0:
	s_clause 0x1
	s_load_b64 s[12:13], s[0:1], 0x58
	s_load_b64 s[4:5], s[0:1], 0x8
	s_mov_b32 s7, -1
	s_wait_kmcnt 0x0
	s_bitcmp1_b32 s13, 0
                                        ; implicit-def: $sgpr13
	s_cselect_b32 s2, -1, 0
	s_delay_alu instid0(SALU_CYCLE_1) | instskip(NEXT) | instid1(SALU_CYCLE_1)
	s_xor_b32 s6, s2, -1
	s_and_b32 vcc_lo, exec_lo, s6
	s_cbranch_vccnz .LBB63_4
; %bb.1:
	s_load_b64 s[2:3], s[0:1], 0x48
	s_and_not1_b32 vcc_lo, exec_lo, s7
	s_cbranch_vccz .LBB63_5
.LBB63_2:
	s_and_b32 vcc_lo, exec_lo, s6
	s_cbranch_vccz .LBB63_6
.LBB63_3:
	s_wait_kmcnt 0x0
	s_load_b32 s14, s[2:3], 0x0
	s_cbranch_execz .LBB63_7
	s_branch .LBB63_8
.LBB63_4:
	s_load_b32 s13, s[4:5], 0x0
	s_load_b64 s[2:3], s[0:1], 0x48
	s_cbranch_execnz .LBB63_2
.LBB63_5:
	s_wait_kmcnt 0x0
	s_mov_b32 s13, s4
	s_and_b32 vcc_lo, exec_lo, s6
	s_cbranch_vccnz .LBB63_3
.LBB63_6:
	s_wait_kmcnt 0x0
                                        ; implicit-def: $sgpr14
.LBB63_7:
	s_wait_kmcnt 0x0
	s_mov_b32 s14, s2
.LBB63_8:
	s_cmp_lg_u32 s13, 0
	s_mov_b32 s6, 0
	s_cselect_b32 s2, -1, 0
	s_wait_kmcnt 0x0
	s_cmp_lg_u32 s14, 1
	s_cselect_b32 s3, -1, 0
	s_delay_alu instid0(SALU_CYCLE_1) | instskip(NEXT) | instid1(SALU_CYCLE_1)
	s_or_b32 s2, s2, s3
	s_and_not1_b32 vcc_lo, exec_lo, s2
	s_cbranch_vccnz .LBB63_14
; %bb.9:
	s_clause 0x1
	s_load_b64 s[4:5], s[0:1], 0x18
	s_load_b64 s[2:3], s[0:1], 0x0
	v_lshrrev_b32_e32 v1, 5, v0
	s_delay_alu instid0(VALU_DEP_1)
	v_lshl_or_b32 v1, ttmp9, 3, v1
	s_wait_kmcnt 0x0
	s_cmp_lg_u64 s[4:5], 0
	s_cbranch_scc0 .LBB63_15
; %bb.10:
	s_load_b32 s6, s[0:1], 0x10
	s_mov_b32 s7, 0
                                        ; implicit-def: $vgpr2
	s_wait_kmcnt 0x0
	v_cmp_gt_i32_e32 vcc_lo, s6, v1
	s_mov_b32 s6, 0
	s_and_saveexec_b32 s8, vcc_lo
	s_delay_alu instid0(SALU_CYCLE_1)
	s_xor_b32 s8, exec_lo, s8
	s_cbranch_execz .LBB63_12
; %bb.11:
	v_ashrrev_i32_e32 v2, 31, v1
	s_mov_b32 s6, exec_lo
	s_delay_alu instid0(VALU_DEP_1) | instskip(NEXT) | instid1(VALU_DEP_1)
	v_lshlrev_b64_e32 v[2:3], 2, v[1:2]
	v_add_co_u32 v2, vcc_lo, s4, v2
	s_delay_alu instid0(VALU_DEP_1)
	v_add_co_ci_u32_e64 v3, null, s5, v3, vcc_lo
	global_load_b32 v2, v[2:3], off
	s_wait_loadcnt 0x0
	v_subrev_nc_u32_e32 v2, s12, v2
.LBB63_12:
	s_or_b32 exec_lo, exec_lo, s8
	s_delay_alu instid0(SALU_CYCLE_1)
	s_and_b32 vcc_lo, exec_lo, s7
	s_wait_alu 0xfffe
	s_cbranch_vccz .LBB63_16
.LBB63_13:
	v_cmp_gt_i32_e32 vcc_lo, s2, v1
	s_and_not1_b32 s2, s6, exec_lo
	s_and_b32 s4, vcc_lo, exec_lo
	s_wait_alu 0xfffe
	s_or_b32 s6, s2, s4
	s_wait_alu 0xfffe
	s_and_saveexec_b32 s2, s6
	s_cbranch_execnz .LBB63_17
.LBB63_14:
	s_endpgm
.LBB63_15:
                                        ; implicit-def: $vgpr2
	s_cbranch_execnz .LBB63_13
.LBB63_16:
	v_mov_b32_e32 v1, v2
	s_and_saveexec_b32 s2, s6
	s_cbranch_execz .LBB63_14
.LBB63_17:
	s_load_b256 s[4:11], s[0:1], 0x20
	s_delay_alu instid0(VALU_DEP_1) | instskip(SKIP_1) | instid1(VALU_DEP_2)
	v_ashrrev_i32_e32 v2, 31, v1
	v_and_b32_e32 v0, 31, v0
	v_lshlrev_b64_e32 v[2:3], 2, v[1:2]
	s_wait_kmcnt 0x0
	s_delay_alu instid0(VALU_DEP_1) | instskip(SKIP_1) | instid1(VALU_DEP_2)
	v_add_co_u32 v4, vcc_lo, s4, v2
	s_wait_alu 0xfffd
	v_add_co_ci_u32_e64 v5, null, s5, v3, vcc_lo
	v_add_co_u32 v2, vcc_lo, s6, v2
	s_wait_alu 0xfffd
	v_add_co_ci_u32_e64 v3, null, s7, v3, vcc_lo
	;; [unrolled: 3-line block ×3, first 2 shown]
	s_cmp_eq_u64 s[6:7], 0
	global_load_b32 v4, v[4:5], off
	s_cselect_b32 vcc_lo, -1, 0
	s_load_b64 s[4:5], s[0:1], 0x40
	v_dual_cndmask_b32 v3, v3, v7 :: v_dual_cndmask_b32 v2, v2, v6
	s_cmp_eq_u32 s3, 1
	global_load_b32 v3, v[2:3], off
	s_wait_loadcnt 0x1
	v_subrev_nc_u32_e32 v2, s12, v4
	s_delay_alu instid0(VALU_DEP_1) | instskip(SKIP_2) | instid1(VALU_DEP_2)
	v_add_nc_u32_e32 v2, v2, v0
	s_wait_loadcnt 0x0
	v_subrev_nc_u32_e32 v13, s12, v3
	v_mad_co_i64_i32 v[4:5], null, v2, 9, s[10:11]
	s_delay_alu instid0(VALU_DEP_2)
	v_cmp_lt_i32_e64 s2, v2, v13
	s_cbranch_scc1 .LBB63_23
; %bb.18:
	v_dual_mov_b32 v10, 0 :: v_dual_mov_b32 v11, 0
	v_mov_b32_e32 v12, 0
	s_and_saveexec_b32 s3, s2
	s_cbranch_execz .LBB63_22
; %bb.19:
	v_dual_mov_b32 v10, 0 :: v_dual_mov_b32 v7, v5
	v_dual_mov_b32 v12, 0 :: v_dual_mov_b32 v11, 0
	v_mov_b32_e32 v6, v4
	v_mov_b32_e32 v8, v2
	s_mov_b32 s6, 0
.LBB63_20:                              ; =>This Inner Loop Header: Depth=1
	s_delay_alu instid0(VALU_DEP_1) | instskip(NEXT) | instid1(VALU_DEP_1)
	v_ashrrev_i32_e32 v9, 31, v8
	v_lshlrev_b64_e32 v[14:15], 2, v[8:9]
	v_add_nc_u32_e32 v8, 32, v8
	s_delay_alu instid0(VALU_DEP_2) | instskip(SKIP_1) | instid1(VALU_DEP_3)
	v_add_co_u32 v14, vcc_lo, s8, v14
	s_wait_alu 0xfffd
	v_add_co_ci_u32_e64 v15, null, s9, v15, vcc_lo
	global_load_b32 v3, v[14:15], off
	s_wait_loadcnt 0x0
	v_subrev_nc_u32_e32 v3, s12, v3
	s_delay_alu instid0(VALU_DEP_1) | instskip(NEXT) | instid1(VALU_DEP_1)
	v_lshl_add_u32 v3, v3, 1, v3
	v_ashrrev_i32_e32 v9, 31, v3
	s_wait_kmcnt 0x0
	v_add_co_u32 v14, vcc_lo, s4, v3
	s_wait_alu 0xfffd
	s_delay_alu instid0(VALU_DEP_2)
	v_add_co_ci_u32_e64 v15, null, s5, v9, vcc_lo
	s_clause 0x1
	global_load_b64 v[16:17], v[6:7], off
	global_load_i8 v3, v[6:7], off offset:8
	s_clause 0x1
	global_load_u16 v9, v[14:15], off
	global_load_i8 v14, v[14:15], off offset:2
	v_add_co_u32 v6, vcc_lo, 0x120, v6
	s_wait_alu 0xfffd
	v_add_co_ci_u32_e64 v7, null, 0, v7, vcc_lo
	v_cmp_ge_i32_e32 vcc_lo, v8, v13
	s_wait_alu 0xfffe
	s_or_b32 s6, vcc_lo, s6
	s_wait_loadcnt 0x3
	v_lshrrev_b32_e32 v15, 16, v16
	v_lshrrev_b32_e32 v18, 8, v16
	s_wait_loadcnt 0x1
	v_lshrrev_b32_e32 v20, 8, v9
	v_bfe_i32 v19, v16, 0, 8
	v_perm_b32 v16, v17, v16, 0xc050403
	v_bfe_i32 v15, v15, 0, 8
	v_bfe_i32 v18, v18, 0, 8
	;; [unrolled: 1-line block ×3, first 2 shown]
	v_perm_b32 v3, v3, v17, 0xc040302
	v_bfe_i32 v17, v9, 0, 8
	s_wait_loadcnt 0x0
	v_perm_b32 v9, v14, v9, 0xc040100
	v_perm_b32 v15, v15, v18, 0x5040100
	;; [unrolled: 1-line block ×3, first 2 shown]
	v_mad_i32_i24 v12, v17, v19, v12
	s_delay_alu instid0(VALU_DEP_4) | instskip(SKIP_1) | instid1(VALU_DEP_4)
	v_dot4_i32_iu8 v11, v9, v16, v11 neg_lo:[1,1,0]
	v_dot4_i32_iu8 v10, v9, v3, v10 neg_lo:[1,1,0]
	v_pk_mul_lo_u16 v15, v18, v15
	s_delay_alu instid0(VALU_DEP_1) | instskip(SKIP_1) | instid1(VALU_DEP_1)
	v_bfe_i32 v14, v15, 0, 16
	v_ashrrev_i32_e32 v15, 16, v15
	v_add3_u32 v12, v12, v14, v15
	s_wait_alu 0xfffe
	s_and_not1_b32 exec_lo, exec_lo, s6
	s_cbranch_execnz .LBB63_20
; %bb.21:
	s_or_b32 exec_lo, exec_lo, s6
.LBB63_22:
	s_wait_alu 0xfffe
	s_or_b32 exec_lo, exec_lo, s3
	s_cbranch_execz .LBB63_24
	s_branch .LBB63_29
.LBB63_23:
                                        ; implicit-def: $vgpr10
                                        ; implicit-def: $vgpr11
                                        ; implicit-def: $vgpr12
.LBB63_24:
	v_dual_mov_b32 v10, 0 :: v_dual_mov_b32 v11, 0
	v_mov_b32_e32 v12, 0
	s_and_saveexec_b32 s3, s2
	s_cbranch_execz .LBB63_28
; %bb.25:
	v_dual_mov_b32 v12, 0 :: v_dual_mov_b32 v11, 0
	v_mov_b32_e32 v10, 0
	s_mov_b32 s2, 0
.LBB63_26:                              ; =>This Inner Loop Header: Depth=1
	v_ashrrev_i32_e32 v3, 31, v2
	s_delay_alu instid0(VALU_DEP_1) | instskip(SKIP_1) | instid1(VALU_DEP_2)
	v_lshlrev_b64_e32 v[6:7], 2, v[2:3]
	v_add_nc_u32_e32 v2, 32, v2
	v_add_co_u32 v6, vcc_lo, s8, v6
	s_wait_alu 0xfffd
	s_delay_alu instid0(VALU_DEP_3)
	v_add_co_ci_u32_e64 v7, null, s9, v7, vcc_lo
	global_load_b32 v3, v[6:7], off
	global_load_b64 v[6:7], v[4:5], off
	s_wait_loadcnt 0x1
	v_subrev_nc_u32_e32 v3, s12, v3
	s_wait_loadcnt 0x0
	v_perm_b32 v15, v6, v6, 0xc0c0c02
	v_perm_b32 v16, v7, v6, 0xc0c0603
	s_delay_alu instid0(VALU_DEP_3) | instskip(NEXT) | instid1(VALU_DEP_1)
	v_lshl_add_u32 v3, v3, 1, v3
	v_ashrrev_i32_e32 v9, 31, v3
	s_wait_kmcnt 0x0
	v_add_co_u32 v8, vcc_lo, s4, v3
	s_wait_alu 0xfffd
	s_delay_alu instid0(VALU_DEP_2)
	v_add_co_ci_u32_e64 v9, null, s5, v9, vcc_lo
	global_load_i8 v3, v[4:5], off offset:8
	s_clause 0x1
	global_load_u16 v14, v[8:9], off
	global_load_i8 v8, v[8:9], off offset:2
	v_bfe_i32 v9, v6, 0, 8
	v_perm_b32 v6, v7, v6, 0xc070401
	v_add_co_u32 v4, vcc_lo, 0x120, v4
	s_wait_alu 0xfffd
	v_add_co_ci_u32_e64 v5, null, 0, v5, vcc_lo
	v_cmp_ge_i32_e32 vcc_lo, v2, v13
	s_wait_alu 0xfffe
	s_or_b32 s2, vcc_lo, s2
	s_wait_loadcnt 0x2
	v_perm_b32 v3, v3, v7, 0xc04010c
	s_wait_loadcnt 0x1
	v_bfe_i32 v7, v14, 0, 8
	s_delay_alu instid0(VALU_DEP_2) | instskip(SKIP_4) | instid1(VALU_DEP_2)
	v_or_b32_e32 v3, v3, v15
	s_wait_loadcnt 0x0
	v_perm_b32 v15, v8, v14, 0xc0c0401
	v_perm_b32 v8, v8, v14, 0xc040100
	v_mad_i32_i24 v7, v7, v9, v12
	v_dot4_i32_iu8 v11, v8, v6, v11 neg_lo:[1,1,0]
	v_dot4_i32_iu8 v10, v8, v3, v10 neg_lo:[1,1,0]
	s_delay_alu instid0(VALU_DEP_3)
	v_dot4_i32_iu8 v12, v15, v16, v7 neg_lo:[1,1,0]
	s_wait_alu 0xfffe
	s_and_not1_b32 exec_lo, exec_lo, s2
	s_cbranch_execnz .LBB63_26
; %bb.27:
	s_or_b32 exec_lo, exec_lo, s2
.LBB63_28:
	s_wait_alu 0xfffe
	s_or_b32 exec_lo, exec_lo, s3
.LBB63_29:
	v_mbcnt_lo_u32_b32 v2, -1, 0
	s_mov_b32 s2, -1
	s_delay_alu instid0(VALU_DEP_1) | instskip(SKIP_2) | instid1(VALU_DEP_3)
	v_xor_b32_e32 v3, 16, v2
	v_xor_b32_e32 v6, 8, v2
	;; [unrolled: 1-line block ×3, first 2 shown]
	v_cmp_gt_i32_e32 vcc_lo, 32, v3
	s_wait_alu 0xfffd
	v_cndmask_b32_e32 v3, v2, v3, vcc_lo
	v_cmp_gt_i32_e32 vcc_lo, 32, v6
	s_wait_alu 0xfffd
	v_cndmask_b32_e32 v6, v2, v6, vcc_lo
	v_cmp_gt_i32_e32 vcc_lo, 32, v9
	s_delay_alu instid0(VALU_DEP_2)
	v_lshlrev_b32_e32 v6, 2, v6
	v_lshlrev_b32_e32 v3, 2, v3
	s_wait_alu 0xfffd
	v_cndmask_b32_e32 v9, v2, v9, vcc_lo
	ds_bpermute_b32 v4, v3, v12
	ds_bpermute_b32 v5, v3, v11
	;; [unrolled: 1-line block ×3, first 2 shown]
	v_lshlrev_b32_e32 v9, 2, v9
	s_wait_dscnt 0x2
	v_add_nc_u32_e32 v4, v4, v12
	s_wait_dscnt 0x1
	v_add_nc_u32_e32 v5, v5, v11
	;; [unrolled: 2-line block ×3, first 2 shown]
	ds_bpermute_b32 v7, v6, v4
	ds_bpermute_b32 v8, v6, v5
	;; [unrolled: 1-line block ×3, first 2 shown]
	s_wait_dscnt 0x2
	v_add_nc_u32_e32 v4, v7, v4
	s_wait_dscnt 0x1
	v_add_nc_u32_e32 v5, v8, v5
	;; [unrolled: 2-line block ×3, first 2 shown]
	ds_bpermute_b32 v6, v9, v4
	ds_bpermute_b32 v7, v9, v5
	;; [unrolled: 1-line block ×3, first 2 shown]
	v_xor_b32_e32 v9, 2, v2
	s_delay_alu instid0(VALU_DEP_1) | instskip(SKIP_2) | instid1(VALU_DEP_1)
	v_cmp_gt_i32_e32 vcc_lo, 32, v9
	s_wait_alu 0xfffd
	v_cndmask_b32_e32 v9, v2, v9, vcc_lo
	v_lshlrev_b32_e32 v9, 2, v9
	s_wait_dscnt 0x2
	v_add_nc_u32_e32 v4, v6, v4
	s_wait_dscnt 0x1
	v_add_nc_u32_e32 v5, v7, v5
	;; [unrolled: 2-line block ×3, first 2 shown]
	ds_bpermute_b32 v3, v9, v4
	ds_bpermute_b32 v7, v9, v5
	;; [unrolled: 1-line block ×3, first 2 shown]
	v_xor_b32_e32 v9, 1, v2
	s_delay_alu instid0(VALU_DEP_1) | instskip(SKIP_3) | instid1(VALU_DEP_2)
	v_cmp_gt_i32_e32 vcc_lo, 32, v9
	s_wait_alu 0xfffd
	v_cndmask_b32_e32 v2, v2, v9, vcc_lo
	v_cmp_eq_u32_e32 vcc_lo, 31, v0
	v_lshlrev_b32_e32 v9, 2, v2
	s_wait_dscnt 0x2
	v_add_nc_u32_e32 v2, v3, v4
	s_wait_dscnt 0x1
	v_add_nc_u32_e32 v3, v7, v5
	;; [unrolled: 2-line block ×3, first 2 shown]
	ds_bpermute_b32 v5, v9, v2
	ds_bpermute_b32 v6, v9, v3
	ds_bpermute_b32 v7, v9, v4
	s_and_b32 exec_lo, exec_lo, vcc_lo
	s_cbranch_execz .LBB63_14
; %bb.30:
	s_load_b64 s[0:1], s[0:1], 0x50
	s_wait_dscnt 0x2
	v_add_nc_u32_e32 v0, v5, v2
	s_wait_dscnt 0x1
	v_add_nc_u32_e32 v2, v6, v3
	s_wait_dscnt 0x0
	v_add_nc_u32_e32 v4, v7, v4
	v_lshl_add_u32 v3, v1, 1, v1
	s_cmp_eq_u32 s14, 0
	v_mul_lo_u32 v0, v0, s13
	v_mul_lo_u32 v1, v2, s13
	;; [unrolled: 1-line block ×3, first 2 shown]
	v_ashrrev_i32_e32 v4, 31, v3
	s_cbranch_scc1 .LBB63_32
; %bb.31:
	s_delay_alu instid0(VALU_DEP_1) | instskip(SKIP_2) | instid1(VALU_DEP_1)
	v_lshlrev_b64_e32 v[5:6], 2, v[3:4]
	s_mov_b32 s2, 0
	s_wait_kmcnt 0x0
	v_add_co_u32 v10, vcc_lo, s0, v5
	s_wait_alu 0xfffd
	s_delay_alu instid0(VALU_DEP_2)
	v_add_co_ci_u32_e64 v11, null, s1, v6, vcc_lo
	global_load_b96 v[5:7], v[10:11], off
	s_wait_loadcnt 0x0
	v_mad_co_u64_u32 v[12:13], null, v7, s14, v[2:3]
	v_mad_co_u64_u32 v[7:8], null, v5, s14, v[0:1]
	;; [unrolled: 1-line block ×3, first 2 shown]
	s_delay_alu instid0(VALU_DEP_3)
	v_mov_b32_e32 v9, v12
	global_store_b96 v[10:11], v[7:9], off
.LBB63_32:
	s_wait_alu 0xfffe
	s_and_not1_b32 vcc_lo, exec_lo, s2
	s_wait_alu 0xfffe
	s_cbranch_vccnz .LBB63_14
; %bb.33:
	v_lshlrev_b64_e32 v[3:4], 2, v[3:4]
	s_wait_kmcnt 0x0
	s_delay_alu instid0(VALU_DEP_1) | instskip(SKIP_1) | instid1(VALU_DEP_2)
	v_add_co_u32 v3, vcc_lo, s0, v3
	s_wait_alu 0xfffd
	v_add_co_ci_u32_e64 v4, null, s1, v4, vcc_lo
	global_store_b96 v[3:4], v[0:2], off
	s_endpgm
	.section	.rodata,"a",@progbits
	.p2align	6, 0x0
	.amdhsa_kernel _ZN9rocsparseL18bsrxmvn_3x3_kernelILj256ELj32EiiiaaiEEvT3_20rocsparse_direction_NS_24const_host_device_scalarIT1_EES1_PKS1_PKT2_SA_S7_PKT4_PKT5_S5_PT6_21rocsparse_index_base_b
		.amdhsa_group_segment_fixed_size 0
		.amdhsa_private_segment_fixed_size 0
		.amdhsa_kernarg_size 96
		.amdhsa_user_sgpr_count 2
		.amdhsa_user_sgpr_dispatch_ptr 0
		.amdhsa_user_sgpr_queue_ptr 0
		.amdhsa_user_sgpr_kernarg_segment_ptr 1
		.amdhsa_user_sgpr_dispatch_id 0
		.amdhsa_user_sgpr_private_segment_size 0
		.amdhsa_wavefront_size32 1
		.amdhsa_uses_dynamic_stack 0
		.amdhsa_enable_private_segment 0
		.amdhsa_system_sgpr_workgroup_id_x 1
		.amdhsa_system_sgpr_workgroup_id_y 0
		.amdhsa_system_sgpr_workgroup_id_z 0
		.amdhsa_system_sgpr_workgroup_info 0
		.amdhsa_system_vgpr_workitem_id 0
		.amdhsa_next_free_vgpr 21
		.amdhsa_next_free_sgpr 15
		.amdhsa_reserve_vcc 1
		.amdhsa_float_round_mode_32 0
		.amdhsa_float_round_mode_16_64 0
		.amdhsa_float_denorm_mode_32 3
		.amdhsa_float_denorm_mode_16_64 3
		.amdhsa_fp16_overflow 0
		.amdhsa_workgroup_processor_mode 1
		.amdhsa_memory_ordered 1
		.amdhsa_forward_progress 1
		.amdhsa_inst_pref_size 16
		.amdhsa_round_robin_scheduling 0
		.amdhsa_exception_fp_ieee_invalid_op 0
		.amdhsa_exception_fp_denorm_src 0
		.amdhsa_exception_fp_ieee_div_zero 0
		.amdhsa_exception_fp_ieee_overflow 0
		.amdhsa_exception_fp_ieee_underflow 0
		.amdhsa_exception_fp_ieee_inexact 0
		.amdhsa_exception_int_div_zero 0
	.end_amdhsa_kernel
	.section	.text._ZN9rocsparseL18bsrxmvn_3x3_kernelILj256ELj32EiiiaaiEEvT3_20rocsparse_direction_NS_24const_host_device_scalarIT1_EES1_PKS1_PKT2_SA_S7_PKT4_PKT5_S5_PT6_21rocsparse_index_base_b,"axG",@progbits,_ZN9rocsparseL18bsrxmvn_3x3_kernelILj256ELj32EiiiaaiEEvT3_20rocsparse_direction_NS_24const_host_device_scalarIT1_EES1_PKS1_PKT2_SA_S7_PKT4_PKT5_S5_PT6_21rocsparse_index_base_b,comdat
.Lfunc_end63:
	.size	_ZN9rocsparseL18bsrxmvn_3x3_kernelILj256ELj32EiiiaaiEEvT3_20rocsparse_direction_NS_24const_host_device_scalarIT1_EES1_PKS1_PKT2_SA_S7_PKT4_PKT5_S5_PT6_21rocsparse_index_base_b, .Lfunc_end63-_ZN9rocsparseL18bsrxmvn_3x3_kernelILj256ELj32EiiiaaiEEvT3_20rocsparse_direction_NS_24const_host_device_scalarIT1_EES1_PKS1_PKT2_SA_S7_PKT4_PKT5_S5_PT6_21rocsparse_index_base_b
                                        ; -- End function
	.set _ZN9rocsparseL18bsrxmvn_3x3_kernelILj256ELj32EiiiaaiEEvT3_20rocsparse_direction_NS_24const_host_device_scalarIT1_EES1_PKS1_PKT2_SA_S7_PKT4_PKT5_S5_PT6_21rocsparse_index_base_b.num_vgpr, 21
	.set _ZN9rocsparseL18bsrxmvn_3x3_kernelILj256ELj32EiiiaaiEEvT3_20rocsparse_direction_NS_24const_host_device_scalarIT1_EES1_PKS1_PKT2_SA_S7_PKT4_PKT5_S5_PT6_21rocsparse_index_base_b.num_agpr, 0
	.set _ZN9rocsparseL18bsrxmvn_3x3_kernelILj256ELj32EiiiaaiEEvT3_20rocsparse_direction_NS_24const_host_device_scalarIT1_EES1_PKS1_PKT2_SA_S7_PKT4_PKT5_S5_PT6_21rocsparse_index_base_b.numbered_sgpr, 15
	.set _ZN9rocsparseL18bsrxmvn_3x3_kernelILj256ELj32EiiiaaiEEvT3_20rocsparse_direction_NS_24const_host_device_scalarIT1_EES1_PKS1_PKT2_SA_S7_PKT4_PKT5_S5_PT6_21rocsparse_index_base_b.num_named_barrier, 0
	.set _ZN9rocsparseL18bsrxmvn_3x3_kernelILj256ELj32EiiiaaiEEvT3_20rocsparse_direction_NS_24const_host_device_scalarIT1_EES1_PKS1_PKT2_SA_S7_PKT4_PKT5_S5_PT6_21rocsparse_index_base_b.private_seg_size, 0
	.set _ZN9rocsparseL18bsrxmvn_3x3_kernelILj256ELj32EiiiaaiEEvT3_20rocsparse_direction_NS_24const_host_device_scalarIT1_EES1_PKS1_PKT2_SA_S7_PKT4_PKT5_S5_PT6_21rocsparse_index_base_b.uses_vcc, 1
	.set _ZN9rocsparseL18bsrxmvn_3x3_kernelILj256ELj32EiiiaaiEEvT3_20rocsparse_direction_NS_24const_host_device_scalarIT1_EES1_PKS1_PKT2_SA_S7_PKT4_PKT5_S5_PT6_21rocsparse_index_base_b.uses_flat_scratch, 0
	.set _ZN9rocsparseL18bsrxmvn_3x3_kernelILj256ELj32EiiiaaiEEvT3_20rocsparse_direction_NS_24const_host_device_scalarIT1_EES1_PKS1_PKT2_SA_S7_PKT4_PKT5_S5_PT6_21rocsparse_index_base_b.has_dyn_sized_stack, 0
	.set _ZN9rocsparseL18bsrxmvn_3x3_kernelILj256ELj32EiiiaaiEEvT3_20rocsparse_direction_NS_24const_host_device_scalarIT1_EES1_PKS1_PKT2_SA_S7_PKT4_PKT5_S5_PT6_21rocsparse_index_base_b.has_recursion, 0
	.set _ZN9rocsparseL18bsrxmvn_3x3_kernelILj256ELj32EiiiaaiEEvT3_20rocsparse_direction_NS_24const_host_device_scalarIT1_EES1_PKS1_PKT2_SA_S7_PKT4_PKT5_S5_PT6_21rocsparse_index_base_b.has_indirect_call, 0
	.section	.AMDGPU.csdata,"",@progbits
; Kernel info:
; codeLenInByte = 2048
; TotalNumSgprs: 17
; NumVgprs: 21
; ScratchSize: 0
; MemoryBound: 0
; FloatMode: 240
; IeeeMode: 1
; LDSByteSize: 0 bytes/workgroup (compile time only)
; SGPRBlocks: 0
; VGPRBlocks: 2
; NumSGPRsForWavesPerEU: 17
; NumVGPRsForWavesPerEU: 21
; Occupancy: 16
; WaveLimiterHint : 1
; COMPUTE_PGM_RSRC2:SCRATCH_EN: 0
; COMPUTE_PGM_RSRC2:USER_SGPR: 2
; COMPUTE_PGM_RSRC2:TRAP_HANDLER: 0
; COMPUTE_PGM_RSRC2:TGID_X_EN: 1
; COMPUTE_PGM_RSRC2:TGID_Y_EN: 0
; COMPUTE_PGM_RSRC2:TGID_Z_EN: 0
; COMPUTE_PGM_RSRC2:TIDIG_COMP_CNT: 0
	.section	.text._ZN9rocsparseL18bsrxmvn_3x3_kernelILj256ELj64EiiiaaiEEvT3_20rocsparse_direction_NS_24const_host_device_scalarIT1_EES1_PKS1_PKT2_SA_S7_PKT4_PKT5_S5_PT6_21rocsparse_index_base_b,"axG",@progbits,_ZN9rocsparseL18bsrxmvn_3x3_kernelILj256ELj64EiiiaaiEEvT3_20rocsparse_direction_NS_24const_host_device_scalarIT1_EES1_PKS1_PKT2_SA_S7_PKT4_PKT5_S5_PT6_21rocsparse_index_base_b,comdat
	.globl	_ZN9rocsparseL18bsrxmvn_3x3_kernelILj256ELj64EiiiaaiEEvT3_20rocsparse_direction_NS_24const_host_device_scalarIT1_EES1_PKS1_PKT2_SA_S7_PKT4_PKT5_S5_PT6_21rocsparse_index_base_b ; -- Begin function _ZN9rocsparseL18bsrxmvn_3x3_kernelILj256ELj64EiiiaaiEEvT3_20rocsparse_direction_NS_24const_host_device_scalarIT1_EES1_PKS1_PKT2_SA_S7_PKT4_PKT5_S5_PT6_21rocsparse_index_base_b
	.p2align	8
	.type	_ZN9rocsparseL18bsrxmvn_3x3_kernelILj256ELj64EiiiaaiEEvT3_20rocsparse_direction_NS_24const_host_device_scalarIT1_EES1_PKS1_PKT2_SA_S7_PKT4_PKT5_S5_PT6_21rocsparse_index_base_b,@function
_ZN9rocsparseL18bsrxmvn_3x3_kernelILj256ELj64EiiiaaiEEvT3_20rocsparse_direction_NS_24const_host_device_scalarIT1_EES1_PKS1_PKT2_SA_S7_PKT4_PKT5_S5_PT6_21rocsparse_index_base_b: ; @_ZN9rocsparseL18bsrxmvn_3x3_kernelILj256ELj64EiiiaaiEEvT3_20rocsparse_direction_NS_24const_host_device_scalarIT1_EES1_PKS1_PKT2_SA_S7_PKT4_PKT5_S5_PT6_21rocsparse_index_base_b
; %bb.0:
	s_clause 0x1
	s_load_b64 s[12:13], s[0:1], 0x58
	s_load_b64 s[4:5], s[0:1], 0x8
	s_mov_b32 s7, -1
	s_wait_kmcnt 0x0
	s_bitcmp1_b32 s13, 0
                                        ; implicit-def: $sgpr13
	s_cselect_b32 s2, -1, 0
	s_delay_alu instid0(SALU_CYCLE_1) | instskip(NEXT) | instid1(SALU_CYCLE_1)
	s_xor_b32 s6, s2, -1
	s_and_b32 vcc_lo, exec_lo, s6
	s_cbranch_vccnz .LBB64_4
; %bb.1:
	s_load_b64 s[2:3], s[0:1], 0x48
	s_and_not1_b32 vcc_lo, exec_lo, s7
	s_cbranch_vccz .LBB64_5
.LBB64_2:
	s_and_b32 vcc_lo, exec_lo, s6
	s_cbranch_vccz .LBB64_6
.LBB64_3:
	s_wait_kmcnt 0x0
	s_load_b32 s14, s[2:3], 0x0
	s_cbranch_execz .LBB64_7
	s_branch .LBB64_8
.LBB64_4:
	s_load_b32 s13, s[4:5], 0x0
	s_load_b64 s[2:3], s[0:1], 0x48
	s_cbranch_execnz .LBB64_2
.LBB64_5:
	s_wait_kmcnt 0x0
	s_mov_b32 s13, s4
	s_and_b32 vcc_lo, exec_lo, s6
	s_cbranch_vccnz .LBB64_3
.LBB64_6:
	s_wait_kmcnt 0x0
                                        ; implicit-def: $sgpr14
.LBB64_7:
	s_wait_kmcnt 0x0
	s_mov_b32 s14, s2
.LBB64_8:
	s_cmp_lg_u32 s13, 0
	s_mov_b32 s6, 0
	s_cselect_b32 s2, -1, 0
	s_wait_kmcnt 0x0
	s_cmp_lg_u32 s14, 1
	s_cselect_b32 s3, -1, 0
	s_delay_alu instid0(SALU_CYCLE_1) | instskip(NEXT) | instid1(SALU_CYCLE_1)
	s_or_b32 s2, s2, s3
	s_and_not1_b32 vcc_lo, exec_lo, s2
	s_cbranch_vccnz .LBB64_14
; %bb.9:
	s_clause 0x1
	s_load_b64 s[4:5], s[0:1], 0x18
	s_load_b64 s[2:3], s[0:1], 0x0
	v_lshrrev_b32_e32 v1, 6, v0
	s_delay_alu instid0(VALU_DEP_1)
	v_lshl_or_b32 v1, ttmp9, 2, v1
	s_wait_kmcnt 0x0
	s_cmp_lg_u64 s[4:5], 0
	s_cbranch_scc0 .LBB64_15
; %bb.10:
	s_load_b32 s6, s[0:1], 0x10
	s_mov_b32 s7, 0
                                        ; implicit-def: $vgpr2
	s_wait_kmcnt 0x0
	v_cmp_gt_i32_e32 vcc_lo, s6, v1
	s_mov_b32 s6, 0
	s_and_saveexec_b32 s8, vcc_lo
	s_delay_alu instid0(SALU_CYCLE_1)
	s_xor_b32 s8, exec_lo, s8
	s_cbranch_execz .LBB64_12
; %bb.11:
	v_ashrrev_i32_e32 v2, 31, v1
	s_mov_b32 s6, exec_lo
	s_delay_alu instid0(VALU_DEP_1) | instskip(NEXT) | instid1(VALU_DEP_1)
	v_lshlrev_b64_e32 v[2:3], 2, v[1:2]
	v_add_co_u32 v2, vcc_lo, s4, v2
	s_delay_alu instid0(VALU_DEP_1)
	v_add_co_ci_u32_e64 v3, null, s5, v3, vcc_lo
	global_load_b32 v2, v[2:3], off
	s_wait_loadcnt 0x0
	v_subrev_nc_u32_e32 v2, s12, v2
.LBB64_12:
	s_or_b32 exec_lo, exec_lo, s8
	s_delay_alu instid0(SALU_CYCLE_1)
	s_and_b32 vcc_lo, exec_lo, s7
	s_wait_alu 0xfffe
	s_cbranch_vccz .LBB64_16
.LBB64_13:
	v_cmp_gt_i32_e32 vcc_lo, s2, v1
	s_and_not1_b32 s2, s6, exec_lo
	s_and_b32 s4, vcc_lo, exec_lo
	s_wait_alu 0xfffe
	s_or_b32 s6, s2, s4
	s_wait_alu 0xfffe
	s_and_saveexec_b32 s2, s6
	s_cbranch_execnz .LBB64_17
.LBB64_14:
	s_endpgm
.LBB64_15:
                                        ; implicit-def: $vgpr2
	s_cbranch_execnz .LBB64_13
.LBB64_16:
	v_mov_b32_e32 v1, v2
	s_and_saveexec_b32 s2, s6
	s_cbranch_execz .LBB64_14
.LBB64_17:
	s_load_b256 s[4:11], s[0:1], 0x20
	s_delay_alu instid0(VALU_DEP_1) | instskip(SKIP_1) | instid1(VALU_DEP_2)
	v_ashrrev_i32_e32 v2, 31, v1
	v_and_b32_e32 v0, 63, v0
	v_lshlrev_b64_e32 v[2:3], 2, v[1:2]
	s_wait_kmcnt 0x0
	s_delay_alu instid0(VALU_DEP_1) | instskip(SKIP_1) | instid1(VALU_DEP_2)
	v_add_co_u32 v4, vcc_lo, s4, v2
	s_wait_alu 0xfffd
	v_add_co_ci_u32_e64 v5, null, s5, v3, vcc_lo
	v_add_co_u32 v2, vcc_lo, s6, v2
	s_wait_alu 0xfffd
	v_add_co_ci_u32_e64 v3, null, s7, v3, vcc_lo
	;; [unrolled: 3-line block ×3, first 2 shown]
	s_cmp_eq_u64 s[6:7], 0
	global_load_b32 v4, v[4:5], off
	s_cselect_b32 vcc_lo, -1, 0
	s_load_b64 s[4:5], s[0:1], 0x40
	v_dual_cndmask_b32 v3, v3, v7 :: v_dual_cndmask_b32 v2, v2, v6
	s_cmp_eq_u32 s3, 1
	global_load_b32 v3, v[2:3], off
	s_wait_loadcnt 0x1
	v_subrev_nc_u32_e32 v2, s12, v4
	s_delay_alu instid0(VALU_DEP_1) | instskip(SKIP_2) | instid1(VALU_DEP_2)
	v_add_nc_u32_e32 v2, v2, v0
	s_wait_loadcnt 0x0
	v_subrev_nc_u32_e32 v13, s12, v3
	v_mad_co_i64_i32 v[4:5], null, v2, 9, s[10:11]
	s_delay_alu instid0(VALU_DEP_2)
	v_cmp_lt_i32_e64 s2, v2, v13
	s_cbranch_scc1 .LBB64_23
; %bb.18:
	v_dual_mov_b32 v10, 0 :: v_dual_mov_b32 v11, 0
	v_mov_b32_e32 v12, 0
	s_and_saveexec_b32 s3, s2
	s_cbranch_execz .LBB64_22
; %bb.19:
	v_dual_mov_b32 v10, 0 :: v_dual_mov_b32 v7, v5
	v_dual_mov_b32 v12, 0 :: v_dual_mov_b32 v11, 0
	v_mov_b32_e32 v6, v4
	v_mov_b32_e32 v8, v2
	s_mov_b32 s6, 0
.LBB64_20:                              ; =>This Inner Loop Header: Depth=1
	s_delay_alu instid0(VALU_DEP_1) | instskip(NEXT) | instid1(VALU_DEP_1)
	v_ashrrev_i32_e32 v9, 31, v8
	v_lshlrev_b64_e32 v[14:15], 2, v[8:9]
	v_add_nc_u32_e32 v8, 64, v8
	s_delay_alu instid0(VALU_DEP_2) | instskip(SKIP_1) | instid1(VALU_DEP_3)
	v_add_co_u32 v14, vcc_lo, s8, v14
	s_wait_alu 0xfffd
	v_add_co_ci_u32_e64 v15, null, s9, v15, vcc_lo
	global_load_b32 v3, v[14:15], off
	s_wait_loadcnt 0x0
	v_subrev_nc_u32_e32 v3, s12, v3
	s_delay_alu instid0(VALU_DEP_1) | instskip(NEXT) | instid1(VALU_DEP_1)
	v_lshl_add_u32 v3, v3, 1, v3
	v_ashrrev_i32_e32 v9, 31, v3
	s_wait_kmcnt 0x0
	v_add_co_u32 v14, vcc_lo, s4, v3
	s_wait_alu 0xfffd
	s_delay_alu instid0(VALU_DEP_2)
	v_add_co_ci_u32_e64 v15, null, s5, v9, vcc_lo
	s_clause 0x1
	global_load_b64 v[16:17], v[6:7], off
	global_load_i8 v3, v[6:7], off offset:8
	s_clause 0x1
	global_load_u16 v9, v[14:15], off
	global_load_i8 v14, v[14:15], off offset:2
	v_add_co_u32 v6, vcc_lo, 0x240, v6
	s_wait_alu 0xfffd
	v_add_co_ci_u32_e64 v7, null, 0, v7, vcc_lo
	v_cmp_ge_i32_e32 vcc_lo, v8, v13
	s_wait_alu 0xfffe
	s_or_b32 s6, vcc_lo, s6
	s_wait_loadcnt 0x3
	v_lshrrev_b32_e32 v15, 16, v16
	v_lshrrev_b32_e32 v18, 8, v16
	s_wait_loadcnt 0x1
	v_lshrrev_b32_e32 v20, 8, v9
	v_bfe_i32 v19, v16, 0, 8
	v_perm_b32 v16, v17, v16, 0xc050403
	v_bfe_i32 v15, v15, 0, 8
	v_bfe_i32 v18, v18, 0, 8
	;; [unrolled: 1-line block ×3, first 2 shown]
	v_perm_b32 v3, v3, v17, 0xc040302
	v_bfe_i32 v17, v9, 0, 8
	s_wait_loadcnt 0x0
	v_perm_b32 v9, v14, v9, 0xc040100
	v_perm_b32 v15, v15, v18, 0x5040100
	;; [unrolled: 1-line block ×3, first 2 shown]
	v_mad_i32_i24 v12, v17, v19, v12
	s_delay_alu instid0(VALU_DEP_4) | instskip(SKIP_1) | instid1(VALU_DEP_4)
	v_dot4_i32_iu8 v11, v9, v16, v11 neg_lo:[1,1,0]
	v_dot4_i32_iu8 v10, v9, v3, v10 neg_lo:[1,1,0]
	v_pk_mul_lo_u16 v15, v18, v15
	s_delay_alu instid0(VALU_DEP_1) | instskip(SKIP_1) | instid1(VALU_DEP_1)
	v_bfe_i32 v14, v15, 0, 16
	v_ashrrev_i32_e32 v15, 16, v15
	v_add3_u32 v12, v12, v14, v15
	s_wait_alu 0xfffe
	s_and_not1_b32 exec_lo, exec_lo, s6
	s_cbranch_execnz .LBB64_20
; %bb.21:
	s_or_b32 exec_lo, exec_lo, s6
.LBB64_22:
	s_wait_alu 0xfffe
	s_or_b32 exec_lo, exec_lo, s3
	s_cbranch_execz .LBB64_24
	s_branch .LBB64_29
.LBB64_23:
                                        ; implicit-def: $vgpr10
                                        ; implicit-def: $vgpr11
                                        ; implicit-def: $vgpr12
.LBB64_24:
	v_dual_mov_b32 v10, 0 :: v_dual_mov_b32 v11, 0
	v_mov_b32_e32 v12, 0
	s_and_saveexec_b32 s3, s2
	s_cbranch_execz .LBB64_28
; %bb.25:
	v_dual_mov_b32 v12, 0 :: v_dual_mov_b32 v11, 0
	v_mov_b32_e32 v10, 0
	s_mov_b32 s2, 0
.LBB64_26:                              ; =>This Inner Loop Header: Depth=1
	v_ashrrev_i32_e32 v3, 31, v2
	s_delay_alu instid0(VALU_DEP_1) | instskip(SKIP_1) | instid1(VALU_DEP_2)
	v_lshlrev_b64_e32 v[6:7], 2, v[2:3]
	v_add_nc_u32_e32 v2, 64, v2
	v_add_co_u32 v6, vcc_lo, s8, v6
	s_wait_alu 0xfffd
	s_delay_alu instid0(VALU_DEP_3)
	v_add_co_ci_u32_e64 v7, null, s9, v7, vcc_lo
	global_load_b32 v3, v[6:7], off
	global_load_b64 v[6:7], v[4:5], off
	s_wait_loadcnt 0x1
	v_subrev_nc_u32_e32 v3, s12, v3
	s_wait_loadcnt 0x0
	v_perm_b32 v15, v6, v6, 0xc0c0c02
	v_perm_b32 v16, v7, v6, 0xc0c0603
	s_delay_alu instid0(VALU_DEP_3) | instskip(NEXT) | instid1(VALU_DEP_1)
	v_lshl_add_u32 v3, v3, 1, v3
	v_ashrrev_i32_e32 v9, 31, v3
	s_wait_kmcnt 0x0
	v_add_co_u32 v8, vcc_lo, s4, v3
	s_wait_alu 0xfffd
	s_delay_alu instid0(VALU_DEP_2)
	v_add_co_ci_u32_e64 v9, null, s5, v9, vcc_lo
	global_load_i8 v3, v[4:5], off offset:8
	s_clause 0x1
	global_load_u16 v14, v[8:9], off
	global_load_i8 v8, v[8:9], off offset:2
	v_bfe_i32 v9, v6, 0, 8
	v_perm_b32 v6, v7, v6, 0xc070401
	v_add_co_u32 v4, vcc_lo, 0x240, v4
	s_wait_alu 0xfffd
	v_add_co_ci_u32_e64 v5, null, 0, v5, vcc_lo
	v_cmp_ge_i32_e32 vcc_lo, v2, v13
	s_wait_alu 0xfffe
	s_or_b32 s2, vcc_lo, s2
	s_wait_loadcnt 0x2
	v_perm_b32 v3, v3, v7, 0xc04010c
	s_wait_loadcnt 0x1
	v_bfe_i32 v7, v14, 0, 8
	s_delay_alu instid0(VALU_DEP_2) | instskip(SKIP_4) | instid1(VALU_DEP_2)
	v_or_b32_e32 v3, v3, v15
	s_wait_loadcnt 0x0
	v_perm_b32 v15, v8, v14, 0xc0c0401
	v_perm_b32 v8, v8, v14, 0xc040100
	v_mad_i32_i24 v7, v7, v9, v12
	v_dot4_i32_iu8 v11, v8, v6, v11 neg_lo:[1,1,0]
	v_dot4_i32_iu8 v10, v8, v3, v10 neg_lo:[1,1,0]
	s_delay_alu instid0(VALU_DEP_3)
	v_dot4_i32_iu8 v12, v15, v16, v7 neg_lo:[1,1,0]
	s_wait_alu 0xfffe
	s_and_not1_b32 exec_lo, exec_lo, s2
	s_cbranch_execnz .LBB64_26
; %bb.27:
	s_or_b32 exec_lo, exec_lo, s2
.LBB64_28:
	s_wait_alu 0xfffe
	s_or_b32 exec_lo, exec_lo, s3
.LBB64_29:
	v_mbcnt_lo_u32_b32 v2, -1, 0
	s_mov_b32 s2, -1
	s_delay_alu instid0(VALU_DEP_1) | instskip(SKIP_2) | instid1(VALU_DEP_3)
	v_or_b32_e32 v3, 32, v2
	v_xor_b32_e32 v6, 16, v2
	v_xor_b32_e32 v9, 8, v2
	v_cmp_gt_i32_e32 vcc_lo, 32, v3
	s_wait_alu 0xfffd
	v_cndmask_b32_e32 v3, v2, v3, vcc_lo
	v_cmp_gt_i32_e32 vcc_lo, 32, v6
	s_wait_alu 0xfffd
	v_cndmask_b32_e32 v6, v2, v6, vcc_lo
	v_cmp_gt_i32_e32 vcc_lo, 32, v9
	s_delay_alu instid0(VALU_DEP_2)
	v_lshlrev_b32_e32 v6, 2, v6
	v_lshlrev_b32_e32 v3, 2, v3
	s_wait_alu 0xfffd
	v_cndmask_b32_e32 v9, v2, v9, vcc_lo
	ds_bpermute_b32 v4, v3, v12
	ds_bpermute_b32 v5, v3, v11
	ds_bpermute_b32 v3, v3, v10
	v_lshlrev_b32_e32 v9, 2, v9
	s_wait_dscnt 0x2
	v_add_nc_u32_e32 v4, v4, v12
	s_wait_dscnt 0x1
	v_add_nc_u32_e32 v5, v5, v11
	;; [unrolled: 2-line block ×3, first 2 shown]
	ds_bpermute_b32 v7, v6, v4
	ds_bpermute_b32 v8, v6, v5
	;; [unrolled: 1-line block ×3, first 2 shown]
	s_wait_dscnt 0x2
	v_add_nc_u32_e32 v4, v7, v4
	s_wait_dscnt 0x1
	v_add_nc_u32_e32 v5, v8, v5
	;; [unrolled: 2-line block ×3, first 2 shown]
	ds_bpermute_b32 v6, v9, v4
	ds_bpermute_b32 v7, v9, v5
	;; [unrolled: 1-line block ×3, first 2 shown]
	v_xor_b32_e32 v9, 4, v2
	s_delay_alu instid0(VALU_DEP_1) | instskip(SKIP_2) | instid1(VALU_DEP_1)
	v_cmp_gt_i32_e32 vcc_lo, 32, v9
	s_wait_alu 0xfffd
	v_cndmask_b32_e32 v9, v2, v9, vcc_lo
	v_lshlrev_b32_e32 v9, 2, v9
	s_wait_dscnt 0x2
	v_add_nc_u32_e32 v4, v6, v4
	s_wait_dscnt 0x1
	v_add_nc_u32_e32 v5, v7, v5
	;; [unrolled: 2-line block ×3, first 2 shown]
	ds_bpermute_b32 v6, v9, v4
	ds_bpermute_b32 v7, v9, v5
	ds_bpermute_b32 v8, v9, v3
	v_xor_b32_e32 v9, 2, v2
	s_delay_alu instid0(VALU_DEP_1)
	v_cmp_gt_i32_e32 vcc_lo, 32, v9
	s_wait_alu 0xfffd
	v_cndmask_b32_e32 v9, v2, v9, vcc_lo
	s_wait_dscnt 0x2
	v_add_nc_u32_e32 v4, v6, v4
	s_wait_dscnt 0x1
	v_add_nc_u32_e32 v5, v7, v5
	s_wait_dscnt 0x0
	v_add_nc_u32_e32 v6, v8, v3
	v_lshlrev_b32_e32 v9, 2, v9
	ds_bpermute_b32 v3, v9, v4
	ds_bpermute_b32 v7, v9, v5
	;; [unrolled: 1-line block ×3, first 2 shown]
	v_xor_b32_e32 v9, 1, v2
	s_delay_alu instid0(VALU_DEP_1) | instskip(SKIP_3) | instid1(VALU_DEP_2)
	v_cmp_gt_i32_e32 vcc_lo, 32, v9
	s_wait_alu 0xfffd
	v_cndmask_b32_e32 v2, v2, v9, vcc_lo
	v_cmp_eq_u32_e32 vcc_lo, 63, v0
	v_lshlrev_b32_e32 v9, 2, v2
	s_wait_dscnt 0x2
	v_add_nc_u32_e32 v2, v3, v4
	s_wait_dscnt 0x1
	v_add_nc_u32_e32 v3, v7, v5
	;; [unrolled: 2-line block ×3, first 2 shown]
	ds_bpermute_b32 v5, v9, v2
	ds_bpermute_b32 v6, v9, v3
	ds_bpermute_b32 v7, v9, v4
	s_and_b32 exec_lo, exec_lo, vcc_lo
	s_cbranch_execz .LBB64_14
; %bb.30:
	s_load_b64 s[0:1], s[0:1], 0x50
	s_wait_dscnt 0x2
	v_add_nc_u32_e32 v0, v5, v2
	s_wait_dscnt 0x1
	v_add_nc_u32_e32 v2, v6, v3
	;; [unrolled: 2-line block ×3, first 2 shown]
	v_lshl_add_u32 v3, v1, 1, v1
	s_cmp_eq_u32 s14, 0
	v_mul_lo_u32 v0, v0, s13
	v_mul_lo_u32 v1, v2, s13
	v_mul_lo_u32 v2, v4, s13
	v_ashrrev_i32_e32 v4, 31, v3
	s_cbranch_scc1 .LBB64_32
; %bb.31:
	s_delay_alu instid0(VALU_DEP_1) | instskip(SKIP_2) | instid1(VALU_DEP_1)
	v_lshlrev_b64_e32 v[5:6], 2, v[3:4]
	s_mov_b32 s2, 0
	s_wait_kmcnt 0x0
	v_add_co_u32 v10, vcc_lo, s0, v5
	s_wait_alu 0xfffd
	s_delay_alu instid0(VALU_DEP_2)
	v_add_co_ci_u32_e64 v11, null, s1, v6, vcc_lo
	global_load_b96 v[5:7], v[10:11], off
	s_wait_loadcnt 0x0
	v_mad_co_u64_u32 v[12:13], null, v7, s14, v[2:3]
	v_mad_co_u64_u32 v[7:8], null, v5, s14, v[0:1]
	;; [unrolled: 1-line block ×3, first 2 shown]
	s_delay_alu instid0(VALU_DEP_3)
	v_mov_b32_e32 v9, v12
	global_store_b96 v[10:11], v[7:9], off
.LBB64_32:
	s_wait_alu 0xfffe
	s_and_not1_b32 vcc_lo, exec_lo, s2
	s_wait_alu 0xfffe
	s_cbranch_vccnz .LBB64_14
; %bb.33:
	v_lshlrev_b64_e32 v[3:4], 2, v[3:4]
	s_wait_kmcnt 0x0
	s_delay_alu instid0(VALU_DEP_1) | instskip(SKIP_1) | instid1(VALU_DEP_2)
	v_add_co_u32 v3, vcc_lo, s0, v3
	s_wait_alu 0xfffd
	v_add_co_ci_u32_e64 v4, null, s1, v4, vcc_lo
	global_store_b96 v[3:4], v[0:2], off
	s_endpgm
	.section	.rodata,"a",@progbits
	.p2align	6, 0x0
	.amdhsa_kernel _ZN9rocsparseL18bsrxmvn_3x3_kernelILj256ELj64EiiiaaiEEvT3_20rocsparse_direction_NS_24const_host_device_scalarIT1_EES1_PKS1_PKT2_SA_S7_PKT4_PKT5_S5_PT6_21rocsparse_index_base_b
		.amdhsa_group_segment_fixed_size 0
		.amdhsa_private_segment_fixed_size 0
		.amdhsa_kernarg_size 96
		.amdhsa_user_sgpr_count 2
		.amdhsa_user_sgpr_dispatch_ptr 0
		.amdhsa_user_sgpr_queue_ptr 0
		.amdhsa_user_sgpr_kernarg_segment_ptr 1
		.amdhsa_user_sgpr_dispatch_id 0
		.amdhsa_user_sgpr_private_segment_size 0
		.amdhsa_wavefront_size32 1
		.amdhsa_uses_dynamic_stack 0
		.amdhsa_enable_private_segment 0
		.amdhsa_system_sgpr_workgroup_id_x 1
		.amdhsa_system_sgpr_workgroup_id_y 0
		.amdhsa_system_sgpr_workgroup_id_z 0
		.amdhsa_system_sgpr_workgroup_info 0
		.amdhsa_system_vgpr_workitem_id 0
		.amdhsa_next_free_vgpr 21
		.amdhsa_next_free_sgpr 15
		.amdhsa_reserve_vcc 1
		.amdhsa_float_round_mode_32 0
		.amdhsa_float_round_mode_16_64 0
		.amdhsa_float_denorm_mode_32 3
		.amdhsa_float_denorm_mode_16_64 3
		.amdhsa_fp16_overflow 0
		.amdhsa_workgroup_processor_mode 1
		.amdhsa_memory_ordered 1
		.amdhsa_forward_progress 1
		.amdhsa_inst_pref_size 17
		.amdhsa_round_robin_scheduling 0
		.amdhsa_exception_fp_ieee_invalid_op 0
		.amdhsa_exception_fp_denorm_src 0
		.amdhsa_exception_fp_ieee_div_zero 0
		.amdhsa_exception_fp_ieee_overflow 0
		.amdhsa_exception_fp_ieee_underflow 0
		.amdhsa_exception_fp_ieee_inexact 0
		.amdhsa_exception_int_div_zero 0
	.end_amdhsa_kernel
	.section	.text._ZN9rocsparseL18bsrxmvn_3x3_kernelILj256ELj64EiiiaaiEEvT3_20rocsparse_direction_NS_24const_host_device_scalarIT1_EES1_PKS1_PKT2_SA_S7_PKT4_PKT5_S5_PT6_21rocsparse_index_base_b,"axG",@progbits,_ZN9rocsparseL18bsrxmvn_3x3_kernelILj256ELj64EiiiaaiEEvT3_20rocsparse_direction_NS_24const_host_device_scalarIT1_EES1_PKS1_PKT2_SA_S7_PKT4_PKT5_S5_PT6_21rocsparse_index_base_b,comdat
.Lfunc_end64:
	.size	_ZN9rocsparseL18bsrxmvn_3x3_kernelILj256ELj64EiiiaaiEEvT3_20rocsparse_direction_NS_24const_host_device_scalarIT1_EES1_PKS1_PKT2_SA_S7_PKT4_PKT5_S5_PT6_21rocsparse_index_base_b, .Lfunc_end64-_ZN9rocsparseL18bsrxmvn_3x3_kernelILj256ELj64EiiiaaiEEvT3_20rocsparse_direction_NS_24const_host_device_scalarIT1_EES1_PKS1_PKT2_SA_S7_PKT4_PKT5_S5_PT6_21rocsparse_index_base_b
                                        ; -- End function
	.set _ZN9rocsparseL18bsrxmvn_3x3_kernelILj256ELj64EiiiaaiEEvT3_20rocsparse_direction_NS_24const_host_device_scalarIT1_EES1_PKS1_PKT2_SA_S7_PKT4_PKT5_S5_PT6_21rocsparse_index_base_b.num_vgpr, 21
	.set _ZN9rocsparseL18bsrxmvn_3x3_kernelILj256ELj64EiiiaaiEEvT3_20rocsparse_direction_NS_24const_host_device_scalarIT1_EES1_PKS1_PKT2_SA_S7_PKT4_PKT5_S5_PT6_21rocsparse_index_base_b.num_agpr, 0
	.set _ZN9rocsparseL18bsrxmvn_3x3_kernelILj256ELj64EiiiaaiEEvT3_20rocsparse_direction_NS_24const_host_device_scalarIT1_EES1_PKS1_PKT2_SA_S7_PKT4_PKT5_S5_PT6_21rocsparse_index_base_b.numbered_sgpr, 15
	.set _ZN9rocsparseL18bsrxmvn_3x3_kernelILj256ELj64EiiiaaiEEvT3_20rocsparse_direction_NS_24const_host_device_scalarIT1_EES1_PKS1_PKT2_SA_S7_PKT4_PKT5_S5_PT6_21rocsparse_index_base_b.num_named_barrier, 0
	.set _ZN9rocsparseL18bsrxmvn_3x3_kernelILj256ELj64EiiiaaiEEvT3_20rocsparse_direction_NS_24const_host_device_scalarIT1_EES1_PKS1_PKT2_SA_S7_PKT4_PKT5_S5_PT6_21rocsparse_index_base_b.private_seg_size, 0
	.set _ZN9rocsparseL18bsrxmvn_3x3_kernelILj256ELj64EiiiaaiEEvT3_20rocsparse_direction_NS_24const_host_device_scalarIT1_EES1_PKS1_PKT2_SA_S7_PKT4_PKT5_S5_PT6_21rocsparse_index_base_b.uses_vcc, 1
	.set _ZN9rocsparseL18bsrxmvn_3x3_kernelILj256ELj64EiiiaaiEEvT3_20rocsparse_direction_NS_24const_host_device_scalarIT1_EES1_PKS1_PKT2_SA_S7_PKT4_PKT5_S5_PT6_21rocsparse_index_base_b.uses_flat_scratch, 0
	.set _ZN9rocsparseL18bsrxmvn_3x3_kernelILj256ELj64EiiiaaiEEvT3_20rocsparse_direction_NS_24const_host_device_scalarIT1_EES1_PKS1_PKT2_SA_S7_PKT4_PKT5_S5_PT6_21rocsparse_index_base_b.has_dyn_sized_stack, 0
	.set _ZN9rocsparseL18bsrxmvn_3x3_kernelILj256ELj64EiiiaaiEEvT3_20rocsparse_direction_NS_24const_host_device_scalarIT1_EES1_PKS1_PKT2_SA_S7_PKT4_PKT5_S5_PT6_21rocsparse_index_base_b.has_recursion, 0
	.set _ZN9rocsparseL18bsrxmvn_3x3_kernelILj256ELj64EiiiaaiEEvT3_20rocsparse_direction_NS_24const_host_device_scalarIT1_EES1_PKS1_PKT2_SA_S7_PKT4_PKT5_S5_PT6_21rocsparse_index_base_b.has_indirect_call, 0
	.section	.AMDGPU.csdata,"",@progbits
; Kernel info:
; codeLenInByte = 2120
; TotalNumSgprs: 17
; NumVgprs: 21
; ScratchSize: 0
; MemoryBound: 0
; FloatMode: 240
; IeeeMode: 1
; LDSByteSize: 0 bytes/workgroup (compile time only)
; SGPRBlocks: 0
; VGPRBlocks: 2
; NumSGPRsForWavesPerEU: 17
; NumVGPRsForWavesPerEU: 21
; Occupancy: 16
; WaveLimiterHint : 1
; COMPUTE_PGM_RSRC2:SCRATCH_EN: 0
; COMPUTE_PGM_RSRC2:USER_SGPR: 2
; COMPUTE_PGM_RSRC2:TRAP_HANDLER: 0
; COMPUTE_PGM_RSRC2:TGID_X_EN: 1
; COMPUTE_PGM_RSRC2:TGID_Y_EN: 0
; COMPUTE_PGM_RSRC2:TGID_Z_EN: 0
; COMPUTE_PGM_RSRC2:TIDIG_COMP_CNT: 0
	.section	.text._ZN9rocsparseL18bsrxmvn_3x3_kernelILj256ELj4EiliaaiEEvT3_20rocsparse_direction_NS_24const_host_device_scalarIT1_EES1_PKS1_PKT2_SA_S7_PKT4_PKT5_S5_PT6_21rocsparse_index_base_b,"axG",@progbits,_ZN9rocsparseL18bsrxmvn_3x3_kernelILj256ELj4EiliaaiEEvT3_20rocsparse_direction_NS_24const_host_device_scalarIT1_EES1_PKS1_PKT2_SA_S7_PKT4_PKT5_S5_PT6_21rocsparse_index_base_b,comdat
	.globl	_ZN9rocsparseL18bsrxmvn_3x3_kernelILj256ELj4EiliaaiEEvT3_20rocsparse_direction_NS_24const_host_device_scalarIT1_EES1_PKS1_PKT2_SA_S7_PKT4_PKT5_S5_PT6_21rocsparse_index_base_b ; -- Begin function _ZN9rocsparseL18bsrxmvn_3x3_kernelILj256ELj4EiliaaiEEvT3_20rocsparse_direction_NS_24const_host_device_scalarIT1_EES1_PKS1_PKT2_SA_S7_PKT4_PKT5_S5_PT6_21rocsparse_index_base_b
	.p2align	8
	.type	_ZN9rocsparseL18bsrxmvn_3x3_kernelILj256ELj4EiliaaiEEvT3_20rocsparse_direction_NS_24const_host_device_scalarIT1_EES1_PKS1_PKT2_SA_S7_PKT4_PKT5_S5_PT6_21rocsparse_index_base_b,@function
_ZN9rocsparseL18bsrxmvn_3x3_kernelILj256ELj4EiliaaiEEvT3_20rocsparse_direction_NS_24const_host_device_scalarIT1_EES1_PKS1_PKT2_SA_S7_PKT4_PKT5_S5_PT6_21rocsparse_index_base_b: ; @_ZN9rocsparseL18bsrxmvn_3x3_kernelILj256ELj4EiliaaiEEvT3_20rocsparse_direction_NS_24const_host_device_scalarIT1_EES1_PKS1_PKT2_SA_S7_PKT4_PKT5_S5_PT6_21rocsparse_index_base_b
; %bb.0:
	s_clause 0x1
	s_load_b64 s[12:13], s[0:1], 0x58
	s_load_b64 s[4:5], s[0:1], 0x8
	s_mov_b32 s7, -1
	s_wait_kmcnt 0x0
	s_bitcmp1_b32 s13, 0
                                        ; implicit-def: $sgpr13
	s_cselect_b32 s2, -1, 0
	s_delay_alu instid0(SALU_CYCLE_1) | instskip(NEXT) | instid1(SALU_CYCLE_1)
	s_xor_b32 s6, s2, -1
	s_and_b32 vcc_lo, exec_lo, s6
	s_cbranch_vccnz .LBB65_4
; %bb.1:
	s_load_b64 s[2:3], s[0:1], 0x48
	s_and_not1_b32 vcc_lo, exec_lo, s7
	s_cbranch_vccz .LBB65_5
.LBB65_2:
	s_and_b32 vcc_lo, exec_lo, s6
	s_cbranch_vccz .LBB65_6
.LBB65_3:
	s_wait_kmcnt 0x0
	s_load_b32 s14, s[2:3], 0x0
	s_cbranch_execz .LBB65_7
	s_branch .LBB65_8
.LBB65_4:
	s_load_b32 s13, s[4:5], 0x0
	s_load_b64 s[2:3], s[0:1], 0x48
	s_cbranch_execnz .LBB65_2
.LBB65_5:
	s_wait_kmcnt 0x0
	s_mov_b32 s13, s4
	s_and_b32 vcc_lo, exec_lo, s6
	s_cbranch_vccnz .LBB65_3
.LBB65_6:
	s_wait_kmcnt 0x0
                                        ; implicit-def: $sgpr14
.LBB65_7:
	s_wait_kmcnt 0x0
	s_mov_b32 s14, s2
.LBB65_8:
	s_cmp_lg_u32 s13, 0
	s_mov_b32 s6, 0
	s_cselect_b32 s2, -1, 0
	s_wait_kmcnt 0x0
	s_cmp_lg_u32 s14, 1
	s_cselect_b32 s3, -1, 0
	s_delay_alu instid0(SALU_CYCLE_1) | instskip(NEXT) | instid1(SALU_CYCLE_1)
	s_or_b32 s2, s2, s3
	s_and_not1_b32 vcc_lo, exec_lo, s2
	s_cbranch_vccnz .LBB65_14
; %bb.9:
	s_clause 0x1
	s_load_b64 s[4:5], s[0:1], 0x18
	s_load_b64 s[2:3], s[0:1], 0x0
	v_lshrrev_b32_e32 v1, 2, v0
	s_delay_alu instid0(VALU_DEP_1)
	v_lshl_or_b32 v1, ttmp9, 6, v1
	s_wait_kmcnt 0x0
	s_cmp_lg_u64 s[4:5], 0
	s_cbranch_scc0 .LBB65_15
; %bb.10:
	s_load_b32 s6, s[0:1], 0x10
	s_mov_b32 s7, 0
                                        ; implicit-def: $vgpr2
	s_wait_kmcnt 0x0
	v_cmp_gt_i32_e32 vcc_lo, s6, v1
	s_mov_b32 s6, 0
	s_and_saveexec_b32 s8, vcc_lo
	s_delay_alu instid0(SALU_CYCLE_1)
	s_xor_b32 s8, exec_lo, s8
	s_cbranch_execz .LBB65_12
; %bb.11:
	v_ashrrev_i32_e32 v2, 31, v1
	s_mov_b32 s6, exec_lo
	s_delay_alu instid0(VALU_DEP_1) | instskip(NEXT) | instid1(VALU_DEP_1)
	v_lshlrev_b64_e32 v[2:3], 2, v[1:2]
	v_add_co_u32 v2, vcc_lo, s4, v2
	s_delay_alu instid0(VALU_DEP_1)
	v_add_co_ci_u32_e64 v3, null, s5, v3, vcc_lo
	global_load_b32 v2, v[2:3], off
	s_wait_loadcnt 0x0
	v_subrev_nc_u32_e32 v2, s12, v2
.LBB65_12:
	s_or_b32 exec_lo, exec_lo, s8
	s_delay_alu instid0(SALU_CYCLE_1)
	s_and_b32 vcc_lo, exec_lo, s7
	s_wait_alu 0xfffe
	s_cbranch_vccz .LBB65_16
.LBB65_13:
	v_cmp_gt_i32_e32 vcc_lo, s2, v1
	s_and_not1_b32 s2, s6, exec_lo
	s_and_b32 s4, vcc_lo, exec_lo
	s_wait_alu 0xfffe
	s_or_b32 s6, s2, s4
	s_wait_alu 0xfffe
	s_and_saveexec_b32 s2, s6
	s_cbranch_execnz .LBB65_17
.LBB65_14:
	s_endpgm
.LBB65_15:
                                        ; implicit-def: $vgpr2
	s_cbranch_execnz .LBB65_13
.LBB65_16:
	v_mov_b32_e32 v1, v2
	s_and_saveexec_b32 s2, s6
	s_cbranch_execz .LBB65_14
.LBB65_17:
	s_load_b256 s[4:11], s[0:1], 0x20
	s_delay_alu instid0(VALU_DEP_1) | instskip(SKIP_2) | instid1(VALU_DEP_3)
	v_ashrrev_i32_e32 v2, 31, v1
	v_and_b32_e32 v0, 3, v0
	v_mov_b32_e32 v14, 0
	v_lshlrev_b64_e32 v[2:3], 3, v[1:2]
	s_wait_kmcnt 0x0
	s_delay_alu instid0(VALU_DEP_1) | instskip(SKIP_1) | instid1(VALU_DEP_2)
	v_add_co_u32 v4, vcc_lo, s4, v2
	s_wait_alu 0xfffd
	v_add_co_ci_u32_e64 v5, null, s5, v3, vcc_lo
	v_add_co_u32 v2, vcc_lo, s6, v2
	s_wait_alu 0xfffd
	v_add_co_ci_u32_e64 v3, null, s7, v3, vcc_lo
	global_load_b64 v[6:7], v[4:5], off
	v_add_co_u32 v4, vcc_lo, v4, 8
	s_wait_alu 0xfffd
	v_add_co_ci_u32_e64 v5, null, 0, v5, vcc_lo
	s_cmp_eq_u64 s[6:7], 0
	s_load_b64 s[4:5], s[0:1], 0x40
	s_cselect_b32 vcc_lo, -1, 0
	s_cmp_eq_u32 s3, 1
	s_wait_alu 0xfffe
	v_dual_cndmask_b32 v3, v3, v5 :: v_dual_cndmask_b32 v2, v2, v4
	global_load_b64 v[8:9], v[2:3], off
	s_wait_loadcnt 0x1
	v_sub_co_u32 v2, vcc_lo, v6, s12
	s_wait_alu 0xfffd
	v_subrev_co_ci_u32_e64 v3, null, 0, v7, vcc_lo
	s_delay_alu instid0(VALU_DEP_2) | instskip(SKIP_1) | instid1(VALU_DEP_2)
	v_add_co_u32 v2, vcc_lo, v2, v0
	s_wait_alu 0xfffd
	v_add_co_ci_u32_e64 v3, null, 0, v3, vcc_lo
	s_delay_alu instid0(VALU_DEP_2) | instskip(NEXT) | instid1(VALU_DEP_1)
	v_mad_co_u64_u32 v[4:5], null, v2, 9, s[10:11]
	v_mad_co_u64_u32 v[5:6], null, v3, 9, v[5:6]
	s_wait_loadcnt 0x0
	v_sub_co_u32 v6, vcc_lo, v8, s12
	s_wait_alu 0xfffd
	v_subrev_co_ci_u32_e64 v7, null, 0, v9, vcc_lo
	s_delay_alu instid0(VALU_DEP_1)
	v_cmp_lt_i64_e64 s2, v[2:3], v[6:7]
	s_cbranch_scc1 .LBB65_23
; %bb.18:
	v_dual_mov_b32 v15, 0 :: v_dual_mov_b32 v16, 0
	s_and_saveexec_b32 s6, s2
	s_cbranch_execz .LBB65_22
; %bb.19:
	v_lshlrev_b64_e32 v[8:9], 2, v[2:3]
	v_dual_mov_b32 v14, 0 :: v_dual_mov_b32 v11, v5
	v_dual_mov_b32 v10, v4 :: v_dual_mov_b32 v13, v3
	;; [unrolled: 1-line block ×3, first 2 shown]
	s_delay_alu instid0(VALU_DEP_4)
	v_add_co_u32 v8, vcc_lo, s8, v8
	s_wait_alu 0xfffd
	v_add_co_ci_u32_e64 v9, null, s9, v9, vcc_lo
	v_mov_b32_e32 v12, v2
	s_mov_b32 s7, 0
.LBB65_20:                              ; =>This Inner Loop Header: Depth=1
	global_load_b32 v17, v[8:9], off
	s_wait_loadcnt 0x0
	v_subrev_nc_u32_e32 v17, s12, v17
	s_delay_alu instid0(VALU_DEP_1) | instskip(NEXT) | instid1(VALU_DEP_1)
	v_lshl_add_u32 v17, v17, 1, v17
	v_ashrrev_i32_e32 v18, 31, v17
	s_wait_kmcnt 0x0
	v_add_co_u32 v17, vcc_lo, s4, v17
	s_wait_alu 0xfffd
	s_delay_alu instid0(VALU_DEP_2)
	v_add_co_ci_u32_e64 v18, null, s5, v18, vcc_lo
	s_clause 0x1
	global_load_b64 v[19:20], v[10:11], off
	global_load_i8 v21, v[10:11], off offset:8
	s_clause 0x1
	global_load_u16 v22, v[17:18], off
	global_load_i8 v17, v[17:18], off offset:2
	v_add_co_u32 v10, vcc_lo, v10, 36
	s_wait_alu 0xfffd
	v_add_co_ci_u32_e64 v11, null, 0, v11, vcc_lo
	v_add_co_u32 v12, vcc_lo, v12, 4
	s_wait_alu 0xfffd
	v_add_co_ci_u32_e64 v13, null, 0, v13, vcc_lo
	v_add_co_u32 v8, vcc_lo, v8, 16
	s_wait_alu 0xfffd
	v_add_co_ci_u32_e64 v9, null, 0, v9, vcc_lo
	s_delay_alu instid0(VALU_DEP_3)
	v_cmp_ge_i64_e64 s3, v[12:13], v[6:7]
	s_wait_alu 0xfffe
	s_or_b32 s7, s3, s7
	s_wait_loadcnt 0x3
	v_lshrrev_b32_e32 v18, 8, v19
	v_lshrrev_b32_e32 v23, 16, v19
	s_wait_loadcnt 0x1
	v_lshrrev_b32_e32 v24, 8, v22
	v_bfe_i32 v25, v22, 0, 8
	v_bfe_i32 v18, v18, 0, 8
	;; [unrolled: 1-line block ×3, first 2 shown]
	s_delay_alu instid0(VALU_DEP_4) | instskip(NEXT) | instid1(VALU_DEP_2)
	v_bfe_i32 v24, v24, 0, 8
	v_perm_b32 v18, v23, v18, 0x5040100
	s_wait_loadcnt 0x0
	s_delay_alu instid0(VALU_DEP_2)
	v_perm_b32 v23, v17, v24, 0x5040100
	v_bfe_i32 v24, v19, 0, 8
	v_perm_b32 v19, v20, v19, 0xc050403
	v_perm_b32 v20, v21, v20, 0xc040302
	;; [unrolled: 1-line block ×3, first 2 shown]
	v_pk_mul_lo_u16 v18, v23, v18
	v_mad_i32_i24 v16, v25, v24, v16
	s_delay_alu instid0(VALU_DEP_3) | instskip(NEXT) | instid1(VALU_DEP_3)
	v_dot4_i32_iu8 v15, v17, v19, v15 neg_lo:[1,1,0]
	v_bfe_i32 v21, v18, 0, 16
	v_ashrrev_i32_e32 v18, 16, v18
	v_dot4_i32_iu8 v14, v17, v20, v14 neg_lo:[1,1,0]
	s_delay_alu instid0(VALU_DEP_2)
	v_add3_u32 v16, v16, v21, v18
	s_wait_alu 0xfffe
	s_and_not1_b32 exec_lo, exec_lo, s7
	s_cbranch_execnz .LBB65_20
; %bb.21:
	s_or_b32 exec_lo, exec_lo, s7
.LBB65_22:
	s_wait_alu 0xfffe
	s_or_b32 exec_lo, exec_lo, s6
	s_cbranch_execz .LBB65_24
	s_branch .LBB65_29
.LBB65_23:
                                        ; implicit-def: $vgpr14
                                        ; implicit-def: $vgpr15
                                        ; implicit-def: $vgpr16
.LBB65_24:
	v_dual_mov_b32 v14, 0 :: v_dual_mov_b32 v15, 0
	v_mov_b32_e32 v16, 0
	s_and_saveexec_b32 s3, s2
	s_cbranch_execz .LBB65_28
; %bb.25:
	v_lshlrev_b64_e32 v[8:9], 2, v[2:3]
	v_dual_mov_b32 v16, 0 :: v_dual_mov_b32 v15, 0
	v_mov_b32_e32 v14, 0
	s_mov_b32 s6, 0
	s_delay_alu instid0(VALU_DEP_3)
	v_add_co_u32 v8, vcc_lo, s8, v8
	s_wait_alu 0xfffd
	v_add_co_ci_u32_e64 v9, null, s9, v9, vcc_lo
.LBB65_26:                              ; =>This Inner Loop Header: Depth=1
	global_load_b32 v10, v[8:9], off
	global_load_i8 v17, v[4:5], off offset:8
	s_wait_loadcnt 0x1
	v_subrev_nc_u32_e32 v10, s12, v10
	s_delay_alu instid0(VALU_DEP_1) | instskip(NEXT) | instid1(VALU_DEP_1)
	v_lshl_add_u32 v10, v10, 1, v10
	v_ashrrev_i32_e32 v11, 31, v10
	s_wait_kmcnt 0x0
	v_add_co_u32 v10, vcc_lo, s4, v10
	s_wait_alu 0xfffd
	s_delay_alu instid0(VALU_DEP_2)
	v_add_co_ci_u32_e64 v11, null, s5, v11, vcc_lo
	v_add_co_u32 v2, vcc_lo, v2, 4
	global_load_b64 v[12:13], v[4:5], off
	s_clause 0x1
	global_load_u16 v18, v[10:11], off
	global_load_i8 v10, v[10:11], off offset:2
	s_wait_alu 0xfffd
	v_add_co_ci_u32_e64 v3, null, 0, v3, vcc_lo
	v_add_co_u32 v4, vcc_lo, v4, 36
	s_wait_alu 0xfffd
	v_add_co_ci_u32_e64 v5, null, 0, v5, vcc_lo
	s_delay_alu instid0(VALU_DEP_3) | instskip(SKIP_4) | instid1(VALU_DEP_3)
	v_cmp_ge_i64_e64 s2, v[2:3], v[6:7]
	v_add_co_u32 v8, vcc_lo, v8, 16
	s_wait_alu 0xfffd
	v_add_co_ci_u32_e64 v9, null, 0, v9, vcc_lo
	s_wait_alu 0xfffe
	s_or_b32 s6, s2, s6
	s_wait_loadcnt 0x2
	v_perm_b32 v11, v17, v13, 0xc04010c
	v_perm_b32 v17, v12, v12, 0xc0c0c02
	v_bfe_i32 v19, v12, 0, 8
	s_wait_loadcnt 0x1
	v_bfe_i32 v21, v18, 0, 8
	v_perm_b32 v20, v13, v12, 0xc0c0603
	v_perm_b32 v12, v13, v12, 0xc070401
	v_or_b32_e32 v11, v11, v17
	s_wait_loadcnt 0x0
	v_perm_b32 v13, v10, v18, 0xc040100
	v_perm_b32 v10, v10, v18, 0xc0c0401
	v_mad_i32_i24 v16, v21, v19, v16
	s_delay_alu instid0(VALU_DEP_3) | instskip(SKIP_1) | instid1(VALU_DEP_3)
	v_dot4_i32_iu8 v15, v13, v12, v15 neg_lo:[1,1,0]
	v_dot4_i32_iu8 v14, v13, v11, v14 neg_lo:[1,1,0]
	;; [unrolled: 1-line block ×3, first 2 shown]
	s_wait_alu 0xfffe
	s_and_not1_b32 exec_lo, exec_lo, s6
	s_cbranch_execnz .LBB65_26
; %bb.27:
	s_or_b32 exec_lo, exec_lo, s6
.LBB65_28:
	s_wait_alu 0xfffe
	s_or_b32 exec_lo, exec_lo, s3
.LBB65_29:
	v_mbcnt_lo_u32_b32 v2, -1, 0
	s_mov_b32 s2, -1
	s_delay_alu instid0(VALU_DEP_1) | instskip(NEXT) | instid1(VALU_DEP_1)
	v_xor_b32_e32 v3, 2, v2
	v_cmp_gt_i32_e32 vcc_lo, 32, v3
	s_wait_alu 0xfffd
	v_cndmask_b32_e32 v3, v2, v3, vcc_lo
	s_delay_alu instid0(VALU_DEP_1) | instskip(SKIP_4) | instid1(VALU_DEP_1)
	v_lshlrev_b32_e32 v3, 2, v3
	ds_bpermute_b32 v4, v3, v16
	ds_bpermute_b32 v5, v3, v15
	ds_bpermute_b32 v6, v3, v14
	v_xor_b32_e32 v3, 1, v2
	v_cmp_gt_i32_e32 vcc_lo, 32, v3
	s_wait_alu 0xfffd
	v_cndmask_b32_e32 v2, v2, v3, vcc_lo
	v_cmp_eq_u32_e32 vcc_lo, 3, v0
	s_delay_alu instid0(VALU_DEP_2)
	v_lshlrev_b32_e32 v7, 2, v2
	s_wait_dscnt 0x2
	v_add_nc_u32_e32 v2, v4, v16
	s_wait_dscnt 0x1
	v_add_nc_u32_e32 v3, v5, v15
	;; [unrolled: 2-line block ×3, first 2 shown]
	ds_bpermute_b32 v5, v7, v2
	ds_bpermute_b32 v6, v7, v3
	;; [unrolled: 1-line block ×3, first 2 shown]
	s_and_b32 exec_lo, exec_lo, vcc_lo
	s_cbranch_execz .LBB65_14
; %bb.30:
	s_load_b64 s[0:1], s[0:1], 0x50
	s_wait_dscnt 0x2
	v_add_nc_u32_e32 v0, v5, v2
	s_wait_dscnt 0x1
	v_add_nc_u32_e32 v2, v6, v3
	;; [unrolled: 2-line block ×3, first 2 shown]
	v_lshl_add_u32 v3, v1, 1, v1
	s_cmp_eq_u32 s14, 0
	v_mul_lo_u32 v0, v0, s13
	v_mul_lo_u32 v1, v2, s13
	;; [unrolled: 1-line block ×3, first 2 shown]
	v_ashrrev_i32_e32 v4, 31, v3
	s_cbranch_scc1 .LBB65_32
; %bb.31:
	s_delay_alu instid0(VALU_DEP_1) | instskip(SKIP_2) | instid1(VALU_DEP_1)
	v_lshlrev_b64_e32 v[5:6], 2, v[3:4]
	s_mov_b32 s2, 0
	s_wait_kmcnt 0x0
	v_add_co_u32 v10, vcc_lo, s0, v5
	s_wait_alu 0xfffd
	s_delay_alu instid0(VALU_DEP_2)
	v_add_co_ci_u32_e64 v11, null, s1, v6, vcc_lo
	global_load_b96 v[5:7], v[10:11], off
	s_wait_loadcnt 0x0
	v_mad_co_u64_u32 v[12:13], null, v7, s14, v[2:3]
	v_mad_co_u64_u32 v[7:8], null, v5, s14, v[0:1]
	;; [unrolled: 1-line block ×3, first 2 shown]
	s_delay_alu instid0(VALU_DEP_3)
	v_mov_b32_e32 v9, v12
	global_store_b96 v[10:11], v[7:9], off
.LBB65_32:
	s_wait_alu 0xfffe
	s_and_not1_b32 vcc_lo, exec_lo, s2
	s_wait_alu 0xfffe
	s_cbranch_vccnz .LBB65_14
; %bb.33:
	v_lshlrev_b64_e32 v[3:4], 2, v[3:4]
	s_wait_kmcnt 0x0
	s_delay_alu instid0(VALU_DEP_1) | instskip(SKIP_1) | instid1(VALU_DEP_2)
	v_add_co_u32 v3, vcc_lo, s0, v3
	s_wait_alu 0xfffd
	v_add_co_ci_u32_e64 v4, null, s1, v4, vcc_lo
	global_store_b96 v[3:4], v[0:2], off
	s_endpgm
	.section	.rodata,"a",@progbits
	.p2align	6, 0x0
	.amdhsa_kernel _ZN9rocsparseL18bsrxmvn_3x3_kernelILj256ELj4EiliaaiEEvT3_20rocsparse_direction_NS_24const_host_device_scalarIT1_EES1_PKS1_PKT2_SA_S7_PKT4_PKT5_S5_PT6_21rocsparse_index_base_b
		.amdhsa_group_segment_fixed_size 0
		.amdhsa_private_segment_fixed_size 0
		.amdhsa_kernarg_size 96
		.amdhsa_user_sgpr_count 2
		.amdhsa_user_sgpr_dispatch_ptr 0
		.amdhsa_user_sgpr_queue_ptr 0
		.amdhsa_user_sgpr_kernarg_segment_ptr 1
		.amdhsa_user_sgpr_dispatch_id 0
		.amdhsa_user_sgpr_private_segment_size 0
		.amdhsa_wavefront_size32 1
		.amdhsa_uses_dynamic_stack 0
		.amdhsa_enable_private_segment 0
		.amdhsa_system_sgpr_workgroup_id_x 1
		.amdhsa_system_sgpr_workgroup_id_y 0
		.amdhsa_system_sgpr_workgroup_id_z 0
		.amdhsa_system_sgpr_workgroup_info 0
		.amdhsa_system_vgpr_workitem_id 0
		.amdhsa_next_free_vgpr 26
		.amdhsa_next_free_sgpr 15
		.amdhsa_reserve_vcc 1
		.amdhsa_float_round_mode_32 0
		.amdhsa_float_round_mode_16_64 0
		.amdhsa_float_denorm_mode_32 3
		.amdhsa_float_denorm_mode_16_64 3
		.amdhsa_fp16_overflow 0
		.amdhsa_workgroup_processor_mode 1
		.amdhsa_memory_ordered 1
		.amdhsa_forward_progress 1
		.amdhsa_inst_pref_size 16
		.amdhsa_round_robin_scheduling 0
		.amdhsa_exception_fp_ieee_invalid_op 0
		.amdhsa_exception_fp_denorm_src 0
		.amdhsa_exception_fp_ieee_div_zero 0
		.amdhsa_exception_fp_ieee_overflow 0
		.amdhsa_exception_fp_ieee_underflow 0
		.amdhsa_exception_fp_ieee_inexact 0
		.amdhsa_exception_int_div_zero 0
	.end_amdhsa_kernel
	.section	.text._ZN9rocsparseL18bsrxmvn_3x3_kernelILj256ELj4EiliaaiEEvT3_20rocsparse_direction_NS_24const_host_device_scalarIT1_EES1_PKS1_PKT2_SA_S7_PKT4_PKT5_S5_PT6_21rocsparse_index_base_b,"axG",@progbits,_ZN9rocsparseL18bsrxmvn_3x3_kernelILj256ELj4EiliaaiEEvT3_20rocsparse_direction_NS_24const_host_device_scalarIT1_EES1_PKS1_PKT2_SA_S7_PKT4_PKT5_S5_PT6_21rocsparse_index_base_b,comdat
.Lfunc_end65:
	.size	_ZN9rocsparseL18bsrxmvn_3x3_kernelILj256ELj4EiliaaiEEvT3_20rocsparse_direction_NS_24const_host_device_scalarIT1_EES1_PKS1_PKT2_SA_S7_PKT4_PKT5_S5_PT6_21rocsparse_index_base_b, .Lfunc_end65-_ZN9rocsparseL18bsrxmvn_3x3_kernelILj256ELj4EiliaaiEEvT3_20rocsparse_direction_NS_24const_host_device_scalarIT1_EES1_PKS1_PKT2_SA_S7_PKT4_PKT5_S5_PT6_21rocsparse_index_base_b
                                        ; -- End function
	.set _ZN9rocsparseL18bsrxmvn_3x3_kernelILj256ELj4EiliaaiEEvT3_20rocsparse_direction_NS_24const_host_device_scalarIT1_EES1_PKS1_PKT2_SA_S7_PKT4_PKT5_S5_PT6_21rocsparse_index_base_b.num_vgpr, 26
	.set _ZN9rocsparseL18bsrxmvn_3x3_kernelILj256ELj4EiliaaiEEvT3_20rocsparse_direction_NS_24const_host_device_scalarIT1_EES1_PKS1_PKT2_SA_S7_PKT4_PKT5_S5_PT6_21rocsparse_index_base_b.num_agpr, 0
	.set _ZN9rocsparseL18bsrxmvn_3x3_kernelILj256ELj4EiliaaiEEvT3_20rocsparse_direction_NS_24const_host_device_scalarIT1_EES1_PKS1_PKT2_SA_S7_PKT4_PKT5_S5_PT6_21rocsparse_index_base_b.numbered_sgpr, 15
	.set _ZN9rocsparseL18bsrxmvn_3x3_kernelILj256ELj4EiliaaiEEvT3_20rocsparse_direction_NS_24const_host_device_scalarIT1_EES1_PKS1_PKT2_SA_S7_PKT4_PKT5_S5_PT6_21rocsparse_index_base_b.num_named_barrier, 0
	.set _ZN9rocsparseL18bsrxmvn_3x3_kernelILj256ELj4EiliaaiEEvT3_20rocsparse_direction_NS_24const_host_device_scalarIT1_EES1_PKS1_PKT2_SA_S7_PKT4_PKT5_S5_PT6_21rocsparse_index_base_b.private_seg_size, 0
	.set _ZN9rocsparseL18bsrxmvn_3x3_kernelILj256ELj4EiliaaiEEvT3_20rocsparse_direction_NS_24const_host_device_scalarIT1_EES1_PKS1_PKT2_SA_S7_PKT4_PKT5_S5_PT6_21rocsparse_index_base_b.uses_vcc, 1
	.set _ZN9rocsparseL18bsrxmvn_3x3_kernelILj256ELj4EiliaaiEEvT3_20rocsparse_direction_NS_24const_host_device_scalarIT1_EES1_PKS1_PKT2_SA_S7_PKT4_PKT5_S5_PT6_21rocsparse_index_base_b.uses_flat_scratch, 0
	.set _ZN9rocsparseL18bsrxmvn_3x3_kernelILj256ELj4EiliaaiEEvT3_20rocsparse_direction_NS_24const_host_device_scalarIT1_EES1_PKS1_PKT2_SA_S7_PKT4_PKT5_S5_PT6_21rocsparse_index_base_b.has_dyn_sized_stack, 0
	.set _ZN9rocsparseL18bsrxmvn_3x3_kernelILj256ELj4EiliaaiEEvT3_20rocsparse_direction_NS_24const_host_device_scalarIT1_EES1_PKS1_PKT2_SA_S7_PKT4_PKT5_S5_PT6_21rocsparse_index_base_b.has_recursion, 0
	.set _ZN9rocsparseL18bsrxmvn_3x3_kernelILj256ELj4EiliaaiEEvT3_20rocsparse_direction_NS_24const_host_device_scalarIT1_EES1_PKS1_PKT2_SA_S7_PKT4_PKT5_S5_PT6_21rocsparse_index_base_b.has_indirect_call, 0
	.section	.AMDGPU.csdata,"",@progbits
; Kernel info:
; codeLenInByte = 1972
; TotalNumSgprs: 17
; NumVgprs: 26
; ScratchSize: 0
; MemoryBound: 0
; FloatMode: 240
; IeeeMode: 1
; LDSByteSize: 0 bytes/workgroup (compile time only)
; SGPRBlocks: 0
; VGPRBlocks: 3
; NumSGPRsForWavesPerEU: 17
; NumVGPRsForWavesPerEU: 26
; Occupancy: 16
; WaveLimiterHint : 1
; COMPUTE_PGM_RSRC2:SCRATCH_EN: 0
; COMPUTE_PGM_RSRC2:USER_SGPR: 2
; COMPUTE_PGM_RSRC2:TRAP_HANDLER: 0
; COMPUTE_PGM_RSRC2:TGID_X_EN: 1
; COMPUTE_PGM_RSRC2:TGID_Y_EN: 0
; COMPUTE_PGM_RSRC2:TGID_Z_EN: 0
; COMPUTE_PGM_RSRC2:TIDIG_COMP_CNT: 0
	.section	.text._ZN9rocsparseL18bsrxmvn_3x3_kernelILj256ELj8EiliaaiEEvT3_20rocsparse_direction_NS_24const_host_device_scalarIT1_EES1_PKS1_PKT2_SA_S7_PKT4_PKT5_S5_PT6_21rocsparse_index_base_b,"axG",@progbits,_ZN9rocsparseL18bsrxmvn_3x3_kernelILj256ELj8EiliaaiEEvT3_20rocsparse_direction_NS_24const_host_device_scalarIT1_EES1_PKS1_PKT2_SA_S7_PKT4_PKT5_S5_PT6_21rocsparse_index_base_b,comdat
	.globl	_ZN9rocsparseL18bsrxmvn_3x3_kernelILj256ELj8EiliaaiEEvT3_20rocsparse_direction_NS_24const_host_device_scalarIT1_EES1_PKS1_PKT2_SA_S7_PKT4_PKT5_S5_PT6_21rocsparse_index_base_b ; -- Begin function _ZN9rocsparseL18bsrxmvn_3x3_kernelILj256ELj8EiliaaiEEvT3_20rocsparse_direction_NS_24const_host_device_scalarIT1_EES1_PKS1_PKT2_SA_S7_PKT4_PKT5_S5_PT6_21rocsparse_index_base_b
	.p2align	8
	.type	_ZN9rocsparseL18bsrxmvn_3x3_kernelILj256ELj8EiliaaiEEvT3_20rocsparse_direction_NS_24const_host_device_scalarIT1_EES1_PKS1_PKT2_SA_S7_PKT4_PKT5_S5_PT6_21rocsparse_index_base_b,@function
_ZN9rocsparseL18bsrxmvn_3x3_kernelILj256ELj8EiliaaiEEvT3_20rocsparse_direction_NS_24const_host_device_scalarIT1_EES1_PKS1_PKT2_SA_S7_PKT4_PKT5_S5_PT6_21rocsparse_index_base_b: ; @_ZN9rocsparseL18bsrxmvn_3x3_kernelILj256ELj8EiliaaiEEvT3_20rocsparse_direction_NS_24const_host_device_scalarIT1_EES1_PKS1_PKT2_SA_S7_PKT4_PKT5_S5_PT6_21rocsparse_index_base_b
; %bb.0:
	s_clause 0x1
	s_load_b64 s[12:13], s[0:1], 0x58
	s_load_b64 s[4:5], s[0:1], 0x8
	s_mov_b32 s7, -1
	s_wait_kmcnt 0x0
	s_bitcmp1_b32 s13, 0
                                        ; implicit-def: $sgpr13
	s_cselect_b32 s2, -1, 0
	s_delay_alu instid0(SALU_CYCLE_1) | instskip(NEXT) | instid1(SALU_CYCLE_1)
	s_xor_b32 s6, s2, -1
	s_and_b32 vcc_lo, exec_lo, s6
	s_cbranch_vccnz .LBB66_4
; %bb.1:
	s_load_b64 s[2:3], s[0:1], 0x48
	s_and_not1_b32 vcc_lo, exec_lo, s7
	s_cbranch_vccz .LBB66_5
.LBB66_2:
	s_and_b32 vcc_lo, exec_lo, s6
	s_cbranch_vccz .LBB66_6
.LBB66_3:
	s_wait_kmcnt 0x0
	s_load_b32 s14, s[2:3], 0x0
	s_cbranch_execz .LBB66_7
	s_branch .LBB66_8
.LBB66_4:
	s_load_b32 s13, s[4:5], 0x0
	s_load_b64 s[2:3], s[0:1], 0x48
	s_cbranch_execnz .LBB66_2
.LBB66_5:
	s_wait_kmcnt 0x0
	s_mov_b32 s13, s4
	s_and_b32 vcc_lo, exec_lo, s6
	s_cbranch_vccnz .LBB66_3
.LBB66_6:
	s_wait_kmcnt 0x0
                                        ; implicit-def: $sgpr14
.LBB66_7:
	s_wait_kmcnt 0x0
	s_mov_b32 s14, s2
.LBB66_8:
	s_cmp_lg_u32 s13, 0
	s_mov_b32 s6, 0
	s_cselect_b32 s2, -1, 0
	s_wait_kmcnt 0x0
	s_cmp_lg_u32 s14, 1
	s_cselect_b32 s3, -1, 0
	s_delay_alu instid0(SALU_CYCLE_1) | instskip(NEXT) | instid1(SALU_CYCLE_1)
	s_or_b32 s2, s2, s3
	s_and_not1_b32 vcc_lo, exec_lo, s2
	s_cbranch_vccnz .LBB66_14
; %bb.9:
	s_clause 0x1
	s_load_b64 s[4:5], s[0:1], 0x18
	s_load_b64 s[2:3], s[0:1], 0x0
	v_lshrrev_b32_e32 v1, 3, v0
	s_delay_alu instid0(VALU_DEP_1)
	v_lshl_or_b32 v1, ttmp9, 5, v1
	s_wait_kmcnt 0x0
	s_cmp_lg_u64 s[4:5], 0
	s_cbranch_scc0 .LBB66_15
; %bb.10:
	s_load_b32 s6, s[0:1], 0x10
	s_mov_b32 s7, 0
                                        ; implicit-def: $vgpr2
	s_wait_kmcnt 0x0
	v_cmp_gt_i32_e32 vcc_lo, s6, v1
	s_mov_b32 s6, 0
	s_and_saveexec_b32 s8, vcc_lo
	s_delay_alu instid0(SALU_CYCLE_1)
	s_xor_b32 s8, exec_lo, s8
	s_cbranch_execz .LBB66_12
; %bb.11:
	v_ashrrev_i32_e32 v2, 31, v1
	s_mov_b32 s6, exec_lo
	s_delay_alu instid0(VALU_DEP_1) | instskip(NEXT) | instid1(VALU_DEP_1)
	v_lshlrev_b64_e32 v[2:3], 2, v[1:2]
	v_add_co_u32 v2, vcc_lo, s4, v2
	s_delay_alu instid0(VALU_DEP_1)
	v_add_co_ci_u32_e64 v3, null, s5, v3, vcc_lo
	global_load_b32 v2, v[2:3], off
	s_wait_loadcnt 0x0
	v_subrev_nc_u32_e32 v2, s12, v2
.LBB66_12:
	s_or_b32 exec_lo, exec_lo, s8
	s_delay_alu instid0(SALU_CYCLE_1)
	s_and_b32 vcc_lo, exec_lo, s7
	s_wait_alu 0xfffe
	s_cbranch_vccz .LBB66_16
.LBB66_13:
	v_cmp_gt_i32_e32 vcc_lo, s2, v1
	s_and_not1_b32 s2, s6, exec_lo
	s_and_b32 s4, vcc_lo, exec_lo
	s_wait_alu 0xfffe
	s_or_b32 s6, s2, s4
	s_wait_alu 0xfffe
	s_and_saveexec_b32 s2, s6
	s_cbranch_execnz .LBB66_17
.LBB66_14:
	s_endpgm
.LBB66_15:
                                        ; implicit-def: $vgpr2
	s_cbranch_execnz .LBB66_13
.LBB66_16:
	v_mov_b32_e32 v1, v2
	s_and_saveexec_b32 s2, s6
	s_cbranch_execz .LBB66_14
.LBB66_17:
	s_load_b256 s[4:11], s[0:1], 0x20
	s_delay_alu instid0(VALU_DEP_1) | instskip(SKIP_2) | instid1(VALU_DEP_3)
	v_ashrrev_i32_e32 v2, 31, v1
	v_and_b32_e32 v0, 7, v0
	v_mov_b32_e32 v14, 0
	v_lshlrev_b64_e32 v[2:3], 3, v[1:2]
	s_wait_kmcnt 0x0
	s_delay_alu instid0(VALU_DEP_1) | instskip(SKIP_1) | instid1(VALU_DEP_2)
	v_add_co_u32 v4, vcc_lo, s4, v2
	s_wait_alu 0xfffd
	v_add_co_ci_u32_e64 v5, null, s5, v3, vcc_lo
	v_add_co_u32 v2, vcc_lo, s6, v2
	s_wait_alu 0xfffd
	v_add_co_ci_u32_e64 v3, null, s7, v3, vcc_lo
	global_load_b64 v[6:7], v[4:5], off
	v_add_co_u32 v4, vcc_lo, v4, 8
	s_wait_alu 0xfffd
	v_add_co_ci_u32_e64 v5, null, 0, v5, vcc_lo
	s_cmp_eq_u64 s[6:7], 0
	s_load_b64 s[4:5], s[0:1], 0x40
	s_cselect_b32 vcc_lo, -1, 0
	s_cmp_eq_u32 s3, 1
	s_wait_alu 0xfffe
	v_dual_cndmask_b32 v3, v3, v5 :: v_dual_cndmask_b32 v2, v2, v4
	global_load_b64 v[8:9], v[2:3], off
	s_wait_loadcnt 0x1
	v_sub_co_u32 v2, vcc_lo, v6, s12
	s_wait_alu 0xfffd
	v_subrev_co_ci_u32_e64 v3, null, 0, v7, vcc_lo
	s_delay_alu instid0(VALU_DEP_2) | instskip(SKIP_1) | instid1(VALU_DEP_2)
	v_add_co_u32 v2, vcc_lo, v2, v0
	s_wait_alu 0xfffd
	v_add_co_ci_u32_e64 v3, null, 0, v3, vcc_lo
	s_delay_alu instid0(VALU_DEP_2) | instskip(NEXT) | instid1(VALU_DEP_1)
	v_mad_co_u64_u32 v[4:5], null, v2, 9, s[10:11]
	v_mad_co_u64_u32 v[5:6], null, v3, 9, v[5:6]
	s_wait_loadcnt 0x0
	v_sub_co_u32 v6, vcc_lo, v8, s12
	s_wait_alu 0xfffd
	v_subrev_co_ci_u32_e64 v7, null, 0, v9, vcc_lo
	s_delay_alu instid0(VALU_DEP_1)
	v_cmp_lt_i64_e64 s2, v[2:3], v[6:7]
	s_cbranch_scc1 .LBB66_23
; %bb.18:
	v_dual_mov_b32 v15, 0 :: v_dual_mov_b32 v16, 0
	s_and_saveexec_b32 s6, s2
	s_cbranch_execz .LBB66_22
; %bb.19:
	v_lshlrev_b64_e32 v[8:9], 2, v[2:3]
	v_dual_mov_b32 v14, 0 :: v_dual_mov_b32 v11, v5
	v_dual_mov_b32 v10, v4 :: v_dual_mov_b32 v13, v3
	;; [unrolled: 1-line block ×3, first 2 shown]
	s_delay_alu instid0(VALU_DEP_4)
	v_add_co_u32 v8, vcc_lo, s8, v8
	s_wait_alu 0xfffd
	v_add_co_ci_u32_e64 v9, null, s9, v9, vcc_lo
	v_mov_b32_e32 v12, v2
	s_mov_b32 s7, 0
.LBB66_20:                              ; =>This Inner Loop Header: Depth=1
	global_load_b32 v17, v[8:9], off
	s_wait_loadcnt 0x0
	v_subrev_nc_u32_e32 v17, s12, v17
	s_delay_alu instid0(VALU_DEP_1) | instskip(NEXT) | instid1(VALU_DEP_1)
	v_lshl_add_u32 v17, v17, 1, v17
	v_ashrrev_i32_e32 v18, 31, v17
	s_wait_kmcnt 0x0
	v_add_co_u32 v17, vcc_lo, s4, v17
	s_wait_alu 0xfffd
	s_delay_alu instid0(VALU_DEP_2)
	v_add_co_ci_u32_e64 v18, null, s5, v18, vcc_lo
	s_clause 0x1
	global_load_b64 v[19:20], v[10:11], off
	global_load_i8 v21, v[10:11], off offset:8
	s_clause 0x1
	global_load_u16 v22, v[17:18], off
	global_load_i8 v17, v[17:18], off offset:2
	v_add_co_u32 v10, vcc_lo, 0x48, v10
	s_wait_alu 0xfffd
	v_add_co_ci_u32_e64 v11, null, 0, v11, vcc_lo
	v_add_co_u32 v12, vcc_lo, v12, 8
	s_wait_alu 0xfffd
	v_add_co_ci_u32_e64 v13, null, 0, v13, vcc_lo
	;; [unrolled: 3-line block ×3, first 2 shown]
	s_delay_alu instid0(VALU_DEP_3)
	v_cmp_ge_i64_e64 s3, v[12:13], v[6:7]
	s_wait_alu 0xfffe
	s_or_b32 s7, s3, s7
	s_wait_loadcnt 0x3
	v_lshrrev_b32_e32 v18, 8, v19
	v_lshrrev_b32_e32 v23, 16, v19
	s_wait_loadcnt 0x1
	v_lshrrev_b32_e32 v24, 8, v22
	v_bfe_i32 v25, v22, 0, 8
	v_bfe_i32 v18, v18, 0, 8
	;; [unrolled: 1-line block ×3, first 2 shown]
	s_delay_alu instid0(VALU_DEP_4) | instskip(NEXT) | instid1(VALU_DEP_2)
	v_bfe_i32 v24, v24, 0, 8
	v_perm_b32 v18, v23, v18, 0x5040100
	s_wait_loadcnt 0x0
	s_delay_alu instid0(VALU_DEP_2)
	v_perm_b32 v23, v17, v24, 0x5040100
	v_bfe_i32 v24, v19, 0, 8
	v_perm_b32 v19, v20, v19, 0xc050403
	v_perm_b32 v20, v21, v20, 0xc040302
	;; [unrolled: 1-line block ×3, first 2 shown]
	v_pk_mul_lo_u16 v18, v23, v18
	v_mad_i32_i24 v16, v25, v24, v16
	s_delay_alu instid0(VALU_DEP_3) | instskip(NEXT) | instid1(VALU_DEP_3)
	v_dot4_i32_iu8 v15, v17, v19, v15 neg_lo:[1,1,0]
	v_bfe_i32 v21, v18, 0, 16
	v_ashrrev_i32_e32 v18, 16, v18
	v_dot4_i32_iu8 v14, v17, v20, v14 neg_lo:[1,1,0]
	s_delay_alu instid0(VALU_DEP_2)
	v_add3_u32 v16, v16, v21, v18
	s_wait_alu 0xfffe
	s_and_not1_b32 exec_lo, exec_lo, s7
	s_cbranch_execnz .LBB66_20
; %bb.21:
	s_or_b32 exec_lo, exec_lo, s7
.LBB66_22:
	s_wait_alu 0xfffe
	s_or_b32 exec_lo, exec_lo, s6
	s_cbranch_execz .LBB66_24
	s_branch .LBB66_29
.LBB66_23:
                                        ; implicit-def: $vgpr14
                                        ; implicit-def: $vgpr15
                                        ; implicit-def: $vgpr16
.LBB66_24:
	v_dual_mov_b32 v14, 0 :: v_dual_mov_b32 v15, 0
	v_mov_b32_e32 v16, 0
	s_and_saveexec_b32 s3, s2
	s_cbranch_execz .LBB66_28
; %bb.25:
	v_lshlrev_b64_e32 v[8:9], 2, v[2:3]
	v_dual_mov_b32 v16, 0 :: v_dual_mov_b32 v15, 0
	v_mov_b32_e32 v14, 0
	s_mov_b32 s6, 0
	s_delay_alu instid0(VALU_DEP_3)
	v_add_co_u32 v8, vcc_lo, s8, v8
	s_wait_alu 0xfffd
	v_add_co_ci_u32_e64 v9, null, s9, v9, vcc_lo
.LBB66_26:                              ; =>This Inner Loop Header: Depth=1
	global_load_b32 v10, v[8:9], off
	global_load_i8 v17, v[4:5], off offset:8
	s_wait_loadcnt 0x1
	v_subrev_nc_u32_e32 v10, s12, v10
	s_delay_alu instid0(VALU_DEP_1) | instskip(NEXT) | instid1(VALU_DEP_1)
	v_lshl_add_u32 v10, v10, 1, v10
	v_ashrrev_i32_e32 v11, 31, v10
	s_wait_kmcnt 0x0
	v_add_co_u32 v10, vcc_lo, s4, v10
	s_wait_alu 0xfffd
	s_delay_alu instid0(VALU_DEP_2)
	v_add_co_ci_u32_e64 v11, null, s5, v11, vcc_lo
	v_add_co_u32 v2, vcc_lo, v2, 8
	global_load_b64 v[12:13], v[4:5], off
	s_clause 0x1
	global_load_u16 v18, v[10:11], off
	global_load_i8 v10, v[10:11], off offset:2
	s_wait_alu 0xfffd
	v_add_co_ci_u32_e64 v3, null, 0, v3, vcc_lo
	v_add_co_u32 v4, vcc_lo, 0x48, v4
	s_wait_alu 0xfffd
	v_add_co_ci_u32_e64 v5, null, 0, v5, vcc_lo
	s_delay_alu instid0(VALU_DEP_3) | instskip(SKIP_4) | instid1(VALU_DEP_3)
	v_cmp_ge_i64_e64 s2, v[2:3], v[6:7]
	v_add_co_u32 v8, vcc_lo, v8, 32
	s_wait_alu 0xfffd
	v_add_co_ci_u32_e64 v9, null, 0, v9, vcc_lo
	s_wait_alu 0xfffe
	s_or_b32 s6, s2, s6
	s_wait_loadcnt 0x2
	v_perm_b32 v11, v17, v13, 0xc04010c
	v_perm_b32 v17, v12, v12, 0xc0c0c02
	v_bfe_i32 v19, v12, 0, 8
	s_wait_loadcnt 0x1
	v_bfe_i32 v21, v18, 0, 8
	v_perm_b32 v20, v13, v12, 0xc0c0603
	v_perm_b32 v12, v13, v12, 0xc070401
	v_or_b32_e32 v11, v11, v17
	s_wait_loadcnt 0x0
	v_perm_b32 v13, v10, v18, 0xc040100
	v_perm_b32 v10, v10, v18, 0xc0c0401
	v_mad_i32_i24 v16, v21, v19, v16
	s_delay_alu instid0(VALU_DEP_3) | instskip(SKIP_1) | instid1(VALU_DEP_3)
	v_dot4_i32_iu8 v15, v13, v12, v15 neg_lo:[1,1,0]
	v_dot4_i32_iu8 v14, v13, v11, v14 neg_lo:[1,1,0]
	v_dot4_i32_iu8 v16, v10, v20, v16 neg_lo:[1,1,0]
	s_wait_alu 0xfffe
	s_and_not1_b32 exec_lo, exec_lo, s6
	s_cbranch_execnz .LBB66_26
; %bb.27:
	s_or_b32 exec_lo, exec_lo, s6
.LBB66_28:
	s_wait_alu 0xfffe
	s_or_b32 exec_lo, exec_lo, s3
.LBB66_29:
	v_mbcnt_lo_u32_b32 v2, -1, 0
	s_mov_b32 s2, -1
	s_delay_alu instid0(VALU_DEP_1) | instskip(SKIP_2) | instid1(VALU_DEP_3)
	v_xor_b32_e32 v3, 4, v2
	v_xor_b32_e32 v6, 2, v2
	;; [unrolled: 1-line block ×3, first 2 shown]
	v_cmp_gt_i32_e32 vcc_lo, 32, v3
	s_wait_alu 0xfffd
	v_cndmask_b32_e32 v3, v2, v3, vcc_lo
	v_cmp_gt_i32_e32 vcc_lo, 32, v6
	s_wait_alu 0xfffd
	v_cndmask_b32_e32 v6, v2, v6, vcc_lo
	v_cmp_gt_i32_e32 vcc_lo, 32, v9
	s_delay_alu instid0(VALU_DEP_2)
	v_lshlrev_b32_e32 v6, 2, v6
	s_wait_alu 0xfffd
	v_dual_cndmask_b32 v2, v2, v9 :: v_dual_lshlrev_b32 v3, 2, v3
	v_cmp_eq_u32_e32 vcc_lo, 7, v0
	ds_bpermute_b32 v4, v3, v16
	ds_bpermute_b32 v5, v3, v15
	;; [unrolled: 1-line block ×3, first 2 shown]
	v_lshlrev_b32_e32 v9, 2, v2
	s_wait_dscnt 0x2
	v_add_nc_u32_e32 v4, v4, v16
	s_wait_dscnt 0x1
	v_add_nc_u32_e32 v5, v5, v15
	;; [unrolled: 2-line block ×3, first 2 shown]
	ds_bpermute_b32 v3, v6, v4
	ds_bpermute_b32 v8, v6, v5
	;; [unrolled: 1-line block ×3, first 2 shown]
	s_wait_dscnt 0x2
	v_add_nc_u32_e32 v2, v3, v4
	s_wait_dscnt 0x1
	v_add_nc_u32_e32 v3, v8, v5
	;; [unrolled: 2-line block ×3, first 2 shown]
	ds_bpermute_b32 v5, v9, v2
	ds_bpermute_b32 v6, v9, v3
	;; [unrolled: 1-line block ×3, first 2 shown]
	s_and_b32 exec_lo, exec_lo, vcc_lo
	s_cbranch_execz .LBB66_14
; %bb.30:
	s_load_b64 s[0:1], s[0:1], 0x50
	s_wait_dscnt 0x2
	v_add_nc_u32_e32 v0, v5, v2
	s_wait_dscnt 0x1
	v_add_nc_u32_e32 v2, v6, v3
	;; [unrolled: 2-line block ×3, first 2 shown]
	v_lshl_add_u32 v3, v1, 1, v1
	s_cmp_eq_u32 s14, 0
	v_mul_lo_u32 v0, v0, s13
	v_mul_lo_u32 v1, v2, s13
	;; [unrolled: 1-line block ×3, first 2 shown]
	v_ashrrev_i32_e32 v4, 31, v3
	s_cbranch_scc1 .LBB66_32
; %bb.31:
	s_delay_alu instid0(VALU_DEP_1) | instskip(SKIP_2) | instid1(VALU_DEP_1)
	v_lshlrev_b64_e32 v[5:6], 2, v[3:4]
	s_mov_b32 s2, 0
	s_wait_kmcnt 0x0
	v_add_co_u32 v10, vcc_lo, s0, v5
	s_wait_alu 0xfffd
	s_delay_alu instid0(VALU_DEP_2)
	v_add_co_ci_u32_e64 v11, null, s1, v6, vcc_lo
	global_load_b96 v[5:7], v[10:11], off
	s_wait_loadcnt 0x0
	v_mad_co_u64_u32 v[12:13], null, v7, s14, v[2:3]
	v_mad_co_u64_u32 v[7:8], null, v5, s14, v[0:1]
	;; [unrolled: 1-line block ×3, first 2 shown]
	s_delay_alu instid0(VALU_DEP_3)
	v_mov_b32_e32 v9, v12
	global_store_b96 v[10:11], v[7:9], off
.LBB66_32:
	s_wait_alu 0xfffe
	s_and_not1_b32 vcc_lo, exec_lo, s2
	s_wait_alu 0xfffe
	s_cbranch_vccnz .LBB66_14
; %bb.33:
	v_lshlrev_b64_e32 v[3:4], 2, v[3:4]
	s_wait_kmcnt 0x0
	s_delay_alu instid0(VALU_DEP_1) | instskip(SKIP_1) | instid1(VALU_DEP_2)
	v_add_co_u32 v3, vcc_lo, s0, v3
	s_wait_alu 0xfffd
	v_add_co_ci_u32_e64 v4, null, s1, v4, vcc_lo
	global_store_b96 v[3:4], v[0:2], off
	s_endpgm
	.section	.rodata,"a",@progbits
	.p2align	6, 0x0
	.amdhsa_kernel _ZN9rocsparseL18bsrxmvn_3x3_kernelILj256ELj8EiliaaiEEvT3_20rocsparse_direction_NS_24const_host_device_scalarIT1_EES1_PKS1_PKT2_SA_S7_PKT4_PKT5_S5_PT6_21rocsparse_index_base_b
		.amdhsa_group_segment_fixed_size 0
		.amdhsa_private_segment_fixed_size 0
		.amdhsa_kernarg_size 96
		.amdhsa_user_sgpr_count 2
		.amdhsa_user_sgpr_dispatch_ptr 0
		.amdhsa_user_sgpr_queue_ptr 0
		.amdhsa_user_sgpr_kernarg_segment_ptr 1
		.amdhsa_user_sgpr_dispatch_id 0
		.amdhsa_user_sgpr_private_segment_size 0
		.amdhsa_wavefront_size32 1
		.amdhsa_uses_dynamic_stack 0
		.amdhsa_enable_private_segment 0
		.amdhsa_system_sgpr_workgroup_id_x 1
		.amdhsa_system_sgpr_workgroup_id_y 0
		.amdhsa_system_sgpr_workgroup_id_z 0
		.amdhsa_system_sgpr_workgroup_info 0
		.amdhsa_system_vgpr_workitem_id 0
		.amdhsa_next_free_vgpr 26
		.amdhsa_next_free_sgpr 15
		.amdhsa_reserve_vcc 1
		.amdhsa_float_round_mode_32 0
		.amdhsa_float_round_mode_16_64 0
		.amdhsa_float_denorm_mode_32 3
		.amdhsa_float_denorm_mode_16_64 3
		.amdhsa_fp16_overflow 0
		.amdhsa_workgroup_processor_mode 1
		.amdhsa_memory_ordered 1
		.amdhsa_forward_progress 1
		.amdhsa_inst_pref_size 16
		.amdhsa_round_robin_scheduling 0
		.amdhsa_exception_fp_ieee_invalid_op 0
		.amdhsa_exception_fp_denorm_src 0
		.amdhsa_exception_fp_ieee_div_zero 0
		.amdhsa_exception_fp_ieee_overflow 0
		.amdhsa_exception_fp_ieee_underflow 0
		.amdhsa_exception_fp_ieee_inexact 0
		.amdhsa_exception_int_div_zero 0
	.end_amdhsa_kernel
	.section	.text._ZN9rocsparseL18bsrxmvn_3x3_kernelILj256ELj8EiliaaiEEvT3_20rocsparse_direction_NS_24const_host_device_scalarIT1_EES1_PKS1_PKT2_SA_S7_PKT4_PKT5_S5_PT6_21rocsparse_index_base_b,"axG",@progbits,_ZN9rocsparseL18bsrxmvn_3x3_kernelILj256ELj8EiliaaiEEvT3_20rocsparse_direction_NS_24const_host_device_scalarIT1_EES1_PKS1_PKT2_SA_S7_PKT4_PKT5_S5_PT6_21rocsparse_index_base_b,comdat
.Lfunc_end66:
	.size	_ZN9rocsparseL18bsrxmvn_3x3_kernelILj256ELj8EiliaaiEEvT3_20rocsparse_direction_NS_24const_host_device_scalarIT1_EES1_PKS1_PKT2_SA_S7_PKT4_PKT5_S5_PT6_21rocsparse_index_base_b, .Lfunc_end66-_ZN9rocsparseL18bsrxmvn_3x3_kernelILj256ELj8EiliaaiEEvT3_20rocsparse_direction_NS_24const_host_device_scalarIT1_EES1_PKS1_PKT2_SA_S7_PKT4_PKT5_S5_PT6_21rocsparse_index_base_b
                                        ; -- End function
	.set _ZN9rocsparseL18bsrxmvn_3x3_kernelILj256ELj8EiliaaiEEvT3_20rocsparse_direction_NS_24const_host_device_scalarIT1_EES1_PKS1_PKT2_SA_S7_PKT4_PKT5_S5_PT6_21rocsparse_index_base_b.num_vgpr, 26
	.set _ZN9rocsparseL18bsrxmvn_3x3_kernelILj256ELj8EiliaaiEEvT3_20rocsparse_direction_NS_24const_host_device_scalarIT1_EES1_PKS1_PKT2_SA_S7_PKT4_PKT5_S5_PT6_21rocsparse_index_base_b.num_agpr, 0
	.set _ZN9rocsparseL18bsrxmvn_3x3_kernelILj256ELj8EiliaaiEEvT3_20rocsparse_direction_NS_24const_host_device_scalarIT1_EES1_PKS1_PKT2_SA_S7_PKT4_PKT5_S5_PT6_21rocsparse_index_base_b.numbered_sgpr, 15
	.set _ZN9rocsparseL18bsrxmvn_3x3_kernelILj256ELj8EiliaaiEEvT3_20rocsparse_direction_NS_24const_host_device_scalarIT1_EES1_PKS1_PKT2_SA_S7_PKT4_PKT5_S5_PT6_21rocsparse_index_base_b.num_named_barrier, 0
	.set _ZN9rocsparseL18bsrxmvn_3x3_kernelILj256ELj8EiliaaiEEvT3_20rocsparse_direction_NS_24const_host_device_scalarIT1_EES1_PKS1_PKT2_SA_S7_PKT4_PKT5_S5_PT6_21rocsparse_index_base_b.private_seg_size, 0
	.set _ZN9rocsparseL18bsrxmvn_3x3_kernelILj256ELj8EiliaaiEEvT3_20rocsparse_direction_NS_24const_host_device_scalarIT1_EES1_PKS1_PKT2_SA_S7_PKT4_PKT5_S5_PT6_21rocsparse_index_base_b.uses_vcc, 1
	.set _ZN9rocsparseL18bsrxmvn_3x3_kernelILj256ELj8EiliaaiEEvT3_20rocsparse_direction_NS_24const_host_device_scalarIT1_EES1_PKS1_PKT2_SA_S7_PKT4_PKT5_S5_PT6_21rocsparse_index_base_b.uses_flat_scratch, 0
	.set _ZN9rocsparseL18bsrxmvn_3x3_kernelILj256ELj8EiliaaiEEvT3_20rocsparse_direction_NS_24const_host_device_scalarIT1_EES1_PKS1_PKT2_SA_S7_PKT4_PKT5_S5_PT6_21rocsparse_index_base_b.has_dyn_sized_stack, 0
	.set _ZN9rocsparseL18bsrxmvn_3x3_kernelILj256ELj8EiliaaiEEvT3_20rocsparse_direction_NS_24const_host_device_scalarIT1_EES1_PKS1_PKT2_SA_S7_PKT4_PKT5_S5_PT6_21rocsparse_index_base_b.has_recursion, 0
	.set _ZN9rocsparseL18bsrxmvn_3x3_kernelILj256ELj8EiliaaiEEvT3_20rocsparse_direction_NS_24const_host_device_scalarIT1_EES1_PKS1_PKT2_SA_S7_PKT4_PKT5_S5_PT6_21rocsparse_index_base_b.has_indirect_call, 0
	.section	.AMDGPU.csdata,"",@progbits
; Kernel info:
; codeLenInByte = 2044
; TotalNumSgprs: 17
; NumVgprs: 26
; ScratchSize: 0
; MemoryBound: 0
; FloatMode: 240
; IeeeMode: 1
; LDSByteSize: 0 bytes/workgroup (compile time only)
; SGPRBlocks: 0
; VGPRBlocks: 3
; NumSGPRsForWavesPerEU: 17
; NumVGPRsForWavesPerEU: 26
; Occupancy: 16
; WaveLimiterHint : 1
; COMPUTE_PGM_RSRC2:SCRATCH_EN: 0
; COMPUTE_PGM_RSRC2:USER_SGPR: 2
; COMPUTE_PGM_RSRC2:TRAP_HANDLER: 0
; COMPUTE_PGM_RSRC2:TGID_X_EN: 1
; COMPUTE_PGM_RSRC2:TGID_Y_EN: 0
; COMPUTE_PGM_RSRC2:TGID_Z_EN: 0
; COMPUTE_PGM_RSRC2:TIDIG_COMP_CNT: 0
	.section	.text._ZN9rocsparseL18bsrxmvn_3x3_kernelILj256ELj16EiliaaiEEvT3_20rocsparse_direction_NS_24const_host_device_scalarIT1_EES1_PKS1_PKT2_SA_S7_PKT4_PKT5_S5_PT6_21rocsparse_index_base_b,"axG",@progbits,_ZN9rocsparseL18bsrxmvn_3x3_kernelILj256ELj16EiliaaiEEvT3_20rocsparse_direction_NS_24const_host_device_scalarIT1_EES1_PKS1_PKT2_SA_S7_PKT4_PKT5_S5_PT6_21rocsparse_index_base_b,comdat
	.globl	_ZN9rocsparseL18bsrxmvn_3x3_kernelILj256ELj16EiliaaiEEvT3_20rocsparse_direction_NS_24const_host_device_scalarIT1_EES1_PKS1_PKT2_SA_S7_PKT4_PKT5_S5_PT6_21rocsparse_index_base_b ; -- Begin function _ZN9rocsparseL18bsrxmvn_3x3_kernelILj256ELj16EiliaaiEEvT3_20rocsparse_direction_NS_24const_host_device_scalarIT1_EES1_PKS1_PKT2_SA_S7_PKT4_PKT5_S5_PT6_21rocsparse_index_base_b
	.p2align	8
	.type	_ZN9rocsparseL18bsrxmvn_3x3_kernelILj256ELj16EiliaaiEEvT3_20rocsparse_direction_NS_24const_host_device_scalarIT1_EES1_PKS1_PKT2_SA_S7_PKT4_PKT5_S5_PT6_21rocsparse_index_base_b,@function
_ZN9rocsparseL18bsrxmvn_3x3_kernelILj256ELj16EiliaaiEEvT3_20rocsparse_direction_NS_24const_host_device_scalarIT1_EES1_PKS1_PKT2_SA_S7_PKT4_PKT5_S5_PT6_21rocsparse_index_base_b: ; @_ZN9rocsparseL18bsrxmvn_3x3_kernelILj256ELj16EiliaaiEEvT3_20rocsparse_direction_NS_24const_host_device_scalarIT1_EES1_PKS1_PKT2_SA_S7_PKT4_PKT5_S5_PT6_21rocsparse_index_base_b
; %bb.0:
	s_clause 0x1
	s_load_b64 s[12:13], s[0:1], 0x58
	s_load_b64 s[4:5], s[0:1], 0x8
	s_mov_b32 s7, -1
	s_wait_kmcnt 0x0
	s_bitcmp1_b32 s13, 0
                                        ; implicit-def: $sgpr13
	s_cselect_b32 s2, -1, 0
	s_delay_alu instid0(SALU_CYCLE_1) | instskip(NEXT) | instid1(SALU_CYCLE_1)
	s_xor_b32 s6, s2, -1
	s_and_b32 vcc_lo, exec_lo, s6
	s_cbranch_vccnz .LBB67_4
; %bb.1:
	s_load_b64 s[2:3], s[0:1], 0x48
	s_and_not1_b32 vcc_lo, exec_lo, s7
	s_cbranch_vccz .LBB67_5
.LBB67_2:
	s_and_b32 vcc_lo, exec_lo, s6
	s_cbranch_vccz .LBB67_6
.LBB67_3:
	s_wait_kmcnt 0x0
	s_load_b32 s14, s[2:3], 0x0
	s_cbranch_execz .LBB67_7
	s_branch .LBB67_8
.LBB67_4:
	s_load_b32 s13, s[4:5], 0x0
	s_load_b64 s[2:3], s[0:1], 0x48
	s_cbranch_execnz .LBB67_2
.LBB67_5:
	s_wait_kmcnt 0x0
	s_mov_b32 s13, s4
	s_and_b32 vcc_lo, exec_lo, s6
	s_cbranch_vccnz .LBB67_3
.LBB67_6:
	s_wait_kmcnt 0x0
                                        ; implicit-def: $sgpr14
.LBB67_7:
	s_wait_kmcnt 0x0
	s_mov_b32 s14, s2
.LBB67_8:
	s_cmp_lg_u32 s13, 0
	s_mov_b32 s6, 0
	s_cselect_b32 s2, -1, 0
	s_wait_kmcnt 0x0
	s_cmp_lg_u32 s14, 1
	s_cselect_b32 s3, -1, 0
	s_delay_alu instid0(SALU_CYCLE_1) | instskip(NEXT) | instid1(SALU_CYCLE_1)
	s_or_b32 s2, s2, s3
	s_and_not1_b32 vcc_lo, exec_lo, s2
	s_cbranch_vccnz .LBB67_14
; %bb.9:
	s_clause 0x1
	s_load_b64 s[4:5], s[0:1], 0x18
	s_load_b64 s[2:3], s[0:1], 0x0
	v_lshrrev_b32_e32 v1, 4, v0
	s_delay_alu instid0(VALU_DEP_1)
	v_lshl_or_b32 v1, ttmp9, 4, v1
	s_wait_kmcnt 0x0
	s_cmp_lg_u64 s[4:5], 0
	s_cbranch_scc0 .LBB67_15
; %bb.10:
	s_load_b32 s6, s[0:1], 0x10
	s_mov_b32 s7, 0
                                        ; implicit-def: $vgpr2
	s_wait_kmcnt 0x0
	v_cmp_gt_i32_e32 vcc_lo, s6, v1
	s_mov_b32 s6, 0
	s_and_saveexec_b32 s8, vcc_lo
	s_delay_alu instid0(SALU_CYCLE_1)
	s_xor_b32 s8, exec_lo, s8
	s_cbranch_execz .LBB67_12
; %bb.11:
	v_ashrrev_i32_e32 v2, 31, v1
	s_mov_b32 s6, exec_lo
	s_delay_alu instid0(VALU_DEP_1) | instskip(NEXT) | instid1(VALU_DEP_1)
	v_lshlrev_b64_e32 v[2:3], 2, v[1:2]
	v_add_co_u32 v2, vcc_lo, s4, v2
	s_delay_alu instid0(VALU_DEP_1)
	v_add_co_ci_u32_e64 v3, null, s5, v3, vcc_lo
	global_load_b32 v2, v[2:3], off
	s_wait_loadcnt 0x0
	v_subrev_nc_u32_e32 v2, s12, v2
.LBB67_12:
	s_or_b32 exec_lo, exec_lo, s8
	s_delay_alu instid0(SALU_CYCLE_1)
	s_and_b32 vcc_lo, exec_lo, s7
	s_wait_alu 0xfffe
	s_cbranch_vccz .LBB67_16
.LBB67_13:
	v_cmp_gt_i32_e32 vcc_lo, s2, v1
	s_and_not1_b32 s2, s6, exec_lo
	s_and_b32 s4, vcc_lo, exec_lo
	s_wait_alu 0xfffe
	s_or_b32 s6, s2, s4
	s_wait_alu 0xfffe
	s_and_saveexec_b32 s2, s6
	s_cbranch_execnz .LBB67_17
.LBB67_14:
	s_endpgm
.LBB67_15:
                                        ; implicit-def: $vgpr2
	s_cbranch_execnz .LBB67_13
.LBB67_16:
	v_mov_b32_e32 v1, v2
	s_and_saveexec_b32 s2, s6
	s_cbranch_execz .LBB67_14
.LBB67_17:
	s_load_b256 s[4:11], s[0:1], 0x20
	s_delay_alu instid0(VALU_DEP_1) | instskip(SKIP_2) | instid1(VALU_DEP_3)
	v_ashrrev_i32_e32 v2, 31, v1
	v_and_b32_e32 v0, 15, v0
	v_mov_b32_e32 v14, 0
	v_lshlrev_b64_e32 v[2:3], 3, v[1:2]
	s_wait_kmcnt 0x0
	s_delay_alu instid0(VALU_DEP_1) | instskip(SKIP_1) | instid1(VALU_DEP_2)
	v_add_co_u32 v4, vcc_lo, s4, v2
	s_wait_alu 0xfffd
	v_add_co_ci_u32_e64 v5, null, s5, v3, vcc_lo
	v_add_co_u32 v2, vcc_lo, s6, v2
	s_wait_alu 0xfffd
	v_add_co_ci_u32_e64 v3, null, s7, v3, vcc_lo
	global_load_b64 v[6:7], v[4:5], off
	v_add_co_u32 v4, vcc_lo, v4, 8
	s_wait_alu 0xfffd
	v_add_co_ci_u32_e64 v5, null, 0, v5, vcc_lo
	s_cmp_eq_u64 s[6:7], 0
	s_load_b64 s[4:5], s[0:1], 0x40
	s_cselect_b32 vcc_lo, -1, 0
	s_cmp_eq_u32 s3, 1
	s_wait_alu 0xfffe
	v_dual_cndmask_b32 v3, v3, v5 :: v_dual_cndmask_b32 v2, v2, v4
	global_load_b64 v[8:9], v[2:3], off
	s_wait_loadcnt 0x1
	v_sub_co_u32 v2, vcc_lo, v6, s12
	s_wait_alu 0xfffd
	v_subrev_co_ci_u32_e64 v3, null, 0, v7, vcc_lo
	s_delay_alu instid0(VALU_DEP_2) | instskip(SKIP_1) | instid1(VALU_DEP_2)
	v_add_co_u32 v2, vcc_lo, v2, v0
	s_wait_alu 0xfffd
	v_add_co_ci_u32_e64 v3, null, 0, v3, vcc_lo
	s_delay_alu instid0(VALU_DEP_2) | instskip(NEXT) | instid1(VALU_DEP_1)
	v_mad_co_u64_u32 v[4:5], null, v2, 9, s[10:11]
	v_mad_co_u64_u32 v[5:6], null, v3, 9, v[5:6]
	s_wait_loadcnt 0x0
	v_sub_co_u32 v6, vcc_lo, v8, s12
	s_wait_alu 0xfffd
	v_subrev_co_ci_u32_e64 v7, null, 0, v9, vcc_lo
	s_delay_alu instid0(VALU_DEP_1)
	v_cmp_lt_i64_e64 s2, v[2:3], v[6:7]
	s_cbranch_scc1 .LBB67_23
; %bb.18:
	v_dual_mov_b32 v15, 0 :: v_dual_mov_b32 v16, 0
	s_and_saveexec_b32 s6, s2
	s_cbranch_execz .LBB67_22
; %bb.19:
	v_lshlrev_b64_e32 v[8:9], 2, v[2:3]
	v_dual_mov_b32 v14, 0 :: v_dual_mov_b32 v11, v5
	v_dual_mov_b32 v10, v4 :: v_dual_mov_b32 v13, v3
	;; [unrolled: 1-line block ×3, first 2 shown]
	s_delay_alu instid0(VALU_DEP_4)
	v_add_co_u32 v8, vcc_lo, s8, v8
	s_wait_alu 0xfffd
	v_add_co_ci_u32_e64 v9, null, s9, v9, vcc_lo
	v_mov_b32_e32 v12, v2
	s_mov_b32 s7, 0
.LBB67_20:                              ; =>This Inner Loop Header: Depth=1
	global_load_b32 v17, v[8:9], off
	s_wait_loadcnt 0x0
	v_subrev_nc_u32_e32 v17, s12, v17
	s_delay_alu instid0(VALU_DEP_1) | instskip(NEXT) | instid1(VALU_DEP_1)
	v_lshl_add_u32 v17, v17, 1, v17
	v_ashrrev_i32_e32 v18, 31, v17
	s_wait_kmcnt 0x0
	v_add_co_u32 v17, vcc_lo, s4, v17
	s_wait_alu 0xfffd
	s_delay_alu instid0(VALU_DEP_2)
	v_add_co_ci_u32_e64 v18, null, s5, v18, vcc_lo
	s_clause 0x1
	global_load_b64 v[19:20], v[10:11], off
	global_load_i8 v21, v[10:11], off offset:8
	s_clause 0x1
	global_load_u16 v22, v[17:18], off
	global_load_i8 v17, v[17:18], off offset:2
	v_add_co_u32 v10, vcc_lo, 0x90, v10
	s_wait_alu 0xfffd
	v_add_co_ci_u32_e64 v11, null, 0, v11, vcc_lo
	v_add_co_u32 v12, vcc_lo, v12, 16
	s_wait_alu 0xfffd
	v_add_co_ci_u32_e64 v13, null, 0, v13, vcc_lo
	;; [unrolled: 3-line block ×3, first 2 shown]
	s_delay_alu instid0(VALU_DEP_3)
	v_cmp_ge_i64_e64 s3, v[12:13], v[6:7]
	s_wait_alu 0xfffe
	s_or_b32 s7, s3, s7
	s_wait_loadcnt 0x3
	v_lshrrev_b32_e32 v18, 8, v19
	v_lshrrev_b32_e32 v23, 16, v19
	s_wait_loadcnt 0x1
	v_lshrrev_b32_e32 v24, 8, v22
	v_bfe_i32 v25, v22, 0, 8
	v_bfe_i32 v18, v18, 0, 8
	;; [unrolled: 1-line block ×3, first 2 shown]
	s_delay_alu instid0(VALU_DEP_4) | instskip(NEXT) | instid1(VALU_DEP_2)
	v_bfe_i32 v24, v24, 0, 8
	v_perm_b32 v18, v23, v18, 0x5040100
	s_wait_loadcnt 0x0
	s_delay_alu instid0(VALU_DEP_2)
	v_perm_b32 v23, v17, v24, 0x5040100
	v_bfe_i32 v24, v19, 0, 8
	v_perm_b32 v19, v20, v19, 0xc050403
	v_perm_b32 v20, v21, v20, 0xc040302
	;; [unrolled: 1-line block ×3, first 2 shown]
	v_pk_mul_lo_u16 v18, v23, v18
	v_mad_i32_i24 v16, v25, v24, v16
	s_delay_alu instid0(VALU_DEP_3) | instskip(NEXT) | instid1(VALU_DEP_3)
	v_dot4_i32_iu8 v15, v17, v19, v15 neg_lo:[1,1,0]
	v_bfe_i32 v21, v18, 0, 16
	v_ashrrev_i32_e32 v18, 16, v18
	v_dot4_i32_iu8 v14, v17, v20, v14 neg_lo:[1,1,0]
	s_delay_alu instid0(VALU_DEP_2)
	v_add3_u32 v16, v16, v21, v18
	s_wait_alu 0xfffe
	s_and_not1_b32 exec_lo, exec_lo, s7
	s_cbranch_execnz .LBB67_20
; %bb.21:
	s_or_b32 exec_lo, exec_lo, s7
.LBB67_22:
	s_wait_alu 0xfffe
	s_or_b32 exec_lo, exec_lo, s6
	s_cbranch_execz .LBB67_24
	s_branch .LBB67_29
.LBB67_23:
                                        ; implicit-def: $vgpr14
                                        ; implicit-def: $vgpr15
                                        ; implicit-def: $vgpr16
.LBB67_24:
	v_dual_mov_b32 v14, 0 :: v_dual_mov_b32 v15, 0
	v_mov_b32_e32 v16, 0
	s_and_saveexec_b32 s3, s2
	s_cbranch_execz .LBB67_28
; %bb.25:
	v_lshlrev_b64_e32 v[8:9], 2, v[2:3]
	v_dual_mov_b32 v16, 0 :: v_dual_mov_b32 v15, 0
	v_mov_b32_e32 v14, 0
	s_mov_b32 s6, 0
	s_delay_alu instid0(VALU_DEP_3)
	v_add_co_u32 v8, vcc_lo, s8, v8
	s_wait_alu 0xfffd
	v_add_co_ci_u32_e64 v9, null, s9, v9, vcc_lo
.LBB67_26:                              ; =>This Inner Loop Header: Depth=1
	global_load_b32 v10, v[8:9], off
	global_load_i8 v17, v[4:5], off offset:8
	s_wait_loadcnt 0x1
	v_subrev_nc_u32_e32 v10, s12, v10
	s_delay_alu instid0(VALU_DEP_1) | instskip(NEXT) | instid1(VALU_DEP_1)
	v_lshl_add_u32 v10, v10, 1, v10
	v_ashrrev_i32_e32 v11, 31, v10
	s_wait_kmcnt 0x0
	v_add_co_u32 v10, vcc_lo, s4, v10
	s_wait_alu 0xfffd
	s_delay_alu instid0(VALU_DEP_2)
	v_add_co_ci_u32_e64 v11, null, s5, v11, vcc_lo
	v_add_co_u32 v2, vcc_lo, v2, 16
	global_load_b64 v[12:13], v[4:5], off
	s_clause 0x1
	global_load_u16 v18, v[10:11], off
	global_load_i8 v10, v[10:11], off offset:2
	s_wait_alu 0xfffd
	v_add_co_ci_u32_e64 v3, null, 0, v3, vcc_lo
	v_add_co_u32 v4, vcc_lo, 0x90, v4
	s_wait_alu 0xfffd
	v_add_co_ci_u32_e64 v5, null, 0, v5, vcc_lo
	s_delay_alu instid0(VALU_DEP_3) | instskip(SKIP_4) | instid1(VALU_DEP_3)
	v_cmp_ge_i64_e64 s2, v[2:3], v[6:7]
	v_add_co_u32 v8, vcc_lo, v8, 64
	s_wait_alu 0xfffd
	v_add_co_ci_u32_e64 v9, null, 0, v9, vcc_lo
	s_wait_alu 0xfffe
	s_or_b32 s6, s2, s6
	s_wait_loadcnt 0x2
	v_perm_b32 v11, v17, v13, 0xc04010c
	v_perm_b32 v17, v12, v12, 0xc0c0c02
	v_bfe_i32 v19, v12, 0, 8
	s_wait_loadcnt 0x1
	v_bfe_i32 v21, v18, 0, 8
	v_perm_b32 v20, v13, v12, 0xc0c0603
	v_perm_b32 v12, v13, v12, 0xc070401
	v_or_b32_e32 v11, v11, v17
	s_wait_loadcnt 0x0
	v_perm_b32 v13, v10, v18, 0xc040100
	v_perm_b32 v10, v10, v18, 0xc0c0401
	v_mad_i32_i24 v16, v21, v19, v16
	s_delay_alu instid0(VALU_DEP_3) | instskip(SKIP_1) | instid1(VALU_DEP_3)
	v_dot4_i32_iu8 v15, v13, v12, v15 neg_lo:[1,1,0]
	v_dot4_i32_iu8 v14, v13, v11, v14 neg_lo:[1,1,0]
	;; [unrolled: 1-line block ×3, first 2 shown]
	s_wait_alu 0xfffe
	s_and_not1_b32 exec_lo, exec_lo, s6
	s_cbranch_execnz .LBB67_26
; %bb.27:
	s_or_b32 exec_lo, exec_lo, s6
.LBB67_28:
	s_wait_alu 0xfffe
	s_or_b32 exec_lo, exec_lo, s3
.LBB67_29:
	v_mbcnt_lo_u32_b32 v2, -1, 0
	s_mov_b32 s2, -1
	s_delay_alu instid0(VALU_DEP_1) | instskip(SKIP_2) | instid1(VALU_DEP_3)
	v_xor_b32_e32 v3, 8, v2
	v_xor_b32_e32 v6, 4, v2
	;; [unrolled: 1-line block ×3, first 2 shown]
	v_cmp_gt_i32_e32 vcc_lo, 32, v3
	s_wait_alu 0xfffd
	v_cndmask_b32_e32 v3, v2, v3, vcc_lo
	v_cmp_gt_i32_e32 vcc_lo, 32, v6
	s_wait_alu 0xfffd
	v_cndmask_b32_e32 v6, v2, v6, vcc_lo
	v_cmp_gt_i32_e32 vcc_lo, 32, v9
	s_delay_alu instid0(VALU_DEP_2)
	v_lshlrev_b32_e32 v6, 2, v6
	v_lshlrev_b32_e32 v3, 2, v3
	s_wait_alu 0xfffd
	v_cndmask_b32_e32 v9, v2, v9, vcc_lo
	ds_bpermute_b32 v4, v3, v16
	ds_bpermute_b32 v5, v3, v15
	;; [unrolled: 1-line block ×3, first 2 shown]
	v_lshlrev_b32_e32 v9, 2, v9
	s_wait_dscnt 0x2
	v_add_nc_u32_e32 v4, v4, v16
	s_wait_dscnt 0x1
	v_add_nc_u32_e32 v5, v5, v15
	;; [unrolled: 2-line block ×3, first 2 shown]
	ds_bpermute_b32 v7, v6, v4
	ds_bpermute_b32 v8, v6, v5
	;; [unrolled: 1-line block ×3, first 2 shown]
	s_wait_dscnt 0x2
	v_add_nc_u32_e32 v4, v7, v4
	s_wait_dscnt 0x1
	v_add_nc_u32_e32 v5, v8, v5
	;; [unrolled: 2-line block ×3, first 2 shown]
	ds_bpermute_b32 v3, v9, v4
	ds_bpermute_b32 v7, v9, v5
	;; [unrolled: 1-line block ×3, first 2 shown]
	v_xor_b32_e32 v9, 1, v2
	s_delay_alu instid0(VALU_DEP_1) | instskip(SKIP_3) | instid1(VALU_DEP_2)
	v_cmp_gt_i32_e32 vcc_lo, 32, v9
	s_wait_alu 0xfffd
	v_cndmask_b32_e32 v2, v2, v9, vcc_lo
	v_cmp_eq_u32_e32 vcc_lo, 15, v0
	v_lshlrev_b32_e32 v9, 2, v2
	s_wait_dscnt 0x2
	v_add_nc_u32_e32 v2, v3, v4
	s_wait_dscnt 0x1
	v_add_nc_u32_e32 v3, v7, v5
	;; [unrolled: 2-line block ×3, first 2 shown]
	ds_bpermute_b32 v5, v9, v2
	ds_bpermute_b32 v6, v9, v3
	ds_bpermute_b32 v7, v9, v4
	s_and_b32 exec_lo, exec_lo, vcc_lo
	s_cbranch_execz .LBB67_14
; %bb.30:
	s_load_b64 s[0:1], s[0:1], 0x50
	s_wait_dscnt 0x2
	v_add_nc_u32_e32 v0, v5, v2
	s_wait_dscnt 0x1
	v_add_nc_u32_e32 v2, v6, v3
	;; [unrolled: 2-line block ×3, first 2 shown]
	v_lshl_add_u32 v3, v1, 1, v1
	s_cmp_eq_u32 s14, 0
	v_mul_lo_u32 v0, v0, s13
	v_mul_lo_u32 v1, v2, s13
	;; [unrolled: 1-line block ×3, first 2 shown]
	v_ashrrev_i32_e32 v4, 31, v3
	s_cbranch_scc1 .LBB67_32
; %bb.31:
	s_delay_alu instid0(VALU_DEP_1) | instskip(SKIP_2) | instid1(VALU_DEP_1)
	v_lshlrev_b64_e32 v[5:6], 2, v[3:4]
	s_mov_b32 s2, 0
	s_wait_kmcnt 0x0
	v_add_co_u32 v10, vcc_lo, s0, v5
	s_wait_alu 0xfffd
	s_delay_alu instid0(VALU_DEP_2)
	v_add_co_ci_u32_e64 v11, null, s1, v6, vcc_lo
	global_load_b96 v[5:7], v[10:11], off
	s_wait_loadcnt 0x0
	v_mad_co_u64_u32 v[12:13], null, v7, s14, v[2:3]
	v_mad_co_u64_u32 v[7:8], null, v5, s14, v[0:1]
	;; [unrolled: 1-line block ×3, first 2 shown]
	s_delay_alu instid0(VALU_DEP_3)
	v_mov_b32_e32 v9, v12
	global_store_b96 v[10:11], v[7:9], off
.LBB67_32:
	s_wait_alu 0xfffe
	s_and_not1_b32 vcc_lo, exec_lo, s2
	s_wait_alu 0xfffe
	s_cbranch_vccnz .LBB67_14
; %bb.33:
	v_lshlrev_b64_e32 v[3:4], 2, v[3:4]
	s_wait_kmcnt 0x0
	s_delay_alu instid0(VALU_DEP_1) | instskip(SKIP_1) | instid1(VALU_DEP_2)
	v_add_co_u32 v3, vcc_lo, s0, v3
	s_wait_alu 0xfffd
	v_add_co_ci_u32_e64 v4, null, s1, v4, vcc_lo
	global_store_b96 v[3:4], v[0:2], off
	s_endpgm
	.section	.rodata,"a",@progbits
	.p2align	6, 0x0
	.amdhsa_kernel _ZN9rocsparseL18bsrxmvn_3x3_kernelILj256ELj16EiliaaiEEvT3_20rocsparse_direction_NS_24const_host_device_scalarIT1_EES1_PKS1_PKT2_SA_S7_PKT4_PKT5_S5_PT6_21rocsparse_index_base_b
		.amdhsa_group_segment_fixed_size 0
		.amdhsa_private_segment_fixed_size 0
		.amdhsa_kernarg_size 96
		.amdhsa_user_sgpr_count 2
		.amdhsa_user_sgpr_dispatch_ptr 0
		.amdhsa_user_sgpr_queue_ptr 0
		.amdhsa_user_sgpr_kernarg_segment_ptr 1
		.amdhsa_user_sgpr_dispatch_id 0
		.amdhsa_user_sgpr_private_segment_size 0
		.amdhsa_wavefront_size32 1
		.amdhsa_uses_dynamic_stack 0
		.amdhsa_enable_private_segment 0
		.amdhsa_system_sgpr_workgroup_id_x 1
		.amdhsa_system_sgpr_workgroup_id_y 0
		.amdhsa_system_sgpr_workgroup_id_z 0
		.amdhsa_system_sgpr_workgroup_info 0
		.amdhsa_system_vgpr_workitem_id 0
		.amdhsa_next_free_vgpr 26
		.amdhsa_next_free_sgpr 15
		.amdhsa_reserve_vcc 1
		.amdhsa_float_round_mode_32 0
		.amdhsa_float_round_mode_16_64 0
		.amdhsa_float_denorm_mode_32 3
		.amdhsa_float_denorm_mode_16_64 3
		.amdhsa_fp16_overflow 0
		.amdhsa_workgroup_processor_mode 1
		.amdhsa_memory_ordered 1
		.amdhsa_forward_progress 1
		.amdhsa_inst_pref_size 17
		.amdhsa_round_robin_scheduling 0
		.amdhsa_exception_fp_ieee_invalid_op 0
		.amdhsa_exception_fp_denorm_src 0
		.amdhsa_exception_fp_ieee_div_zero 0
		.amdhsa_exception_fp_ieee_overflow 0
		.amdhsa_exception_fp_ieee_underflow 0
		.amdhsa_exception_fp_ieee_inexact 0
		.amdhsa_exception_int_div_zero 0
	.end_amdhsa_kernel
	.section	.text._ZN9rocsparseL18bsrxmvn_3x3_kernelILj256ELj16EiliaaiEEvT3_20rocsparse_direction_NS_24const_host_device_scalarIT1_EES1_PKS1_PKT2_SA_S7_PKT4_PKT5_S5_PT6_21rocsparse_index_base_b,"axG",@progbits,_ZN9rocsparseL18bsrxmvn_3x3_kernelILj256ELj16EiliaaiEEvT3_20rocsparse_direction_NS_24const_host_device_scalarIT1_EES1_PKS1_PKT2_SA_S7_PKT4_PKT5_S5_PT6_21rocsparse_index_base_b,comdat
.Lfunc_end67:
	.size	_ZN9rocsparseL18bsrxmvn_3x3_kernelILj256ELj16EiliaaiEEvT3_20rocsparse_direction_NS_24const_host_device_scalarIT1_EES1_PKS1_PKT2_SA_S7_PKT4_PKT5_S5_PT6_21rocsparse_index_base_b, .Lfunc_end67-_ZN9rocsparseL18bsrxmvn_3x3_kernelILj256ELj16EiliaaiEEvT3_20rocsparse_direction_NS_24const_host_device_scalarIT1_EES1_PKS1_PKT2_SA_S7_PKT4_PKT5_S5_PT6_21rocsparse_index_base_b
                                        ; -- End function
	.set _ZN9rocsparseL18bsrxmvn_3x3_kernelILj256ELj16EiliaaiEEvT3_20rocsparse_direction_NS_24const_host_device_scalarIT1_EES1_PKS1_PKT2_SA_S7_PKT4_PKT5_S5_PT6_21rocsparse_index_base_b.num_vgpr, 26
	.set _ZN9rocsparseL18bsrxmvn_3x3_kernelILj256ELj16EiliaaiEEvT3_20rocsparse_direction_NS_24const_host_device_scalarIT1_EES1_PKS1_PKT2_SA_S7_PKT4_PKT5_S5_PT6_21rocsparse_index_base_b.num_agpr, 0
	.set _ZN9rocsparseL18bsrxmvn_3x3_kernelILj256ELj16EiliaaiEEvT3_20rocsparse_direction_NS_24const_host_device_scalarIT1_EES1_PKS1_PKT2_SA_S7_PKT4_PKT5_S5_PT6_21rocsparse_index_base_b.numbered_sgpr, 15
	.set _ZN9rocsparseL18bsrxmvn_3x3_kernelILj256ELj16EiliaaiEEvT3_20rocsparse_direction_NS_24const_host_device_scalarIT1_EES1_PKS1_PKT2_SA_S7_PKT4_PKT5_S5_PT6_21rocsparse_index_base_b.num_named_barrier, 0
	.set _ZN9rocsparseL18bsrxmvn_3x3_kernelILj256ELj16EiliaaiEEvT3_20rocsparse_direction_NS_24const_host_device_scalarIT1_EES1_PKS1_PKT2_SA_S7_PKT4_PKT5_S5_PT6_21rocsparse_index_base_b.private_seg_size, 0
	.set _ZN9rocsparseL18bsrxmvn_3x3_kernelILj256ELj16EiliaaiEEvT3_20rocsparse_direction_NS_24const_host_device_scalarIT1_EES1_PKS1_PKT2_SA_S7_PKT4_PKT5_S5_PT6_21rocsparse_index_base_b.uses_vcc, 1
	.set _ZN9rocsparseL18bsrxmvn_3x3_kernelILj256ELj16EiliaaiEEvT3_20rocsparse_direction_NS_24const_host_device_scalarIT1_EES1_PKS1_PKT2_SA_S7_PKT4_PKT5_S5_PT6_21rocsparse_index_base_b.uses_flat_scratch, 0
	.set _ZN9rocsparseL18bsrxmvn_3x3_kernelILj256ELj16EiliaaiEEvT3_20rocsparse_direction_NS_24const_host_device_scalarIT1_EES1_PKS1_PKT2_SA_S7_PKT4_PKT5_S5_PT6_21rocsparse_index_base_b.has_dyn_sized_stack, 0
	.set _ZN9rocsparseL18bsrxmvn_3x3_kernelILj256ELj16EiliaaiEEvT3_20rocsparse_direction_NS_24const_host_device_scalarIT1_EES1_PKS1_PKT2_SA_S7_PKT4_PKT5_S5_PT6_21rocsparse_index_base_b.has_recursion, 0
	.set _ZN9rocsparseL18bsrxmvn_3x3_kernelILj256ELj16EiliaaiEEvT3_20rocsparse_direction_NS_24const_host_device_scalarIT1_EES1_PKS1_PKT2_SA_S7_PKT4_PKT5_S5_PT6_21rocsparse_index_base_b.has_indirect_call, 0
	.section	.AMDGPU.csdata,"",@progbits
; Kernel info:
; codeLenInByte = 2116
; TotalNumSgprs: 17
; NumVgprs: 26
; ScratchSize: 0
; MemoryBound: 0
; FloatMode: 240
; IeeeMode: 1
; LDSByteSize: 0 bytes/workgroup (compile time only)
; SGPRBlocks: 0
; VGPRBlocks: 3
; NumSGPRsForWavesPerEU: 17
; NumVGPRsForWavesPerEU: 26
; Occupancy: 16
; WaveLimiterHint : 1
; COMPUTE_PGM_RSRC2:SCRATCH_EN: 0
; COMPUTE_PGM_RSRC2:USER_SGPR: 2
; COMPUTE_PGM_RSRC2:TRAP_HANDLER: 0
; COMPUTE_PGM_RSRC2:TGID_X_EN: 1
; COMPUTE_PGM_RSRC2:TGID_Y_EN: 0
; COMPUTE_PGM_RSRC2:TGID_Z_EN: 0
; COMPUTE_PGM_RSRC2:TIDIG_COMP_CNT: 0
	.section	.text._ZN9rocsparseL18bsrxmvn_3x3_kernelILj256ELj32EiliaaiEEvT3_20rocsparse_direction_NS_24const_host_device_scalarIT1_EES1_PKS1_PKT2_SA_S7_PKT4_PKT5_S5_PT6_21rocsparse_index_base_b,"axG",@progbits,_ZN9rocsparseL18bsrxmvn_3x3_kernelILj256ELj32EiliaaiEEvT3_20rocsparse_direction_NS_24const_host_device_scalarIT1_EES1_PKS1_PKT2_SA_S7_PKT4_PKT5_S5_PT6_21rocsparse_index_base_b,comdat
	.globl	_ZN9rocsparseL18bsrxmvn_3x3_kernelILj256ELj32EiliaaiEEvT3_20rocsparse_direction_NS_24const_host_device_scalarIT1_EES1_PKS1_PKT2_SA_S7_PKT4_PKT5_S5_PT6_21rocsparse_index_base_b ; -- Begin function _ZN9rocsparseL18bsrxmvn_3x3_kernelILj256ELj32EiliaaiEEvT3_20rocsparse_direction_NS_24const_host_device_scalarIT1_EES1_PKS1_PKT2_SA_S7_PKT4_PKT5_S5_PT6_21rocsparse_index_base_b
	.p2align	8
	.type	_ZN9rocsparseL18bsrxmvn_3x3_kernelILj256ELj32EiliaaiEEvT3_20rocsparse_direction_NS_24const_host_device_scalarIT1_EES1_PKS1_PKT2_SA_S7_PKT4_PKT5_S5_PT6_21rocsparse_index_base_b,@function
_ZN9rocsparseL18bsrxmvn_3x3_kernelILj256ELj32EiliaaiEEvT3_20rocsparse_direction_NS_24const_host_device_scalarIT1_EES1_PKS1_PKT2_SA_S7_PKT4_PKT5_S5_PT6_21rocsparse_index_base_b: ; @_ZN9rocsparseL18bsrxmvn_3x3_kernelILj256ELj32EiliaaiEEvT3_20rocsparse_direction_NS_24const_host_device_scalarIT1_EES1_PKS1_PKT2_SA_S7_PKT4_PKT5_S5_PT6_21rocsparse_index_base_b
; %bb.0:
	s_clause 0x1
	s_load_b64 s[12:13], s[0:1], 0x58
	s_load_b64 s[4:5], s[0:1], 0x8
	s_mov_b32 s7, -1
	s_wait_kmcnt 0x0
	s_bitcmp1_b32 s13, 0
                                        ; implicit-def: $sgpr13
	s_cselect_b32 s2, -1, 0
	s_delay_alu instid0(SALU_CYCLE_1) | instskip(NEXT) | instid1(SALU_CYCLE_1)
	s_xor_b32 s6, s2, -1
	s_and_b32 vcc_lo, exec_lo, s6
	s_cbranch_vccnz .LBB68_4
; %bb.1:
	s_load_b64 s[2:3], s[0:1], 0x48
	s_and_not1_b32 vcc_lo, exec_lo, s7
	s_cbranch_vccz .LBB68_5
.LBB68_2:
	s_and_b32 vcc_lo, exec_lo, s6
	s_cbranch_vccz .LBB68_6
.LBB68_3:
	s_wait_kmcnt 0x0
	s_load_b32 s14, s[2:3], 0x0
	s_cbranch_execz .LBB68_7
	s_branch .LBB68_8
.LBB68_4:
	s_load_b32 s13, s[4:5], 0x0
	s_load_b64 s[2:3], s[0:1], 0x48
	s_cbranch_execnz .LBB68_2
.LBB68_5:
	s_wait_kmcnt 0x0
	s_mov_b32 s13, s4
	s_and_b32 vcc_lo, exec_lo, s6
	s_cbranch_vccnz .LBB68_3
.LBB68_6:
	s_wait_kmcnt 0x0
                                        ; implicit-def: $sgpr14
.LBB68_7:
	s_wait_kmcnt 0x0
	s_mov_b32 s14, s2
.LBB68_8:
	s_cmp_lg_u32 s13, 0
	s_mov_b32 s6, 0
	s_cselect_b32 s2, -1, 0
	s_wait_kmcnt 0x0
	s_cmp_lg_u32 s14, 1
	s_cselect_b32 s3, -1, 0
	s_delay_alu instid0(SALU_CYCLE_1) | instskip(NEXT) | instid1(SALU_CYCLE_1)
	s_or_b32 s2, s2, s3
	s_and_not1_b32 vcc_lo, exec_lo, s2
	s_cbranch_vccnz .LBB68_14
; %bb.9:
	s_clause 0x1
	s_load_b64 s[4:5], s[0:1], 0x18
	s_load_b64 s[2:3], s[0:1], 0x0
	v_lshrrev_b32_e32 v1, 5, v0
	s_delay_alu instid0(VALU_DEP_1)
	v_lshl_or_b32 v1, ttmp9, 3, v1
	s_wait_kmcnt 0x0
	s_cmp_lg_u64 s[4:5], 0
	s_cbranch_scc0 .LBB68_15
; %bb.10:
	s_load_b32 s6, s[0:1], 0x10
	s_mov_b32 s7, 0
                                        ; implicit-def: $vgpr2
	s_wait_kmcnt 0x0
	v_cmp_gt_i32_e32 vcc_lo, s6, v1
	s_mov_b32 s6, 0
	s_and_saveexec_b32 s8, vcc_lo
	s_delay_alu instid0(SALU_CYCLE_1)
	s_xor_b32 s8, exec_lo, s8
	s_cbranch_execz .LBB68_12
; %bb.11:
	v_ashrrev_i32_e32 v2, 31, v1
	s_mov_b32 s6, exec_lo
	s_delay_alu instid0(VALU_DEP_1) | instskip(NEXT) | instid1(VALU_DEP_1)
	v_lshlrev_b64_e32 v[2:3], 2, v[1:2]
	v_add_co_u32 v2, vcc_lo, s4, v2
	s_delay_alu instid0(VALU_DEP_1)
	v_add_co_ci_u32_e64 v3, null, s5, v3, vcc_lo
	global_load_b32 v2, v[2:3], off
	s_wait_loadcnt 0x0
	v_subrev_nc_u32_e32 v2, s12, v2
.LBB68_12:
	s_or_b32 exec_lo, exec_lo, s8
	s_delay_alu instid0(SALU_CYCLE_1)
	s_and_b32 vcc_lo, exec_lo, s7
	s_wait_alu 0xfffe
	s_cbranch_vccz .LBB68_16
.LBB68_13:
	v_cmp_gt_i32_e32 vcc_lo, s2, v1
	s_and_not1_b32 s2, s6, exec_lo
	s_and_b32 s4, vcc_lo, exec_lo
	s_wait_alu 0xfffe
	s_or_b32 s6, s2, s4
	s_wait_alu 0xfffe
	s_and_saveexec_b32 s2, s6
	s_cbranch_execnz .LBB68_17
.LBB68_14:
	s_endpgm
.LBB68_15:
                                        ; implicit-def: $vgpr2
	s_cbranch_execnz .LBB68_13
.LBB68_16:
	v_mov_b32_e32 v1, v2
	s_and_saveexec_b32 s2, s6
	s_cbranch_execz .LBB68_14
.LBB68_17:
	s_load_b256 s[4:11], s[0:1], 0x20
	s_delay_alu instid0(VALU_DEP_1) | instskip(SKIP_2) | instid1(VALU_DEP_3)
	v_ashrrev_i32_e32 v2, 31, v1
	v_and_b32_e32 v0, 31, v0
	v_mov_b32_e32 v14, 0
	v_lshlrev_b64_e32 v[2:3], 3, v[1:2]
	s_wait_kmcnt 0x0
	s_delay_alu instid0(VALU_DEP_1) | instskip(SKIP_1) | instid1(VALU_DEP_2)
	v_add_co_u32 v4, vcc_lo, s4, v2
	s_wait_alu 0xfffd
	v_add_co_ci_u32_e64 v5, null, s5, v3, vcc_lo
	v_add_co_u32 v2, vcc_lo, s6, v2
	s_wait_alu 0xfffd
	v_add_co_ci_u32_e64 v3, null, s7, v3, vcc_lo
	global_load_b64 v[6:7], v[4:5], off
	v_add_co_u32 v4, vcc_lo, v4, 8
	s_wait_alu 0xfffd
	v_add_co_ci_u32_e64 v5, null, 0, v5, vcc_lo
	s_cmp_eq_u64 s[6:7], 0
	s_load_b64 s[4:5], s[0:1], 0x40
	s_cselect_b32 vcc_lo, -1, 0
	s_cmp_eq_u32 s3, 1
	s_wait_alu 0xfffe
	v_dual_cndmask_b32 v3, v3, v5 :: v_dual_cndmask_b32 v2, v2, v4
	global_load_b64 v[8:9], v[2:3], off
	s_wait_loadcnt 0x1
	v_sub_co_u32 v2, vcc_lo, v6, s12
	s_wait_alu 0xfffd
	v_subrev_co_ci_u32_e64 v3, null, 0, v7, vcc_lo
	s_delay_alu instid0(VALU_DEP_2) | instskip(SKIP_1) | instid1(VALU_DEP_2)
	v_add_co_u32 v2, vcc_lo, v2, v0
	s_wait_alu 0xfffd
	v_add_co_ci_u32_e64 v3, null, 0, v3, vcc_lo
	s_delay_alu instid0(VALU_DEP_2) | instskip(NEXT) | instid1(VALU_DEP_1)
	v_mad_co_u64_u32 v[4:5], null, v2, 9, s[10:11]
	v_mad_co_u64_u32 v[5:6], null, v3, 9, v[5:6]
	s_wait_loadcnt 0x0
	v_sub_co_u32 v6, vcc_lo, v8, s12
	s_wait_alu 0xfffd
	v_subrev_co_ci_u32_e64 v7, null, 0, v9, vcc_lo
	s_delay_alu instid0(VALU_DEP_1)
	v_cmp_lt_i64_e64 s2, v[2:3], v[6:7]
	s_cbranch_scc1 .LBB68_23
; %bb.18:
	v_dual_mov_b32 v15, 0 :: v_dual_mov_b32 v16, 0
	s_and_saveexec_b32 s6, s2
	s_cbranch_execz .LBB68_22
; %bb.19:
	v_lshlrev_b64_e32 v[8:9], 2, v[2:3]
	v_dual_mov_b32 v14, 0 :: v_dual_mov_b32 v11, v5
	v_dual_mov_b32 v10, v4 :: v_dual_mov_b32 v13, v3
	;; [unrolled: 1-line block ×3, first 2 shown]
	s_delay_alu instid0(VALU_DEP_4)
	v_add_co_u32 v8, vcc_lo, s8, v8
	s_wait_alu 0xfffd
	v_add_co_ci_u32_e64 v9, null, s9, v9, vcc_lo
	v_mov_b32_e32 v12, v2
	s_mov_b32 s7, 0
.LBB68_20:                              ; =>This Inner Loop Header: Depth=1
	global_load_b32 v17, v[8:9], off
	s_wait_loadcnt 0x0
	v_subrev_nc_u32_e32 v17, s12, v17
	s_delay_alu instid0(VALU_DEP_1) | instskip(NEXT) | instid1(VALU_DEP_1)
	v_lshl_add_u32 v17, v17, 1, v17
	v_ashrrev_i32_e32 v18, 31, v17
	s_wait_kmcnt 0x0
	v_add_co_u32 v17, vcc_lo, s4, v17
	s_wait_alu 0xfffd
	s_delay_alu instid0(VALU_DEP_2)
	v_add_co_ci_u32_e64 v18, null, s5, v18, vcc_lo
	s_clause 0x1
	global_load_b64 v[19:20], v[10:11], off
	global_load_i8 v21, v[10:11], off offset:8
	s_clause 0x1
	global_load_u16 v22, v[17:18], off
	global_load_i8 v17, v[17:18], off offset:2
	v_add_co_u32 v10, vcc_lo, 0x120, v10
	s_wait_alu 0xfffd
	v_add_co_ci_u32_e64 v11, null, 0, v11, vcc_lo
	v_add_co_u32 v12, vcc_lo, v12, 32
	s_wait_alu 0xfffd
	v_add_co_ci_u32_e64 v13, null, 0, v13, vcc_lo
	;; [unrolled: 3-line block ×3, first 2 shown]
	s_delay_alu instid0(VALU_DEP_3)
	v_cmp_ge_i64_e64 s3, v[12:13], v[6:7]
	s_wait_alu 0xfffe
	s_or_b32 s7, s3, s7
	s_wait_loadcnt 0x3
	v_lshrrev_b32_e32 v18, 8, v19
	v_lshrrev_b32_e32 v23, 16, v19
	s_wait_loadcnt 0x1
	v_lshrrev_b32_e32 v24, 8, v22
	v_bfe_i32 v25, v22, 0, 8
	v_bfe_i32 v18, v18, 0, 8
	;; [unrolled: 1-line block ×3, first 2 shown]
	s_delay_alu instid0(VALU_DEP_4) | instskip(NEXT) | instid1(VALU_DEP_2)
	v_bfe_i32 v24, v24, 0, 8
	v_perm_b32 v18, v23, v18, 0x5040100
	s_wait_loadcnt 0x0
	s_delay_alu instid0(VALU_DEP_2)
	v_perm_b32 v23, v17, v24, 0x5040100
	v_bfe_i32 v24, v19, 0, 8
	v_perm_b32 v19, v20, v19, 0xc050403
	v_perm_b32 v20, v21, v20, 0xc040302
	;; [unrolled: 1-line block ×3, first 2 shown]
	v_pk_mul_lo_u16 v18, v23, v18
	v_mad_i32_i24 v16, v25, v24, v16
	s_delay_alu instid0(VALU_DEP_3) | instskip(NEXT) | instid1(VALU_DEP_3)
	v_dot4_i32_iu8 v15, v17, v19, v15 neg_lo:[1,1,0]
	v_bfe_i32 v21, v18, 0, 16
	v_ashrrev_i32_e32 v18, 16, v18
	v_dot4_i32_iu8 v14, v17, v20, v14 neg_lo:[1,1,0]
	s_delay_alu instid0(VALU_DEP_2)
	v_add3_u32 v16, v16, v21, v18
	s_wait_alu 0xfffe
	s_and_not1_b32 exec_lo, exec_lo, s7
	s_cbranch_execnz .LBB68_20
; %bb.21:
	s_or_b32 exec_lo, exec_lo, s7
.LBB68_22:
	s_wait_alu 0xfffe
	s_or_b32 exec_lo, exec_lo, s6
	s_cbranch_execz .LBB68_24
	s_branch .LBB68_29
.LBB68_23:
                                        ; implicit-def: $vgpr14
                                        ; implicit-def: $vgpr15
                                        ; implicit-def: $vgpr16
.LBB68_24:
	v_dual_mov_b32 v14, 0 :: v_dual_mov_b32 v15, 0
	v_mov_b32_e32 v16, 0
	s_and_saveexec_b32 s3, s2
	s_cbranch_execz .LBB68_28
; %bb.25:
	v_lshlrev_b64_e32 v[8:9], 2, v[2:3]
	v_dual_mov_b32 v16, 0 :: v_dual_mov_b32 v15, 0
	v_mov_b32_e32 v14, 0
	s_mov_b32 s6, 0
	s_delay_alu instid0(VALU_DEP_3)
	v_add_co_u32 v8, vcc_lo, s8, v8
	s_wait_alu 0xfffd
	v_add_co_ci_u32_e64 v9, null, s9, v9, vcc_lo
.LBB68_26:                              ; =>This Inner Loop Header: Depth=1
	global_load_b32 v10, v[8:9], off
	global_load_i8 v17, v[4:5], off offset:8
	s_wait_loadcnt 0x1
	v_subrev_nc_u32_e32 v10, s12, v10
	s_delay_alu instid0(VALU_DEP_1) | instskip(NEXT) | instid1(VALU_DEP_1)
	v_lshl_add_u32 v10, v10, 1, v10
	v_ashrrev_i32_e32 v11, 31, v10
	s_wait_kmcnt 0x0
	v_add_co_u32 v10, vcc_lo, s4, v10
	s_wait_alu 0xfffd
	s_delay_alu instid0(VALU_DEP_2)
	v_add_co_ci_u32_e64 v11, null, s5, v11, vcc_lo
	v_add_co_u32 v2, vcc_lo, v2, 32
	global_load_b64 v[12:13], v[4:5], off
	s_clause 0x1
	global_load_u16 v18, v[10:11], off
	global_load_i8 v10, v[10:11], off offset:2
	s_wait_alu 0xfffd
	v_add_co_ci_u32_e64 v3, null, 0, v3, vcc_lo
	v_add_co_u32 v4, vcc_lo, 0x120, v4
	s_wait_alu 0xfffd
	v_add_co_ci_u32_e64 v5, null, 0, v5, vcc_lo
	s_delay_alu instid0(VALU_DEP_3) | instskip(SKIP_4) | instid1(VALU_DEP_3)
	v_cmp_ge_i64_e64 s2, v[2:3], v[6:7]
	v_add_co_u32 v8, vcc_lo, 0x80, v8
	s_wait_alu 0xfffd
	v_add_co_ci_u32_e64 v9, null, 0, v9, vcc_lo
	s_wait_alu 0xfffe
	s_or_b32 s6, s2, s6
	s_wait_loadcnt 0x2
	v_perm_b32 v11, v17, v13, 0xc04010c
	v_perm_b32 v17, v12, v12, 0xc0c0c02
	v_bfe_i32 v19, v12, 0, 8
	s_wait_loadcnt 0x1
	v_bfe_i32 v21, v18, 0, 8
	v_perm_b32 v20, v13, v12, 0xc0c0603
	v_perm_b32 v12, v13, v12, 0xc070401
	v_or_b32_e32 v11, v11, v17
	s_wait_loadcnt 0x0
	v_perm_b32 v13, v10, v18, 0xc040100
	v_perm_b32 v10, v10, v18, 0xc0c0401
	v_mad_i32_i24 v16, v21, v19, v16
	s_delay_alu instid0(VALU_DEP_3) | instskip(SKIP_1) | instid1(VALU_DEP_3)
	v_dot4_i32_iu8 v15, v13, v12, v15 neg_lo:[1,1,0]
	v_dot4_i32_iu8 v14, v13, v11, v14 neg_lo:[1,1,0]
	;; [unrolled: 1-line block ×3, first 2 shown]
	s_wait_alu 0xfffe
	s_and_not1_b32 exec_lo, exec_lo, s6
	s_cbranch_execnz .LBB68_26
; %bb.27:
	s_or_b32 exec_lo, exec_lo, s6
.LBB68_28:
	s_wait_alu 0xfffe
	s_or_b32 exec_lo, exec_lo, s3
.LBB68_29:
	v_mbcnt_lo_u32_b32 v2, -1, 0
	s_mov_b32 s2, -1
	s_delay_alu instid0(VALU_DEP_1) | instskip(SKIP_2) | instid1(VALU_DEP_3)
	v_xor_b32_e32 v3, 16, v2
	v_xor_b32_e32 v6, 8, v2
	;; [unrolled: 1-line block ×3, first 2 shown]
	v_cmp_gt_i32_e32 vcc_lo, 32, v3
	s_wait_alu 0xfffd
	v_cndmask_b32_e32 v3, v2, v3, vcc_lo
	v_cmp_gt_i32_e32 vcc_lo, 32, v6
	s_wait_alu 0xfffd
	v_cndmask_b32_e32 v6, v2, v6, vcc_lo
	v_cmp_gt_i32_e32 vcc_lo, 32, v9
	s_delay_alu instid0(VALU_DEP_2)
	v_lshlrev_b32_e32 v6, 2, v6
	v_lshlrev_b32_e32 v3, 2, v3
	s_wait_alu 0xfffd
	v_cndmask_b32_e32 v9, v2, v9, vcc_lo
	ds_bpermute_b32 v4, v3, v16
	ds_bpermute_b32 v5, v3, v15
	;; [unrolled: 1-line block ×3, first 2 shown]
	v_lshlrev_b32_e32 v9, 2, v9
	s_wait_dscnt 0x2
	v_add_nc_u32_e32 v4, v4, v16
	s_wait_dscnt 0x1
	v_add_nc_u32_e32 v5, v5, v15
	;; [unrolled: 2-line block ×3, first 2 shown]
	ds_bpermute_b32 v7, v6, v4
	ds_bpermute_b32 v8, v6, v5
	;; [unrolled: 1-line block ×3, first 2 shown]
	s_wait_dscnt 0x2
	v_add_nc_u32_e32 v4, v7, v4
	s_wait_dscnt 0x1
	v_add_nc_u32_e32 v5, v8, v5
	;; [unrolled: 2-line block ×3, first 2 shown]
	ds_bpermute_b32 v6, v9, v4
	ds_bpermute_b32 v7, v9, v5
	;; [unrolled: 1-line block ×3, first 2 shown]
	v_xor_b32_e32 v9, 2, v2
	s_delay_alu instid0(VALU_DEP_1) | instskip(SKIP_2) | instid1(VALU_DEP_1)
	v_cmp_gt_i32_e32 vcc_lo, 32, v9
	s_wait_alu 0xfffd
	v_cndmask_b32_e32 v9, v2, v9, vcc_lo
	v_lshlrev_b32_e32 v9, 2, v9
	s_wait_dscnt 0x2
	v_add_nc_u32_e32 v4, v6, v4
	s_wait_dscnt 0x1
	v_add_nc_u32_e32 v5, v7, v5
	;; [unrolled: 2-line block ×3, first 2 shown]
	ds_bpermute_b32 v3, v9, v4
	ds_bpermute_b32 v7, v9, v5
	;; [unrolled: 1-line block ×3, first 2 shown]
	v_xor_b32_e32 v9, 1, v2
	s_delay_alu instid0(VALU_DEP_1) | instskip(SKIP_3) | instid1(VALU_DEP_2)
	v_cmp_gt_i32_e32 vcc_lo, 32, v9
	s_wait_alu 0xfffd
	v_cndmask_b32_e32 v2, v2, v9, vcc_lo
	v_cmp_eq_u32_e32 vcc_lo, 31, v0
	v_lshlrev_b32_e32 v9, 2, v2
	s_wait_dscnt 0x2
	v_add_nc_u32_e32 v2, v3, v4
	s_wait_dscnt 0x1
	v_add_nc_u32_e32 v3, v7, v5
	;; [unrolled: 2-line block ×3, first 2 shown]
	ds_bpermute_b32 v5, v9, v2
	ds_bpermute_b32 v6, v9, v3
	;; [unrolled: 1-line block ×3, first 2 shown]
	s_and_b32 exec_lo, exec_lo, vcc_lo
	s_cbranch_execz .LBB68_14
; %bb.30:
	s_load_b64 s[0:1], s[0:1], 0x50
	s_wait_dscnt 0x2
	v_add_nc_u32_e32 v0, v5, v2
	s_wait_dscnt 0x1
	v_add_nc_u32_e32 v2, v6, v3
	;; [unrolled: 2-line block ×3, first 2 shown]
	v_lshl_add_u32 v3, v1, 1, v1
	s_cmp_eq_u32 s14, 0
	v_mul_lo_u32 v0, v0, s13
	v_mul_lo_u32 v1, v2, s13
	;; [unrolled: 1-line block ×3, first 2 shown]
	v_ashrrev_i32_e32 v4, 31, v3
	s_cbranch_scc1 .LBB68_32
; %bb.31:
	s_delay_alu instid0(VALU_DEP_1) | instskip(SKIP_2) | instid1(VALU_DEP_1)
	v_lshlrev_b64_e32 v[5:6], 2, v[3:4]
	s_mov_b32 s2, 0
	s_wait_kmcnt 0x0
	v_add_co_u32 v10, vcc_lo, s0, v5
	s_wait_alu 0xfffd
	s_delay_alu instid0(VALU_DEP_2)
	v_add_co_ci_u32_e64 v11, null, s1, v6, vcc_lo
	global_load_b96 v[5:7], v[10:11], off
	s_wait_loadcnt 0x0
	v_mad_co_u64_u32 v[12:13], null, v7, s14, v[2:3]
	v_mad_co_u64_u32 v[7:8], null, v5, s14, v[0:1]
	;; [unrolled: 1-line block ×3, first 2 shown]
	s_delay_alu instid0(VALU_DEP_3)
	v_mov_b32_e32 v9, v12
	global_store_b96 v[10:11], v[7:9], off
.LBB68_32:
	s_wait_alu 0xfffe
	s_and_not1_b32 vcc_lo, exec_lo, s2
	s_wait_alu 0xfffe
	s_cbranch_vccnz .LBB68_14
; %bb.33:
	v_lshlrev_b64_e32 v[3:4], 2, v[3:4]
	s_wait_kmcnt 0x0
	s_delay_alu instid0(VALU_DEP_1) | instskip(SKIP_1) | instid1(VALU_DEP_2)
	v_add_co_u32 v3, vcc_lo, s0, v3
	s_wait_alu 0xfffd
	v_add_co_ci_u32_e64 v4, null, s1, v4, vcc_lo
	global_store_b96 v[3:4], v[0:2], off
	s_endpgm
	.section	.rodata,"a",@progbits
	.p2align	6, 0x0
	.amdhsa_kernel _ZN9rocsparseL18bsrxmvn_3x3_kernelILj256ELj32EiliaaiEEvT3_20rocsparse_direction_NS_24const_host_device_scalarIT1_EES1_PKS1_PKT2_SA_S7_PKT4_PKT5_S5_PT6_21rocsparse_index_base_b
		.amdhsa_group_segment_fixed_size 0
		.amdhsa_private_segment_fixed_size 0
		.amdhsa_kernarg_size 96
		.amdhsa_user_sgpr_count 2
		.amdhsa_user_sgpr_dispatch_ptr 0
		.amdhsa_user_sgpr_queue_ptr 0
		.amdhsa_user_sgpr_kernarg_segment_ptr 1
		.amdhsa_user_sgpr_dispatch_id 0
		.amdhsa_user_sgpr_private_segment_size 0
		.amdhsa_wavefront_size32 1
		.amdhsa_uses_dynamic_stack 0
		.amdhsa_enable_private_segment 0
		.amdhsa_system_sgpr_workgroup_id_x 1
		.amdhsa_system_sgpr_workgroup_id_y 0
		.amdhsa_system_sgpr_workgroup_id_z 0
		.amdhsa_system_sgpr_workgroup_info 0
		.amdhsa_system_vgpr_workitem_id 0
		.amdhsa_next_free_vgpr 26
		.amdhsa_next_free_sgpr 15
		.amdhsa_reserve_vcc 1
		.amdhsa_float_round_mode_32 0
		.amdhsa_float_round_mode_16_64 0
		.amdhsa_float_denorm_mode_32 3
		.amdhsa_float_denorm_mode_16_64 3
		.amdhsa_fp16_overflow 0
		.amdhsa_workgroup_processor_mode 1
		.amdhsa_memory_ordered 1
		.amdhsa_forward_progress 1
		.amdhsa_inst_pref_size 18
		.amdhsa_round_robin_scheduling 0
		.amdhsa_exception_fp_ieee_invalid_op 0
		.amdhsa_exception_fp_denorm_src 0
		.amdhsa_exception_fp_ieee_div_zero 0
		.amdhsa_exception_fp_ieee_overflow 0
		.amdhsa_exception_fp_ieee_underflow 0
		.amdhsa_exception_fp_ieee_inexact 0
		.amdhsa_exception_int_div_zero 0
	.end_amdhsa_kernel
	.section	.text._ZN9rocsparseL18bsrxmvn_3x3_kernelILj256ELj32EiliaaiEEvT3_20rocsparse_direction_NS_24const_host_device_scalarIT1_EES1_PKS1_PKT2_SA_S7_PKT4_PKT5_S5_PT6_21rocsparse_index_base_b,"axG",@progbits,_ZN9rocsparseL18bsrxmvn_3x3_kernelILj256ELj32EiliaaiEEvT3_20rocsparse_direction_NS_24const_host_device_scalarIT1_EES1_PKS1_PKT2_SA_S7_PKT4_PKT5_S5_PT6_21rocsparse_index_base_b,comdat
.Lfunc_end68:
	.size	_ZN9rocsparseL18bsrxmvn_3x3_kernelILj256ELj32EiliaaiEEvT3_20rocsparse_direction_NS_24const_host_device_scalarIT1_EES1_PKS1_PKT2_SA_S7_PKT4_PKT5_S5_PT6_21rocsparse_index_base_b, .Lfunc_end68-_ZN9rocsparseL18bsrxmvn_3x3_kernelILj256ELj32EiliaaiEEvT3_20rocsparse_direction_NS_24const_host_device_scalarIT1_EES1_PKS1_PKT2_SA_S7_PKT4_PKT5_S5_PT6_21rocsparse_index_base_b
                                        ; -- End function
	.set _ZN9rocsparseL18bsrxmvn_3x3_kernelILj256ELj32EiliaaiEEvT3_20rocsparse_direction_NS_24const_host_device_scalarIT1_EES1_PKS1_PKT2_SA_S7_PKT4_PKT5_S5_PT6_21rocsparse_index_base_b.num_vgpr, 26
	.set _ZN9rocsparseL18bsrxmvn_3x3_kernelILj256ELj32EiliaaiEEvT3_20rocsparse_direction_NS_24const_host_device_scalarIT1_EES1_PKS1_PKT2_SA_S7_PKT4_PKT5_S5_PT6_21rocsparse_index_base_b.num_agpr, 0
	.set _ZN9rocsparseL18bsrxmvn_3x3_kernelILj256ELj32EiliaaiEEvT3_20rocsparse_direction_NS_24const_host_device_scalarIT1_EES1_PKS1_PKT2_SA_S7_PKT4_PKT5_S5_PT6_21rocsparse_index_base_b.numbered_sgpr, 15
	.set _ZN9rocsparseL18bsrxmvn_3x3_kernelILj256ELj32EiliaaiEEvT3_20rocsparse_direction_NS_24const_host_device_scalarIT1_EES1_PKS1_PKT2_SA_S7_PKT4_PKT5_S5_PT6_21rocsparse_index_base_b.num_named_barrier, 0
	.set _ZN9rocsparseL18bsrxmvn_3x3_kernelILj256ELj32EiliaaiEEvT3_20rocsparse_direction_NS_24const_host_device_scalarIT1_EES1_PKS1_PKT2_SA_S7_PKT4_PKT5_S5_PT6_21rocsparse_index_base_b.private_seg_size, 0
	.set _ZN9rocsparseL18bsrxmvn_3x3_kernelILj256ELj32EiliaaiEEvT3_20rocsparse_direction_NS_24const_host_device_scalarIT1_EES1_PKS1_PKT2_SA_S7_PKT4_PKT5_S5_PT6_21rocsparse_index_base_b.uses_vcc, 1
	.set _ZN9rocsparseL18bsrxmvn_3x3_kernelILj256ELj32EiliaaiEEvT3_20rocsparse_direction_NS_24const_host_device_scalarIT1_EES1_PKS1_PKT2_SA_S7_PKT4_PKT5_S5_PT6_21rocsparse_index_base_b.uses_flat_scratch, 0
	.set _ZN9rocsparseL18bsrxmvn_3x3_kernelILj256ELj32EiliaaiEEvT3_20rocsparse_direction_NS_24const_host_device_scalarIT1_EES1_PKS1_PKT2_SA_S7_PKT4_PKT5_S5_PT6_21rocsparse_index_base_b.has_dyn_sized_stack, 0
	.set _ZN9rocsparseL18bsrxmvn_3x3_kernelILj256ELj32EiliaaiEEvT3_20rocsparse_direction_NS_24const_host_device_scalarIT1_EES1_PKS1_PKT2_SA_S7_PKT4_PKT5_S5_PT6_21rocsparse_index_base_b.has_recursion, 0
	.set _ZN9rocsparseL18bsrxmvn_3x3_kernelILj256ELj32EiliaaiEEvT3_20rocsparse_direction_NS_24const_host_device_scalarIT1_EES1_PKS1_PKT2_SA_S7_PKT4_PKT5_S5_PT6_21rocsparse_index_base_b.has_indirect_call, 0
	.section	.AMDGPU.csdata,"",@progbits
; Kernel info:
; codeLenInByte = 2196
; TotalNumSgprs: 17
; NumVgprs: 26
; ScratchSize: 0
; MemoryBound: 0
; FloatMode: 240
; IeeeMode: 1
; LDSByteSize: 0 bytes/workgroup (compile time only)
; SGPRBlocks: 0
; VGPRBlocks: 3
; NumSGPRsForWavesPerEU: 17
; NumVGPRsForWavesPerEU: 26
; Occupancy: 16
; WaveLimiterHint : 1
; COMPUTE_PGM_RSRC2:SCRATCH_EN: 0
; COMPUTE_PGM_RSRC2:USER_SGPR: 2
; COMPUTE_PGM_RSRC2:TRAP_HANDLER: 0
; COMPUTE_PGM_RSRC2:TGID_X_EN: 1
; COMPUTE_PGM_RSRC2:TGID_Y_EN: 0
; COMPUTE_PGM_RSRC2:TGID_Z_EN: 0
; COMPUTE_PGM_RSRC2:TIDIG_COMP_CNT: 0
	.section	.text._ZN9rocsparseL18bsrxmvn_3x3_kernelILj256ELj64EiliaaiEEvT3_20rocsparse_direction_NS_24const_host_device_scalarIT1_EES1_PKS1_PKT2_SA_S7_PKT4_PKT5_S5_PT6_21rocsparse_index_base_b,"axG",@progbits,_ZN9rocsparseL18bsrxmvn_3x3_kernelILj256ELj64EiliaaiEEvT3_20rocsparse_direction_NS_24const_host_device_scalarIT1_EES1_PKS1_PKT2_SA_S7_PKT4_PKT5_S5_PT6_21rocsparse_index_base_b,comdat
	.globl	_ZN9rocsparseL18bsrxmvn_3x3_kernelILj256ELj64EiliaaiEEvT3_20rocsparse_direction_NS_24const_host_device_scalarIT1_EES1_PKS1_PKT2_SA_S7_PKT4_PKT5_S5_PT6_21rocsparse_index_base_b ; -- Begin function _ZN9rocsparseL18bsrxmvn_3x3_kernelILj256ELj64EiliaaiEEvT3_20rocsparse_direction_NS_24const_host_device_scalarIT1_EES1_PKS1_PKT2_SA_S7_PKT4_PKT5_S5_PT6_21rocsparse_index_base_b
	.p2align	8
	.type	_ZN9rocsparseL18bsrxmvn_3x3_kernelILj256ELj64EiliaaiEEvT3_20rocsparse_direction_NS_24const_host_device_scalarIT1_EES1_PKS1_PKT2_SA_S7_PKT4_PKT5_S5_PT6_21rocsparse_index_base_b,@function
_ZN9rocsparseL18bsrxmvn_3x3_kernelILj256ELj64EiliaaiEEvT3_20rocsparse_direction_NS_24const_host_device_scalarIT1_EES1_PKS1_PKT2_SA_S7_PKT4_PKT5_S5_PT6_21rocsparse_index_base_b: ; @_ZN9rocsparseL18bsrxmvn_3x3_kernelILj256ELj64EiliaaiEEvT3_20rocsparse_direction_NS_24const_host_device_scalarIT1_EES1_PKS1_PKT2_SA_S7_PKT4_PKT5_S5_PT6_21rocsparse_index_base_b
; %bb.0:
	s_clause 0x1
	s_load_b64 s[12:13], s[0:1], 0x58
	s_load_b64 s[4:5], s[0:1], 0x8
	s_mov_b32 s7, -1
	s_wait_kmcnt 0x0
	s_bitcmp1_b32 s13, 0
                                        ; implicit-def: $sgpr13
	s_cselect_b32 s2, -1, 0
	s_delay_alu instid0(SALU_CYCLE_1) | instskip(NEXT) | instid1(SALU_CYCLE_1)
	s_xor_b32 s6, s2, -1
	s_and_b32 vcc_lo, exec_lo, s6
	s_cbranch_vccnz .LBB69_4
; %bb.1:
	s_load_b64 s[2:3], s[0:1], 0x48
	s_and_not1_b32 vcc_lo, exec_lo, s7
	s_cbranch_vccz .LBB69_5
.LBB69_2:
	s_and_b32 vcc_lo, exec_lo, s6
	s_cbranch_vccz .LBB69_6
.LBB69_3:
	s_wait_kmcnt 0x0
	s_load_b32 s14, s[2:3], 0x0
	s_cbranch_execz .LBB69_7
	s_branch .LBB69_8
.LBB69_4:
	s_load_b32 s13, s[4:5], 0x0
	s_load_b64 s[2:3], s[0:1], 0x48
	s_cbranch_execnz .LBB69_2
.LBB69_5:
	s_wait_kmcnt 0x0
	s_mov_b32 s13, s4
	s_and_b32 vcc_lo, exec_lo, s6
	s_cbranch_vccnz .LBB69_3
.LBB69_6:
	s_wait_kmcnt 0x0
                                        ; implicit-def: $sgpr14
.LBB69_7:
	s_wait_kmcnt 0x0
	s_mov_b32 s14, s2
.LBB69_8:
	s_cmp_lg_u32 s13, 0
	s_mov_b32 s6, 0
	s_cselect_b32 s2, -1, 0
	s_wait_kmcnt 0x0
	s_cmp_lg_u32 s14, 1
	s_cselect_b32 s3, -1, 0
	s_delay_alu instid0(SALU_CYCLE_1) | instskip(NEXT) | instid1(SALU_CYCLE_1)
	s_or_b32 s2, s2, s3
	s_and_not1_b32 vcc_lo, exec_lo, s2
	s_cbranch_vccnz .LBB69_14
; %bb.9:
	s_clause 0x1
	s_load_b64 s[4:5], s[0:1], 0x18
	s_load_b64 s[2:3], s[0:1], 0x0
	v_lshrrev_b32_e32 v1, 6, v0
	s_delay_alu instid0(VALU_DEP_1)
	v_lshl_or_b32 v1, ttmp9, 2, v1
	s_wait_kmcnt 0x0
	s_cmp_lg_u64 s[4:5], 0
	s_cbranch_scc0 .LBB69_15
; %bb.10:
	s_load_b32 s6, s[0:1], 0x10
	s_mov_b32 s7, 0
                                        ; implicit-def: $vgpr2
	s_wait_kmcnt 0x0
	v_cmp_gt_i32_e32 vcc_lo, s6, v1
	s_mov_b32 s6, 0
	s_and_saveexec_b32 s8, vcc_lo
	s_delay_alu instid0(SALU_CYCLE_1)
	s_xor_b32 s8, exec_lo, s8
	s_cbranch_execz .LBB69_12
; %bb.11:
	v_ashrrev_i32_e32 v2, 31, v1
	s_mov_b32 s6, exec_lo
	s_delay_alu instid0(VALU_DEP_1) | instskip(NEXT) | instid1(VALU_DEP_1)
	v_lshlrev_b64_e32 v[2:3], 2, v[1:2]
	v_add_co_u32 v2, vcc_lo, s4, v2
	s_delay_alu instid0(VALU_DEP_1)
	v_add_co_ci_u32_e64 v3, null, s5, v3, vcc_lo
	global_load_b32 v2, v[2:3], off
	s_wait_loadcnt 0x0
	v_subrev_nc_u32_e32 v2, s12, v2
.LBB69_12:
	s_or_b32 exec_lo, exec_lo, s8
	s_delay_alu instid0(SALU_CYCLE_1)
	s_and_b32 vcc_lo, exec_lo, s7
	s_wait_alu 0xfffe
	s_cbranch_vccz .LBB69_16
.LBB69_13:
	v_cmp_gt_i32_e32 vcc_lo, s2, v1
	s_and_not1_b32 s2, s6, exec_lo
	s_and_b32 s4, vcc_lo, exec_lo
	s_wait_alu 0xfffe
	s_or_b32 s6, s2, s4
	s_wait_alu 0xfffe
	s_and_saveexec_b32 s2, s6
	s_cbranch_execnz .LBB69_17
.LBB69_14:
	s_endpgm
.LBB69_15:
                                        ; implicit-def: $vgpr2
	s_cbranch_execnz .LBB69_13
.LBB69_16:
	v_mov_b32_e32 v1, v2
	s_and_saveexec_b32 s2, s6
	s_cbranch_execz .LBB69_14
.LBB69_17:
	s_load_b256 s[4:11], s[0:1], 0x20
	s_delay_alu instid0(VALU_DEP_1) | instskip(SKIP_2) | instid1(VALU_DEP_3)
	v_ashrrev_i32_e32 v2, 31, v1
	v_and_b32_e32 v0, 63, v0
	v_mov_b32_e32 v14, 0
	v_lshlrev_b64_e32 v[2:3], 3, v[1:2]
	s_wait_kmcnt 0x0
	s_delay_alu instid0(VALU_DEP_1) | instskip(SKIP_1) | instid1(VALU_DEP_2)
	v_add_co_u32 v4, vcc_lo, s4, v2
	s_wait_alu 0xfffd
	v_add_co_ci_u32_e64 v5, null, s5, v3, vcc_lo
	v_add_co_u32 v2, vcc_lo, s6, v2
	s_wait_alu 0xfffd
	v_add_co_ci_u32_e64 v3, null, s7, v3, vcc_lo
	global_load_b64 v[6:7], v[4:5], off
	v_add_co_u32 v4, vcc_lo, v4, 8
	s_wait_alu 0xfffd
	v_add_co_ci_u32_e64 v5, null, 0, v5, vcc_lo
	s_cmp_eq_u64 s[6:7], 0
	s_load_b64 s[4:5], s[0:1], 0x40
	s_cselect_b32 vcc_lo, -1, 0
	s_cmp_eq_u32 s3, 1
	s_wait_alu 0xfffe
	v_dual_cndmask_b32 v3, v3, v5 :: v_dual_cndmask_b32 v2, v2, v4
	global_load_b64 v[8:9], v[2:3], off
	s_wait_loadcnt 0x1
	v_sub_co_u32 v2, vcc_lo, v6, s12
	s_wait_alu 0xfffd
	v_subrev_co_ci_u32_e64 v3, null, 0, v7, vcc_lo
	s_delay_alu instid0(VALU_DEP_2) | instskip(SKIP_1) | instid1(VALU_DEP_2)
	v_add_co_u32 v2, vcc_lo, v2, v0
	s_wait_alu 0xfffd
	v_add_co_ci_u32_e64 v3, null, 0, v3, vcc_lo
	s_delay_alu instid0(VALU_DEP_2) | instskip(NEXT) | instid1(VALU_DEP_1)
	v_mad_co_u64_u32 v[4:5], null, v2, 9, s[10:11]
	v_mad_co_u64_u32 v[5:6], null, v3, 9, v[5:6]
	s_wait_loadcnt 0x0
	v_sub_co_u32 v6, vcc_lo, v8, s12
	s_wait_alu 0xfffd
	v_subrev_co_ci_u32_e64 v7, null, 0, v9, vcc_lo
	s_delay_alu instid0(VALU_DEP_1)
	v_cmp_lt_i64_e64 s2, v[2:3], v[6:7]
	s_cbranch_scc1 .LBB69_23
; %bb.18:
	v_dual_mov_b32 v15, 0 :: v_dual_mov_b32 v16, 0
	s_and_saveexec_b32 s6, s2
	s_cbranch_execz .LBB69_22
; %bb.19:
	v_lshlrev_b64_e32 v[8:9], 2, v[2:3]
	v_dual_mov_b32 v14, 0 :: v_dual_mov_b32 v11, v5
	v_dual_mov_b32 v10, v4 :: v_dual_mov_b32 v13, v3
	;; [unrolled: 1-line block ×3, first 2 shown]
	s_delay_alu instid0(VALU_DEP_4)
	v_add_co_u32 v8, vcc_lo, s8, v8
	s_wait_alu 0xfffd
	v_add_co_ci_u32_e64 v9, null, s9, v9, vcc_lo
	v_mov_b32_e32 v12, v2
	s_mov_b32 s7, 0
.LBB69_20:                              ; =>This Inner Loop Header: Depth=1
	global_load_b32 v17, v[8:9], off
	s_wait_loadcnt 0x0
	v_subrev_nc_u32_e32 v17, s12, v17
	s_delay_alu instid0(VALU_DEP_1) | instskip(NEXT) | instid1(VALU_DEP_1)
	v_lshl_add_u32 v17, v17, 1, v17
	v_ashrrev_i32_e32 v18, 31, v17
	s_wait_kmcnt 0x0
	v_add_co_u32 v17, vcc_lo, s4, v17
	s_wait_alu 0xfffd
	s_delay_alu instid0(VALU_DEP_2)
	v_add_co_ci_u32_e64 v18, null, s5, v18, vcc_lo
	s_clause 0x1
	global_load_b64 v[19:20], v[10:11], off
	global_load_i8 v21, v[10:11], off offset:8
	s_clause 0x1
	global_load_u16 v22, v[17:18], off
	global_load_i8 v17, v[17:18], off offset:2
	v_add_co_u32 v10, vcc_lo, 0x240, v10
	s_wait_alu 0xfffd
	v_add_co_ci_u32_e64 v11, null, 0, v11, vcc_lo
	v_add_co_u32 v12, vcc_lo, v12, 64
	s_wait_alu 0xfffd
	v_add_co_ci_u32_e64 v13, null, 0, v13, vcc_lo
	;; [unrolled: 3-line block ×3, first 2 shown]
	s_delay_alu instid0(VALU_DEP_3)
	v_cmp_ge_i64_e64 s3, v[12:13], v[6:7]
	s_wait_alu 0xfffe
	s_or_b32 s7, s3, s7
	s_wait_loadcnt 0x3
	v_lshrrev_b32_e32 v18, 8, v19
	v_lshrrev_b32_e32 v23, 16, v19
	s_wait_loadcnt 0x1
	v_lshrrev_b32_e32 v24, 8, v22
	v_bfe_i32 v25, v22, 0, 8
	v_bfe_i32 v18, v18, 0, 8
	;; [unrolled: 1-line block ×3, first 2 shown]
	s_delay_alu instid0(VALU_DEP_4) | instskip(NEXT) | instid1(VALU_DEP_2)
	v_bfe_i32 v24, v24, 0, 8
	v_perm_b32 v18, v23, v18, 0x5040100
	s_wait_loadcnt 0x0
	s_delay_alu instid0(VALU_DEP_2)
	v_perm_b32 v23, v17, v24, 0x5040100
	v_bfe_i32 v24, v19, 0, 8
	v_perm_b32 v19, v20, v19, 0xc050403
	v_perm_b32 v20, v21, v20, 0xc040302
	v_perm_b32 v17, v17, v22, 0xc040100
	v_pk_mul_lo_u16 v18, v23, v18
	v_mad_i32_i24 v16, v25, v24, v16
	s_delay_alu instid0(VALU_DEP_3) | instskip(NEXT) | instid1(VALU_DEP_3)
	v_dot4_i32_iu8 v15, v17, v19, v15 neg_lo:[1,1,0]
	v_bfe_i32 v21, v18, 0, 16
	v_ashrrev_i32_e32 v18, 16, v18
	v_dot4_i32_iu8 v14, v17, v20, v14 neg_lo:[1,1,0]
	s_delay_alu instid0(VALU_DEP_2)
	v_add3_u32 v16, v16, v21, v18
	s_wait_alu 0xfffe
	s_and_not1_b32 exec_lo, exec_lo, s7
	s_cbranch_execnz .LBB69_20
; %bb.21:
	s_or_b32 exec_lo, exec_lo, s7
.LBB69_22:
	s_wait_alu 0xfffe
	s_or_b32 exec_lo, exec_lo, s6
	s_cbranch_execz .LBB69_24
	s_branch .LBB69_29
.LBB69_23:
                                        ; implicit-def: $vgpr14
                                        ; implicit-def: $vgpr15
                                        ; implicit-def: $vgpr16
.LBB69_24:
	v_dual_mov_b32 v14, 0 :: v_dual_mov_b32 v15, 0
	v_mov_b32_e32 v16, 0
	s_and_saveexec_b32 s3, s2
	s_cbranch_execz .LBB69_28
; %bb.25:
	v_lshlrev_b64_e32 v[8:9], 2, v[2:3]
	v_dual_mov_b32 v16, 0 :: v_dual_mov_b32 v15, 0
	v_mov_b32_e32 v14, 0
	s_mov_b32 s6, 0
	s_delay_alu instid0(VALU_DEP_3)
	v_add_co_u32 v8, vcc_lo, s8, v8
	s_wait_alu 0xfffd
	v_add_co_ci_u32_e64 v9, null, s9, v9, vcc_lo
.LBB69_26:                              ; =>This Inner Loop Header: Depth=1
	global_load_b32 v10, v[8:9], off
	global_load_i8 v17, v[4:5], off offset:8
	s_wait_loadcnt 0x1
	v_subrev_nc_u32_e32 v10, s12, v10
	s_delay_alu instid0(VALU_DEP_1) | instskip(NEXT) | instid1(VALU_DEP_1)
	v_lshl_add_u32 v10, v10, 1, v10
	v_ashrrev_i32_e32 v11, 31, v10
	s_wait_kmcnt 0x0
	v_add_co_u32 v10, vcc_lo, s4, v10
	s_wait_alu 0xfffd
	s_delay_alu instid0(VALU_DEP_2)
	v_add_co_ci_u32_e64 v11, null, s5, v11, vcc_lo
	v_add_co_u32 v2, vcc_lo, v2, 64
	global_load_b64 v[12:13], v[4:5], off
	s_clause 0x1
	global_load_u16 v18, v[10:11], off
	global_load_i8 v10, v[10:11], off offset:2
	s_wait_alu 0xfffd
	v_add_co_ci_u32_e64 v3, null, 0, v3, vcc_lo
	v_add_co_u32 v4, vcc_lo, 0x240, v4
	s_wait_alu 0xfffd
	v_add_co_ci_u32_e64 v5, null, 0, v5, vcc_lo
	s_delay_alu instid0(VALU_DEP_3) | instskip(SKIP_4) | instid1(VALU_DEP_3)
	v_cmp_ge_i64_e64 s2, v[2:3], v[6:7]
	v_add_co_u32 v8, vcc_lo, 0x100, v8
	s_wait_alu 0xfffd
	v_add_co_ci_u32_e64 v9, null, 0, v9, vcc_lo
	s_wait_alu 0xfffe
	s_or_b32 s6, s2, s6
	s_wait_loadcnt 0x2
	v_perm_b32 v11, v17, v13, 0xc04010c
	v_perm_b32 v17, v12, v12, 0xc0c0c02
	v_bfe_i32 v19, v12, 0, 8
	s_wait_loadcnt 0x1
	v_bfe_i32 v21, v18, 0, 8
	v_perm_b32 v20, v13, v12, 0xc0c0603
	v_perm_b32 v12, v13, v12, 0xc070401
	v_or_b32_e32 v11, v11, v17
	s_wait_loadcnt 0x0
	v_perm_b32 v13, v10, v18, 0xc040100
	v_perm_b32 v10, v10, v18, 0xc0c0401
	v_mad_i32_i24 v16, v21, v19, v16
	s_delay_alu instid0(VALU_DEP_3) | instskip(SKIP_1) | instid1(VALU_DEP_3)
	v_dot4_i32_iu8 v15, v13, v12, v15 neg_lo:[1,1,0]
	v_dot4_i32_iu8 v14, v13, v11, v14 neg_lo:[1,1,0]
	;; [unrolled: 1-line block ×3, first 2 shown]
	s_wait_alu 0xfffe
	s_and_not1_b32 exec_lo, exec_lo, s6
	s_cbranch_execnz .LBB69_26
; %bb.27:
	s_or_b32 exec_lo, exec_lo, s6
.LBB69_28:
	s_wait_alu 0xfffe
	s_or_b32 exec_lo, exec_lo, s3
.LBB69_29:
	v_mbcnt_lo_u32_b32 v2, -1, 0
	s_mov_b32 s2, -1
	s_delay_alu instid0(VALU_DEP_1) | instskip(SKIP_2) | instid1(VALU_DEP_3)
	v_or_b32_e32 v3, 32, v2
	v_xor_b32_e32 v6, 16, v2
	v_xor_b32_e32 v9, 8, v2
	v_cmp_gt_i32_e32 vcc_lo, 32, v3
	s_wait_alu 0xfffd
	v_cndmask_b32_e32 v3, v2, v3, vcc_lo
	v_cmp_gt_i32_e32 vcc_lo, 32, v6
	s_wait_alu 0xfffd
	v_cndmask_b32_e32 v6, v2, v6, vcc_lo
	v_cmp_gt_i32_e32 vcc_lo, 32, v9
	s_delay_alu instid0(VALU_DEP_2)
	v_lshlrev_b32_e32 v6, 2, v6
	v_lshlrev_b32_e32 v3, 2, v3
	s_wait_alu 0xfffd
	v_cndmask_b32_e32 v9, v2, v9, vcc_lo
	ds_bpermute_b32 v4, v3, v16
	ds_bpermute_b32 v5, v3, v15
	;; [unrolled: 1-line block ×3, first 2 shown]
	v_lshlrev_b32_e32 v9, 2, v9
	s_wait_dscnt 0x2
	v_add_nc_u32_e32 v4, v4, v16
	s_wait_dscnt 0x1
	v_add_nc_u32_e32 v5, v5, v15
	;; [unrolled: 2-line block ×3, first 2 shown]
	ds_bpermute_b32 v7, v6, v4
	ds_bpermute_b32 v8, v6, v5
	;; [unrolled: 1-line block ×3, first 2 shown]
	s_wait_dscnt 0x2
	v_add_nc_u32_e32 v4, v7, v4
	s_wait_dscnt 0x1
	v_add_nc_u32_e32 v5, v8, v5
	;; [unrolled: 2-line block ×3, first 2 shown]
	ds_bpermute_b32 v6, v9, v4
	ds_bpermute_b32 v7, v9, v5
	;; [unrolled: 1-line block ×3, first 2 shown]
	v_xor_b32_e32 v9, 4, v2
	s_delay_alu instid0(VALU_DEP_1) | instskip(SKIP_2) | instid1(VALU_DEP_1)
	v_cmp_gt_i32_e32 vcc_lo, 32, v9
	s_wait_alu 0xfffd
	v_cndmask_b32_e32 v9, v2, v9, vcc_lo
	v_lshlrev_b32_e32 v9, 2, v9
	s_wait_dscnt 0x2
	v_add_nc_u32_e32 v4, v6, v4
	s_wait_dscnt 0x1
	v_add_nc_u32_e32 v5, v7, v5
	s_wait_dscnt 0x0
	v_add_nc_u32_e32 v3, v8, v3
	ds_bpermute_b32 v6, v9, v4
	ds_bpermute_b32 v7, v9, v5
	;; [unrolled: 1-line block ×3, first 2 shown]
	v_xor_b32_e32 v9, 2, v2
	s_delay_alu instid0(VALU_DEP_1)
	v_cmp_gt_i32_e32 vcc_lo, 32, v9
	s_wait_alu 0xfffd
	v_cndmask_b32_e32 v9, v2, v9, vcc_lo
	s_wait_dscnt 0x2
	v_add_nc_u32_e32 v4, v6, v4
	s_wait_dscnt 0x1
	v_add_nc_u32_e32 v5, v7, v5
	;; [unrolled: 2-line block ×3, first 2 shown]
	v_lshlrev_b32_e32 v9, 2, v9
	ds_bpermute_b32 v3, v9, v4
	ds_bpermute_b32 v7, v9, v5
	;; [unrolled: 1-line block ×3, first 2 shown]
	v_xor_b32_e32 v9, 1, v2
	s_delay_alu instid0(VALU_DEP_1) | instskip(SKIP_3) | instid1(VALU_DEP_2)
	v_cmp_gt_i32_e32 vcc_lo, 32, v9
	s_wait_alu 0xfffd
	v_cndmask_b32_e32 v2, v2, v9, vcc_lo
	v_cmp_eq_u32_e32 vcc_lo, 63, v0
	v_lshlrev_b32_e32 v9, 2, v2
	s_wait_dscnt 0x2
	v_add_nc_u32_e32 v2, v3, v4
	s_wait_dscnt 0x1
	v_add_nc_u32_e32 v3, v7, v5
	;; [unrolled: 2-line block ×3, first 2 shown]
	ds_bpermute_b32 v5, v9, v2
	ds_bpermute_b32 v6, v9, v3
	;; [unrolled: 1-line block ×3, first 2 shown]
	s_and_b32 exec_lo, exec_lo, vcc_lo
	s_cbranch_execz .LBB69_14
; %bb.30:
	s_load_b64 s[0:1], s[0:1], 0x50
	s_wait_dscnt 0x2
	v_add_nc_u32_e32 v0, v5, v2
	s_wait_dscnt 0x1
	v_add_nc_u32_e32 v2, v6, v3
	;; [unrolled: 2-line block ×3, first 2 shown]
	v_lshl_add_u32 v3, v1, 1, v1
	s_cmp_eq_u32 s14, 0
	v_mul_lo_u32 v0, v0, s13
	v_mul_lo_u32 v1, v2, s13
	v_mul_lo_u32 v2, v4, s13
	v_ashrrev_i32_e32 v4, 31, v3
	s_cbranch_scc1 .LBB69_32
; %bb.31:
	s_delay_alu instid0(VALU_DEP_1) | instskip(SKIP_2) | instid1(VALU_DEP_1)
	v_lshlrev_b64_e32 v[5:6], 2, v[3:4]
	s_mov_b32 s2, 0
	s_wait_kmcnt 0x0
	v_add_co_u32 v10, vcc_lo, s0, v5
	s_wait_alu 0xfffd
	s_delay_alu instid0(VALU_DEP_2)
	v_add_co_ci_u32_e64 v11, null, s1, v6, vcc_lo
	global_load_b96 v[5:7], v[10:11], off
	s_wait_loadcnt 0x0
	v_mad_co_u64_u32 v[12:13], null, v7, s14, v[2:3]
	v_mad_co_u64_u32 v[7:8], null, v5, s14, v[0:1]
	;; [unrolled: 1-line block ×3, first 2 shown]
	s_delay_alu instid0(VALU_DEP_3)
	v_mov_b32_e32 v9, v12
	global_store_b96 v[10:11], v[7:9], off
.LBB69_32:
	s_wait_alu 0xfffe
	s_and_not1_b32 vcc_lo, exec_lo, s2
	s_wait_alu 0xfffe
	s_cbranch_vccnz .LBB69_14
; %bb.33:
	v_lshlrev_b64_e32 v[3:4], 2, v[3:4]
	s_wait_kmcnt 0x0
	s_delay_alu instid0(VALU_DEP_1) | instskip(SKIP_1) | instid1(VALU_DEP_2)
	v_add_co_u32 v3, vcc_lo, s0, v3
	s_wait_alu 0xfffd
	v_add_co_ci_u32_e64 v4, null, s1, v4, vcc_lo
	global_store_b96 v[3:4], v[0:2], off
	s_endpgm
	.section	.rodata,"a",@progbits
	.p2align	6, 0x0
	.amdhsa_kernel _ZN9rocsparseL18bsrxmvn_3x3_kernelILj256ELj64EiliaaiEEvT3_20rocsparse_direction_NS_24const_host_device_scalarIT1_EES1_PKS1_PKT2_SA_S7_PKT4_PKT5_S5_PT6_21rocsparse_index_base_b
		.amdhsa_group_segment_fixed_size 0
		.amdhsa_private_segment_fixed_size 0
		.amdhsa_kernarg_size 96
		.amdhsa_user_sgpr_count 2
		.amdhsa_user_sgpr_dispatch_ptr 0
		.amdhsa_user_sgpr_queue_ptr 0
		.amdhsa_user_sgpr_kernarg_segment_ptr 1
		.amdhsa_user_sgpr_dispatch_id 0
		.amdhsa_user_sgpr_private_segment_size 0
		.amdhsa_wavefront_size32 1
		.amdhsa_uses_dynamic_stack 0
		.amdhsa_enable_private_segment 0
		.amdhsa_system_sgpr_workgroup_id_x 1
		.amdhsa_system_sgpr_workgroup_id_y 0
		.amdhsa_system_sgpr_workgroup_id_z 0
		.amdhsa_system_sgpr_workgroup_info 0
		.amdhsa_system_vgpr_workitem_id 0
		.amdhsa_next_free_vgpr 26
		.amdhsa_next_free_sgpr 15
		.amdhsa_reserve_vcc 1
		.amdhsa_float_round_mode_32 0
		.amdhsa_float_round_mode_16_64 0
		.amdhsa_float_denorm_mode_32 3
		.amdhsa_float_denorm_mode_16_64 3
		.amdhsa_fp16_overflow 0
		.amdhsa_workgroup_processor_mode 1
		.amdhsa_memory_ordered 1
		.amdhsa_forward_progress 1
		.amdhsa_inst_pref_size 18
		.amdhsa_round_robin_scheduling 0
		.amdhsa_exception_fp_ieee_invalid_op 0
		.amdhsa_exception_fp_denorm_src 0
		.amdhsa_exception_fp_ieee_div_zero 0
		.amdhsa_exception_fp_ieee_overflow 0
		.amdhsa_exception_fp_ieee_underflow 0
		.amdhsa_exception_fp_ieee_inexact 0
		.amdhsa_exception_int_div_zero 0
	.end_amdhsa_kernel
	.section	.text._ZN9rocsparseL18bsrxmvn_3x3_kernelILj256ELj64EiliaaiEEvT3_20rocsparse_direction_NS_24const_host_device_scalarIT1_EES1_PKS1_PKT2_SA_S7_PKT4_PKT5_S5_PT6_21rocsparse_index_base_b,"axG",@progbits,_ZN9rocsparseL18bsrxmvn_3x3_kernelILj256ELj64EiliaaiEEvT3_20rocsparse_direction_NS_24const_host_device_scalarIT1_EES1_PKS1_PKT2_SA_S7_PKT4_PKT5_S5_PT6_21rocsparse_index_base_b,comdat
.Lfunc_end69:
	.size	_ZN9rocsparseL18bsrxmvn_3x3_kernelILj256ELj64EiliaaiEEvT3_20rocsparse_direction_NS_24const_host_device_scalarIT1_EES1_PKS1_PKT2_SA_S7_PKT4_PKT5_S5_PT6_21rocsparse_index_base_b, .Lfunc_end69-_ZN9rocsparseL18bsrxmvn_3x3_kernelILj256ELj64EiliaaiEEvT3_20rocsparse_direction_NS_24const_host_device_scalarIT1_EES1_PKS1_PKT2_SA_S7_PKT4_PKT5_S5_PT6_21rocsparse_index_base_b
                                        ; -- End function
	.set _ZN9rocsparseL18bsrxmvn_3x3_kernelILj256ELj64EiliaaiEEvT3_20rocsparse_direction_NS_24const_host_device_scalarIT1_EES1_PKS1_PKT2_SA_S7_PKT4_PKT5_S5_PT6_21rocsparse_index_base_b.num_vgpr, 26
	.set _ZN9rocsparseL18bsrxmvn_3x3_kernelILj256ELj64EiliaaiEEvT3_20rocsparse_direction_NS_24const_host_device_scalarIT1_EES1_PKS1_PKT2_SA_S7_PKT4_PKT5_S5_PT6_21rocsparse_index_base_b.num_agpr, 0
	.set _ZN9rocsparseL18bsrxmvn_3x3_kernelILj256ELj64EiliaaiEEvT3_20rocsparse_direction_NS_24const_host_device_scalarIT1_EES1_PKS1_PKT2_SA_S7_PKT4_PKT5_S5_PT6_21rocsparse_index_base_b.numbered_sgpr, 15
	.set _ZN9rocsparseL18bsrxmvn_3x3_kernelILj256ELj64EiliaaiEEvT3_20rocsparse_direction_NS_24const_host_device_scalarIT1_EES1_PKS1_PKT2_SA_S7_PKT4_PKT5_S5_PT6_21rocsparse_index_base_b.num_named_barrier, 0
	.set _ZN9rocsparseL18bsrxmvn_3x3_kernelILj256ELj64EiliaaiEEvT3_20rocsparse_direction_NS_24const_host_device_scalarIT1_EES1_PKS1_PKT2_SA_S7_PKT4_PKT5_S5_PT6_21rocsparse_index_base_b.private_seg_size, 0
	.set _ZN9rocsparseL18bsrxmvn_3x3_kernelILj256ELj64EiliaaiEEvT3_20rocsparse_direction_NS_24const_host_device_scalarIT1_EES1_PKS1_PKT2_SA_S7_PKT4_PKT5_S5_PT6_21rocsparse_index_base_b.uses_vcc, 1
	.set _ZN9rocsparseL18bsrxmvn_3x3_kernelILj256ELj64EiliaaiEEvT3_20rocsparse_direction_NS_24const_host_device_scalarIT1_EES1_PKS1_PKT2_SA_S7_PKT4_PKT5_S5_PT6_21rocsparse_index_base_b.uses_flat_scratch, 0
	.set _ZN9rocsparseL18bsrxmvn_3x3_kernelILj256ELj64EiliaaiEEvT3_20rocsparse_direction_NS_24const_host_device_scalarIT1_EES1_PKS1_PKT2_SA_S7_PKT4_PKT5_S5_PT6_21rocsparse_index_base_b.has_dyn_sized_stack, 0
	.set _ZN9rocsparseL18bsrxmvn_3x3_kernelILj256ELj64EiliaaiEEvT3_20rocsparse_direction_NS_24const_host_device_scalarIT1_EES1_PKS1_PKT2_SA_S7_PKT4_PKT5_S5_PT6_21rocsparse_index_base_b.has_recursion, 0
	.set _ZN9rocsparseL18bsrxmvn_3x3_kernelILj256ELj64EiliaaiEEvT3_20rocsparse_direction_NS_24const_host_device_scalarIT1_EES1_PKS1_PKT2_SA_S7_PKT4_PKT5_S5_PT6_21rocsparse_index_base_b.has_indirect_call, 0
	.section	.AMDGPU.csdata,"",@progbits
; Kernel info:
; codeLenInByte = 2268
; TotalNumSgprs: 17
; NumVgprs: 26
; ScratchSize: 0
; MemoryBound: 0
; FloatMode: 240
; IeeeMode: 1
; LDSByteSize: 0 bytes/workgroup (compile time only)
; SGPRBlocks: 0
; VGPRBlocks: 3
; NumSGPRsForWavesPerEU: 17
; NumVGPRsForWavesPerEU: 26
; Occupancy: 16
; WaveLimiterHint : 1
; COMPUTE_PGM_RSRC2:SCRATCH_EN: 0
; COMPUTE_PGM_RSRC2:USER_SGPR: 2
; COMPUTE_PGM_RSRC2:TRAP_HANDLER: 0
; COMPUTE_PGM_RSRC2:TGID_X_EN: 1
; COMPUTE_PGM_RSRC2:TGID_Y_EN: 0
; COMPUTE_PGM_RSRC2:TGID_Z_EN: 0
; COMPUTE_PGM_RSRC2:TIDIG_COMP_CNT: 0
	.section	.text._ZN9rocsparseL18bsrxmvn_3x3_kernelILj256ELj4EillaaiEEvT3_20rocsparse_direction_NS_24const_host_device_scalarIT1_EES1_PKS1_PKT2_SA_S7_PKT4_PKT5_S5_PT6_21rocsparse_index_base_b,"axG",@progbits,_ZN9rocsparseL18bsrxmvn_3x3_kernelILj256ELj4EillaaiEEvT3_20rocsparse_direction_NS_24const_host_device_scalarIT1_EES1_PKS1_PKT2_SA_S7_PKT4_PKT5_S5_PT6_21rocsparse_index_base_b,comdat
	.globl	_ZN9rocsparseL18bsrxmvn_3x3_kernelILj256ELj4EillaaiEEvT3_20rocsparse_direction_NS_24const_host_device_scalarIT1_EES1_PKS1_PKT2_SA_S7_PKT4_PKT5_S5_PT6_21rocsparse_index_base_b ; -- Begin function _ZN9rocsparseL18bsrxmvn_3x3_kernelILj256ELj4EillaaiEEvT3_20rocsparse_direction_NS_24const_host_device_scalarIT1_EES1_PKS1_PKT2_SA_S7_PKT4_PKT5_S5_PT6_21rocsparse_index_base_b
	.p2align	8
	.type	_ZN9rocsparseL18bsrxmvn_3x3_kernelILj256ELj4EillaaiEEvT3_20rocsparse_direction_NS_24const_host_device_scalarIT1_EES1_PKS1_PKT2_SA_S7_PKT4_PKT5_S5_PT6_21rocsparse_index_base_b,@function
_ZN9rocsparseL18bsrxmvn_3x3_kernelILj256ELj4EillaaiEEvT3_20rocsparse_direction_NS_24const_host_device_scalarIT1_EES1_PKS1_PKT2_SA_S7_PKT4_PKT5_S5_PT6_21rocsparse_index_base_b: ; @_ZN9rocsparseL18bsrxmvn_3x3_kernelILj256ELj4EillaaiEEvT3_20rocsparse_direction_NS_24const_host_device_scalarIT1_EES1_PKS1_PKT2_SA_S7_PKT4_PKT5_S5_PT6_21rocsparse_index_base_b
; %bb.0:
	s_clause 0x1
	s_load_b64 s[2:3], s[0:1], 0x60
	s_load_b128 s[4:7], s[0:1], 0x10
	s_mov_b32 s10, -1
                                        ; implicit-def: $sgpr12
	s_wait_kmcnt 0x0
	s_bitcmp1_b32 s3, 0
	s_cselect_b32 s3, -1, 0
	s_delay_alu instid0(SALU_CYCLE_1) | instskip(NEXT) | instid1(SALU_CYCLE_1)
	s_xor_b32 s3, s3, -1
	s_and_b32 vcc_lo, exec_lo, s3
	s_cbranch_vccnz .LBB70_4
; %bb.1:
	s_load_b64 s[8:9], s[0:1], 0x50
	s_and_not1_b32 vcc_lo, exec_lo, s10
	s_cbranch_vccz .LBB70_5
.LBB70_2:
	s_and_b32 vcc_lo, exec_lo, s3
	s_cbranch_vccz .LBB70_6
.LBB70_3:
	s_wait_kmcnt 0x0
	s_load_b32 s13, s[8:9], 0x0
	s_cbranch_execz .LBB70_7
	s_branch .LBB70_8
.LBB70_4:
	s_load_b32 s12, s[4:5], 0x0
	s_load_b64 s[8:9], s[0:1], 0x50
	s_cbranch_execnz .LBB70_2
.LBB70_5:
	s_wait_kmcnt 0x0
	s_mov_b32 s12, s4
	s_and_b32 vcc_lo, exec_lo, s3
	s_cbranch_vccnz .LBB70_3
.LBB70_6:
                                        ; implicit-def: $sgpr13
.LBB70_7:
	s_wait_kmcnt 0x0
	s_mov_b32 s13, s8
.LBB70_8:
	s_wait_kmcnt 0x0
	s_cmp_lg_u32 s12, 0
	s_mov_b32 s8, 0
	s_cselect_b32 s3, -1, 0
	s_cmp_lg_u32 s13, 1
	s_cselect_b32 s4, -1, 0
	s_delay_alu instid0(SALU_CYCLE_1) | instskip(NEXT) | instid1(SALU_CYCLE_1)
	s_or_b32 s3, s3, s4
	s_and_not1_b32 vcc_lo, exec_lo, s3
	s_cbranch_vccnz .LBB70_14
; %bb.9:
	s_load_b64 s[4:5], s[0:1], 0x20
	v_lshrrev_b32_e32 v1, 2, v0
	v_mov_b32_e32 v7, 0
	s_delay_alu instid0(VALU_DEP_2)
	v_lshl_or_b32 v6, ttmp9, 6, v1
	s_wait_kmcnt 0x0
	s_cmp_lg_u64 s[4:5], 0
	s_cbranch_scc0 .LBB70_15
; %bb.10:
	s_delay_alu instid0(VALU_DEP_1) | instskip(SKIP_2) | instid1(SALU_CYCLE_1)
	v_cmp_gt_i64_e32 vcc_lo, s[6:7], v[6:7]
	s_mov_b32 s6, 0
                                        ; implicit-def: $vgpr2_vgpr3
                                        ; implicit-def: $vgpr4_vgpr5
	s_and_saveexec_b32 s3, vcc_lo
	s_xor_b32 s7, exec_lo, s3
	s_cbranch_execz .LBB70_12
; %bb.11:
	v_lshlrev_b64_e32 v[1:2], 3, v[6:7]
	s_mov_b32 s3, 0
	s_mov_b32 s8, exec_lo
	v_dual_mov_b32 v5, s3 :: v_dual_mov_b32 v4, s2
	s_delay_alu instid0(VALU_DEP_2) | instskip(NEXT) | instid1(VALU_DEP_1)
	v_add_co_u32 v1, vcc_lo, s4, v1
	v_add_co_ci_u32_e64 v2, null, s5, v2, vcc_lo
	global_load_b64 v[2:3], v[1:2], off
	s_wait_loadcnt 0x0
	v_sub_co_u32 v2, vcc_lo, v2, s2
	s_wait_alu 0xfffd
	v_subrev_co_ci_u32_e64 v3, null, 0, v3, vcc_lo
.LBB70_12:
	s_wait_alu 0xfffe
	s_or_b32 exec_lo, exec_lo, s7
	s_delay_alu instid0(SALU_CYCLE_1)
	s_and_b32 vcc_lo, exec_lo, s6
	s_wait_alu 0xfffe
	s_cbranch_vccnz .LBB70_16
.LBB70_13:
	s_and_saveexec_b32 s2, s8
	s_cbranch_execnz .LBB70_19
.LBB70_14:
	s_endpgm
.LBB70_15:
                                        ; implicit-def: $vgpr2_vgpr3
                                        ; implicit-def: $vgpr4_vgpr5
	s_cbranch_execz .LBB70_13
.LBB70_16:
	s_load_b64 s[4:5], s[0:1], 0x0
	s_wait_kmcnt 0x0
	v_cmp_gt_i64_e32 vcc_lo, s[4:5], v[6:7]
	s_and_saveexec_b32 s4, vcc_lo
; %bb.17:
	s_mov_b32 s3, 0
	s_or_b32 s8, s8, exec_lo
; %bb.18:
	s_wait_alu 0xfffe
	s_or_b32 exec_lo, exec_lo, s4
	v_dual_mov_b32 v5, s3 :: v_dual_mov_b32 v4, s2
	v_dual_mov_b32 v2, v6 :: v_dual_mov_b32 v3, v7
	s_and_saveexec_b32 s2, s8
	s_cbranch_execz .LBB70_14
.LBB70_19:
	s_load_b256 s[4:11], s[0:1], 0x28
	s_delay_alu instid0(VALU_DEP_1) | instskip(SKIP_2) | instid1(VALU_DEP_2)
	v_lshlrev_b64_e32 v[6:7], 3, v[2:3]
	v_dual_mov_b32 v17, 0 :: v_dual_and_b32 v16, 3, v0
	s_wait_kmcnt 0x0
	v_add_co_u32 v8, vcc_lo, s4, v6
	s_wait_alu 0xfffd
	s_delay_alu instid0(VALU_DEP_3)
	v_add_co_ci_u32_e64 v9, null, s5, v7, vcc_lo
	v_add_co_u32 v1, vcc_lo, s6, v6
	s_wait_alu 0xfffd
	v_add_co_ci_u32_e64 v6, null, s7, v7, vcc_lo
	global_load_b64 v[10:11], v[8:9], off
	v_add_co_u32 v8, vcc_lo, v8, 8
	s_wait_alu 0xfffd
	v_add_co_ci_u32_e64 v7, null, 0, v9, vcc_lo
	s_cmp_eq_u64 s[6:7], 0
	s_cselect_b32 vcc_lo, -1, 0
	s_wait_alu 0xfffe
	v_dual_cndmask_b32 v7, v6, v7 :: v_dual_cndmask_b32 v6, v1, v8
	global_load_b64 v[8:9], v[6:7], off
	s_clause 0x1
	s_load_b32 s3, s[0:1], 0x8
	s_load_b64 s[4:5], s[0:1], 0x48
	s_wait_kmcnt 0x0
	s_cmp_eq_u32 s3, 1
	s_wait_loadcnt 0x1
	v_sub_co_u32 v0, vcc_lo, v10, v4
	s_wait_alu 0xfffd
	v_sub_co_ci_u32_e64 v1, null, v11, v5, vcc_lo
	s_delay_alu instid0(VALU_DEP_2) | instskip(SKIP_1) | instid1(VALU_DEP_2)
	v_add_co_u32 v0, vcc_lo, v0, v16
	s_wait_alu 0xfffd
	v_add_co_ci_u32_e64 v1, null, 0, v1, vcc_lo
	s_delay_alu instid0(VALU_DEP_2) | instskip(SKIP_1) | instid1(VALU_DEP_1)
	v_mad_co_u64_u32 v[6:7], null, v0, 9, s[10:11]
	s_wait_loadcnt 0x0
	v_mad_co_u64_u32 v[10:11], null, v1, 9, v[7:8]
	v_sub_co_u32 v8, vcc_lo, v8, v4
	s_wait_alu 0xfffd
	v_sub_co_ci_u32_e64 v9, null, v9, v5, vcc_lo
	s_delay_alu instid0(VALU_DEP_3) | instskip(NEXT) | instid1(VALU_DEP_2)
	v_mov_b32_e32 v7, v10
	v_cmp_lt_i64_e64 s2, v[0:1], v[8:9]
	s_cbranch_scc1 .LBB70_25
; %bb.20:
	v_dual_mov_b32 v18, 0 :: v_dual_mov_b32 v19, 0
	s_and_saveexec_b32 s6, s2
	s_cbranch_execz .LBB70_24
; %bb.21:
	v_lshlrev_b64_e32 v[10:11], 3, v[0:1]
	v_mov_b32_e32 v13, v7
	v_mov_b32_e32 v15, v1
	v_dual_mov_b32 v19, 0 :: v_dual_mov_b32 v18, 0
	v_dual_mov_b32 v17, 0 :: v_dual_mov_b32 v12, v6
	v_add_co_u32 v10, vcc_lo, s8, v10
	s_wait_alu 0xfffd
	v_add_co_ci_u32_e64 v11, null, s9, v11, vcc_lo
	v_mov_b32_e32 v14, v0
	s_mov_b32 s7, 0
.LBB70_22:                              ; =>This Inner Loop Header: Depth=1
	global_load_b64 v[20:21], v[10:11], off
	s_wait_loadcnt 0x0
	v_sub_co_u32 v20, vcc_lo, v20, v4
	s_wait_alu 0xfffd
	v_sub_co_ci_u32_e64 v22, null, v21, v5, vcc_lo
	s_delay_alu instid0(VALU_DEP_2) | instskip(NEXT) | instid1(VALU_DEP_1)
	v_mad_co_u64_u32 v[20:21], null, v20, 3, s[4:5]
	v_mad_co_u64_u32 v[21:22], null, v22, 3, v[21:22]
	s_clause 0x1
	global_load_b64 v[22:23], v[12:13], off
	global_load_i8 v24, v[12:13], off offset:8
	s_clause 0x1
	global_load_u16 v25, v[20:21], off
	global_load_i8 v20, v[20:21], off offset:2
	v_add_co_u32 v12, vcc_lo, v12, 36
	s_wait_alu 0xfffd
	v_add_co_ci_u32_e64 v13, null, 0, v13, vcc_lo
	v_add_co_u32 v14, vcc_lo, v14, 4
	s_wait_alu 0xfffd
	v_add_co_ci_u32_e64 v15, null, 0, v15, vcc_lo
	;; [unrolled: 3-line block ×3, first 2 shown]
	s_delay_alu instid0(VALU_DEP_3)
	v_cmp_ge_i64_e64 s3, v[14:15], v[8:9]
	s_wait_alu 0xfffe
	s_or_b32 s7, s3, s7
	s_wait_loadcnt 0x3
	v_lshrrev_b32_e32 v21, 8, v22
	v_lshrrev_b32_e32 v26, 16, v22
	s_wait_loadcnt 0x1
	v_lshrrev_b32_e32 v27, 8, v25
	v_bfe_i32 v28, v25, 0, 8
	v_bfe_i32 v21, v21, 0, 8
	;; [unrolled: 1-line block ×3, first 2 shown]
	s_delay_alu instid0(VALU_DEP_4) | instskip(NEXT) | instid1(VALU_DEP_2)
	v_bfe_i32 v27, v27, 0, 8
	v_perm_b32 v21, v26, v21, 0x5040100
	s_wait_loadcnt 0x0
	s_delay_alu instid0(VALU_DEP_2)
	v_perm_b32 v26, v20, v27, 0x5040100
	v_bfe_i32 v27, v22, 0, 8
	v_perm_b32 v22, v23, v22, 0xc050403
	v_perm_b32 v23, v24, v23, 0xc040302
	v_perm_b32 v20, v20, v25, 0xc040100
	v_pk_mul_lo_u16 v21, v26, v21
	v_mad_i32_i24 v19, v28, v27, v19
	s_delay_alu instid0(VALU_DEP_3) | instskip(NEXT) | instid1(VALU_DEP_3)
	v_dot4_i32_iu8 v18, v20, v22, v18 neg_lo:[1,1,0]
	v_bfe_i32 v24, v21, 0, 16
	v_ashrrev_i32_e32 v21, 16, v21
	v_dot4_i32_iu8 v17, v20, v23, v17 neg_lo:[1,1,0]
	s_delay_alu instid0(VALU_DEP_2)
	v_add3_u32 v19, v19, v24, v21
	s_wait_alu 0xfffe
	s_and_not1_b32 exec_lo, exec_lo, s7
	s_cbranch_execnz .LBB70_22
; %bb.23:
	s_or_b32 exec_lo, exec_lo, s7
.LBB70_24:
	s_wait_alu 0xfffe
	s_or_b32 exec_lo, exec_lo, s6
	s_cbranch_execz .LBB70_26
	s_branch .LBB70_31
.LBB70_25:
                                        ; implicit-def: $vgpr17
                                        ; implicit-def: $vgpr18
                                        ; implicit-def: $vgpr19
.LBB70_26:
	v_dual_mov_b32 v17, 0 :: v_dual_mov_b32 v18, 0
	v_mov_b32_e32 v19, 0
	s_and_saveexec_b32 s3, s2
	s_cbranch_execz .LBB70_30
; %bb.27:
	v_lshlrev_b64_e32 v[10:11], 3, v[0:1]
	v_dual_mov_b32 v19, 0 :: v_dual_mov_b32 v18, 0
	v_mov_b32_e32 v17, 0
	s_mov_b32 s6, 0
	s_delay_alu instid0(VALU_DEP_3)
	v_add_co_u32 v10, vcc_lo, s8, v10
	s_wait_alu 0xfffd
	v_add_co_ci_u32_e64 v11, null, s9, v11, vcc_lo
.LBB70_28:                              ; =>This Inner Loop Header: Depth=1
	global_load_b64 v[12:13], v[10:11], off
	s_wait_loadcnt 0x0
	v_sub_co_u32 v12, vcc_lo, v12, v4
	s_wait_alu 0xfffd
	v_sub_co_ci_u32_e64 v14, null, v13, v5, vcc_lo
	v_add_co_u32 v0, vcc_lo, v0, 4
	s_delay_alu instid0(VALU_DEP_3) | instskip(SKIP_2) | instid1(VALU_DEP_1)
	v_mad_co_u64_u32 v[12:13], null, v12, 3, s[4:5]
	s_wait_alu 0xfffd
	v_add_co_ci_u32_e64 v1, null, 0, v1, vcc_lo
	v_cmp_ge_i64_e64 s2, v[0:1], v[8:9]
	s_delay_alu instid0(VALU_DEP_3)
	v_mad_co_u64_u32 v[13:14], null, v14, 3, v[13:14]
	s_clause 0x1
	global_load_i8 v20, v[6:7], off offset:8
	global_load_b64 v[14:15], v[6:7], off
	s_clause 0x1
	global_load_u16 v21, v[12:13], off
	global_load_i8 v12, v[12:13], off offset:2
	v_add_co_u32 v6, vcc_lo, v6, 36
	s_wait_alu 0xfffd
	v_add_co_ci_u32_e64 v7, null, 0, v7, vcc_lo
	v_add_co_u32 v10, vcc_lo, v10, 32
	s_wait_alu 0xfffd
	v_add_co_ci_u32_e64 v11, null, 0, v11, vcc_lo
	s_wait_alu 0xfffe
	s_or_b32 s6, s2, s6
	s_wait_loadcnt 0x2
	v_perm_b32 v13, v20, v15, 0xc04010c
	v_perm_b32 v20, v14, v14, 0xc0c0c02
	v_bfe_i32 v22, v14, 0, 8
	s_wait_loadcnt 0x1
	v_bfe_i32 v24, v21, 0, 8
	v_perm_b32 v23, v15, v14, 0xc0c0603
	v_perm_b32 v14, v15, v14, 0xc070401
	v_or_b32_e32 v13, v13, v20
	s_wait_loadcnt 0x0
	v_perm_b32 v15, v12, v21, 0xc040100
	v_perm_b32 v12, v12, v21, 0xc0c0401
	v_mad_i32_i24 v19, v24, v22, v19
	s_delay_alu instid0(VALU_DEP_3) | instskip(SKIP_1) | instid1(VALU_DEP_3)
	v_dot4_i32_iu8 v18, v15, v14, v18 neg_lo:[1,1,0]
	v_dot4_i32_iu8 v17, v15, v13, v17 neg_lo:[1,1,0]
	v_dot4_i32_iu8 v19, v12, v23, v19 neg_lo:[1,1,0]
	s_wait_alu 0xfffe
	s_and_not1_b32 exec_lo, exec_lo, s6
	s_cbranch_execnz .LBB70_28
; %bb.29:
	s_or_b32 exec_lo, exec_lo, s6
.LBB70_30:
	s_wait_alu 0xfffe
	s_or_b32 exec_lo, exec_lo, s3
.LBB70_31:
	v_mbcnt_lo_u32_b32 v0, -1, 0
	s_mov_b32 s2, -1
	s_delay_alu instid0(VALU_DEP_1) | instskip(NEXT) | instid1(VALU_DEP_1)
	v_xor_b32_e32 v1, 2, v0
	v_cmp_gt_i32_e32 vcc_lo, 32, v1
	s_wait_alu 0xfffd
	v_cndmask_b32_e32 v1, v0, v1, vcc_lo
	s_delay_alu instid0(VALU_DEP_1) | instskip(SKIP_4) | instid1(VALU_DEP_1)
	v_lshlrev_b32_e32 v1, 2, v1
	ds_bpermute_b32 v4, v1, v19
	ds_bpermute_b32 v5, v1, v18
	ds_bpermute_b32 v6, v1, v17
	v_xor_b32_e32 v1, 1, v0
	v_cmp_gt_i32_e32 vcc_lo, 32, v1
	s_wait_alu 0xfffd
	v_cndmask_b32_e32 v0, v0, v1, vcc_lo
	v_cmp_eq_u32_e32 vcc_lo, 3, v16
	s_wait_dscnt 0x1
	v_add_nc_u32_e32 v1, v5, v18
	s_delay_alu instid0(VALU_DEP_3)
	v_lshlrev_b32_e32 v7, 2, v0
	v_add_nc_u32_e32 v0, v4, v19
	s_wait_dscnt 0x0
	v_add_nc_u32_e32 v4, v6, v17
	ds_bpermute_b32 v6, v7, v1
	ds_bpermute_b32 v5, v7, v0
	;; [unrolled: 1-line block ×3, first 2 shown]
	s_and_b32 exec_lo, exec_lo, vcc_lo
	s_cbranch_execz .LBB70_14
; %bb.32:
	s_load_b64 s[0:1], s[0:1], 0x58
	s_wait_dscnt 0x1
	v_add_nc_u32_e32 v0, v5, v0
	v_add_nc_u32_e32 v1, v6, v1
	s_wait_dscnt 0x0
	v_add_nc_u32_e32 v4, v7, v4
	s_cmp_eq_u32 s13, 0
	v_mul_lo_u32 v0, v0, s12
	v_mul_lo_u32 v1, v1, s12
	s_delay_alu instid0(VALU_DEP_3)
	v_mul_lo_u32 v4, v4, s12
	s_cbranch_scc1 .LBB70_34
; %bb.33:
	s_wait_kmcnt 0x0
	v_mad_co_u64_u32 v[10:11], null, v2, 12, s[0:1]
	s_mov_b32 s2, 0
	v_mov_b32_e32 v5, v11
	s_delay_alu instid0(VALU_DEP_1) | instskip(NEXT) | instid1(VALU_DEP_1)
	v_mad_co_u64_u32 v[5:6], null, v3, 12, v[5:6]
	v_mov_b32_e32 v11, v5
	global_load_b96 v[5:7], v[10:11], off
	s_wait_loadcnt 0x0
	v_mad_co_u64_u32 v[12:13], null, v7, s13, v[4:5]
	v_mad_co_u64_u32 v[7:8], null, v5, s13, v[0:1]
	;; [unrolled: 1-line block ×3, first 2 shown]
	s_delay_alu instid0(VALU_DEP_3)
	v_mov_b32_e32 v9, v12
	global_store_b96 v[10:11], v[7:9], off
.LBB70_34:
	s_wait_alu 0xfffe
	s_and_not1_b32 vcc_lo, exec_lo, s2
	s_wait_alu 0xfffe
	s_cbranch_vccnz .LBB70_14
; %bb.35:
	s_wait_kmcnt 0x0
	v_mad_co_u64_u32 v[5:6], null, v2, 12, s[0:1]
	s_delay_alu instid0(VALU_DEP_1) | instskip(NEXT) | instid1(VALU_DEP_1)
	v_mov_b32_e32 v2, v6
	v_mad_co_u64_u32 v[2:3], null, v3, 12, v[2:3]
	s_delay_alu instid0(VALU_DEP_1)
	v_mov_b32_e32 v6, v2
	v_mov_b32_e32 v2, v4
	global_store_b96 v[5:6], v[0:2], off
	s_endpgm
	.section	.rodata,"a",@progbits
	.p2align	6, 0x0
	.amdhsa_kernel _ZN9rocsparseL18bsrxmvn_3x3_kernelILj256ELj4EillaaiEEvT3_20rocsparse_direction_NS_24const_host_device_scalarIT1_EES1_PKS1_PKT2_SA_S7_PKT4_PKT5_S5_PT6_21rocsparse_index_base_b
		.amdhsa_group_segment_fixed_size 0
		.amdhsa_private_segment_fixed_size 0
		.amdhsa_kernarg_size 104
		.amdhsa_user_sgpr_count 2
		.amdhsa_user_sgpr_dispatch_ptr 0
		.amdhsa_user_sgpr_queue_ptr 0
		.amdhsa_user_sgpr_kernarg_segment_ptr 1
		.amdhsa_user_sgpr_dispatch_id 0
		.amdhsa_user_sgpr_private_segment_size 0
		.amdhsa_wavefront_size32 1
		.amdhsa_uses_dynamic_stack 0
		.amdhsa_enable_private_segment 0
		.amdhsa_system_sgpr_workgroup_id_x 1
		.amdhsa_system_sgpr_workgroup_id_y 0
		.amdhsa_system_sgpr_workgroup_id_z 0
		.amdhsa_system_sgpr_workgroup_info 0
		.amdhsa_system_vgpr_workitem_id 0
		.amdhsa_next_free_vgpr 29
		.amdhsa_next_free_sgpr 14
		.amdhsa_reserve_vcc 1
		.amdhsa_float_round_mode_32 0
		.amdhsa_float_round_mode_16_64 0
		.amdhsa_float_denorm_mode_32 3
		.amdhsa_float_denorm_mode_16_64 3
		.amdhsa_fp16_overflow 0
		.amdhsa_workgroup_processor_mode 1
		.amdhsa_memory_ordered 1
		.amdhsa_forward_progress 1
		.amdhsa_inst_pref_size 16
		.amdhsa_round_robin_scheduling 0
		.amdhsa_exception_fp_ieee_invalid_op 0
		.amdhsa_exception_fp_denorm_src 0
		.amdhsa_exception_fp_ieee_div_zero 0
		.amdhsa_exception_fp_ieee_overflow 0
		.amdhsa_exception_fp_ieee_underflow 0
		.amdhsa_exception_fp_ieee_inexact 0
		.amdhsa_exception_int_div_zero 0
	.end_amdhsa_kernel
	.section	.text._ZN9rocsparseL18bsrxmvn_3x3_kernelILj256ELj4EillaaiEEvT3_20rocsparse_direction_NS_24const_host_device_scalarIT1_EES1_PKS1_PKT2_SA_S7_PKT4_PKT5_S5_PT6_21rocsparse_index_base_b,"axG",@progbits,_ZN9rocsparseL18bsrxmvn_3x3_kernelILj256ELj4EillaaiEEvT3_20rocsparse_direction_NS_24const_host_device_scalarIT1_EES1_PKS1_PKT2_SA_S7_PKT4_PKT5_S5_PT6_21rocsparse_index_base_b,comdat
.Lfunc_end70:
	.size	_ZN9rocsparseL18bsrxmvn_3x3_kernelILj256ELj4EillaaiEEvT3_20rocsparse_direction_NS_24const_host_device_scalarIT1_EES1_PKS1_PKT2_SA_S7_PKT4_PKT5_S5_PT6_21rocsparse_index_base_b, .Lfunc_end70-_ZN9rocsparseL18bsrxmvn_3x3_kernelILj256ELj4EillaaiEEvT3_20rocsparse_direction_NS_24const_host_device_scalarIT1_EES1_PKS1_PKT2_SA_S7_PKT4_PKT5_S5_PT6_21rocsparse_index_base_b
                                        ; -- End function
	.set _ZN9rocsparseL18bsrxmvn_3x3_kernelILj256ELj4EillaaiEEvT3_20rocsparse_direction_NS_24const_host_device_scalarIT1_EES1_PKS1_PKT2_SA_S7_PKT4_PKT5_S5_PT6_21rocsparse_index_base_b.num_vgpr, 29
	.set _ZN9rocsparseL18bsrxmvn_3x3_kernelILj256ELj4EillaaiEEvT3_20rocsparse_direction_NS_24const_host_device_scalarIT1_EES1_PKS1_PKT2_SA_S7_PKT4_PKT5_S5_PT6_21rocsparse_index_base_b.num_agpr, 0
	.set _ZN9rocsparseL18bsrxmvn_3x3_kernelILj256ELj4EillaaiEEvT3_20rocsparse_direction_NS_24const_host_device_scalarIT1_EES1_PKS1_PKT2_SA_S7_PKT4_PKT5_S5_PT6_21rocsparse_index_base_b.numbered_sgpr, 14
	.set _ZN9rocsparseL18bsrxmvn_3x3_kernelILj256ELj4EillaaiEEvT3_20rocsparse_direction_NS_24const_host_device_scalarIT1_EES1_PKS1_PKT2_SA_S7_PKT4_PKT5_S5_PT6_21rocsparse_index_base_b.num_named_barrier, 0
	.set _ZN9rocsparseL18bsrxmvn_3x3_kernelILj256ELj4EillaaiEEvT3_20rocsparse_direction_NS_24const_host_device_scalarIT1_EES1_PKS1_PKT2_SA_S7_PKT4_PKT5_S5_PT6_21rocsparse_index_base_b.private_seg_size, 0
	.set _ZN9rocsparseL18bsrxmvn_3x3_kernelILj256ELj4EillaaiEEvT3_20rocsparse_direction_NS_24const_host_device_scalarIT1_EES1_PKS1_PKT2_SA_S7_PKT4_PKT5_S5_PT6_21rocsparse_index_base_b.uses_vcc, 1
	.set _ZN9rocsparseL18bsrxmvn_3x3_kernelILj256ELj4EillaaiEEvT3_20rocsparse_direction_NS_24const_host_device_scalarIT1_EES1_PKS1_PKT2_SA_S7_PKT4_PKT5_S5_PT6_21rocsparse_index_base_b.uses_flat_scratch, 0
	.set _ZN9rocsparseL18bsrxmvn_3x3_kernelILj256ELj4EillaaiEEvT3_20rocsparse_direction_NS_24const_host_device_scalarIT1_EES1_PKS1_PKT2_SA_S7_PKT4_PKT5_S5_PT6_21rocsparse_index_base_b.has_dyn_sized_stack, 0
	.set _ZN9rocsparseL18bsrxmvn_3x3_kernelILj256ELj4EillaaiEEvT3_20rocsparse_direction_NS_24const_host_device_scalarIT1_EES1_PKS1_PKT2_SA_S7_PKT4_PKT5_S5_PT6_21rocsparse_index_base_b.has_recursion, 0
	.set _ZN9rocsparseL18bsrxmvn_3x3_kernelILj256ELj4EillaaiEEvT3_20rocsparse_direction_NS_24const_host_device_scalarIT1_EES1_PKS1_PKT2_SA_S7_PKT4_PKT5_S5_PT6_21rocsparse_index_base_b.has_indirect_call, 0
	.section	.AMDGPU.csdata,"",@progbits
; Kernel info:
; codeLenInByte = 1980
; TotalNumSgprs: 16
; NumVgprs: 29
; ScratchSize: 0
; MemoryBound: 0
; FloatMode: 240
; IeeeMode: 1
; LDSByteSize: 0 bytes/workgroup (compile time only)
; SGPRBlocks: 0
; VGPRBlocks: 3
; NumSGPRsForWavesPerEU: 16
; NumVGPRsForWavesPerEU: 29
; Occupancy: 16
; WaveLimiterHint : 1
; COMPUTE_PGM_RSRC2:SCRATCH_EN: 0
; COMPUTE_PGM_RSRC2:USER_SGPR: 2
; COMPUTE_PGM_RSRC2:TRAP_HANDLER: 0
; COMPUTE_PGM_RSRC2:TGID_X_EN: 1
; COMPUTE_PGM_RSRC2:TGID_Y_EN: 0
; COMPUTE_PGM_RSRC2:TGID_Z_EN: 0
; COMPUTE_PGM_RSRC2:TIDIG_COMP_CNT: 0
	.section	.text._ZN9rocsparseL18bsrxmvn_3x3_kernelILj256ELj8EillaaiEEvT3_20rocsparse_direction_NS_24const_host_device_scalarIT1_EES1_PKS1_PKT2_SA_S7_PKT4_PKT5_S5_PT6_21rocsparse_index_base_b,"axG",@progbits,_ZN9rocsparseL18bsrxmvn_3x3_kernelILj256ELj8EillaaiEEvT3_20rocsparse_direction_NS_24const_host_device_scalarIT1_EES1_PKS1_PKT2_SA_S7_PKT4_PKT5_S5_PT6_21rocsparse_index_base_b,comdat
	.globl	_ZN9rocsparseL18bsrxmvn_3x3_kernelILj256ELj8EillaaiEEvT3_20rocsparse_direction_NS_24const_host_device_scalarIT1_EES1_PKS1_PKT2_SA_S7_PKT4_PKT5_S5_PT6_21rocsparse_index_base_b ; -- Begin function _ZN9rocsparseL18bsrxmvn_3x3_kernelILj256ELj8EillaaiEEvT3_20rocsparse_direction_NS_24const_host_device_scalarIT1_EES1_PKS1_PKT2_SA_S7_PKT4_PKT5_S5_PT6_21rocsparse_index_base_b
	.p2align	8
	.type	_ZN9rocsparseL18bsrxmvn_3x3_kernelILj256ELj8EillaaiEEvT3_20rocsparse_direction_NS_24const_host_device_scalarIT1_EES1_PKS1_PKT2_SA_S7_PKT4_PKT5_S5_PT6_21rocsparse_index_base_b,@function
_ZN9rocsparseL18bsrxmvn_3x3_kernelILj256ELj8EillaaiEEvT3_20rocsparse_direction_NS_24const_host_device_scalarIT1_EES1_PKS1_PKT2_SA_S7_PKT4_PKT5_S5_PT6_21rocsparse_index_base_b: ; @_ZN9rocsparseL18bsrxmvn_3x3_kernelILj256ELj8EillaaiEEvT3_20rocsparse_direction_NS_24const_host_device_scalarIT1_EES1_PKS1_PKT2_SA_S7_PKT4_PKT5_S5_PT6_21rocsparse_index_base_b
; %bb.0:
	s_clause 0x1
	s_load_b64 s[2:3], s[0:1], 0x60
	s_load_b128 s[4:7], s[0:1], 0x10
	s_mov_b32 s10, -1
                                        ; implicit-def: $sgpr12
	s_wait_kmcnt 0x0
	s_bitcmp1_b32 s3, 0
	s_cselect_b32 s3, -1, 0
	s_delay_alu instid0(SALU_CYCLE_1) | instskip(NEXT) | instid1(SALU_CYCLE_1)
	s_xor_b32 s3, s3, -1
	s_and_b32 vcc_lo, exec_lo, s3
	s_cbranch_vccnz .LBB71_4
; %bb.1:
	s_load_b64 s[8:9], s[0:1], 0x50
	s_and_not1_b32 vcc_lo, exec_lo, s10
	s_cbranch_vccz .LBB71_5
.LBB71_2:
	s_and_b32 vcc_lo, exec_lo, s3
	s_cbranch_vccz .LBB71_6
.LBB71_3:
	s_wait_kmcnt 0x0
	s_load_b32 s13, s[8:9], 0x0
	s_cbranch_execz .LBB71_7
	s_branch .LBB71_8
.LBB71_4:
	s_load_b32 s12, s[4:5], 0x0
	s_load_b64 s[8:9], s[0:1], 0x50
	s_cbranch_execnz .LBB71_2
.LBB71_5:
	s_wait_kmcnt 0x0
	s_mov_b32 s12, s4
	s_and_b32 vcc_lo, exec_lo, s3
	s_cbranch_vccnz .LBB71_3
.LBB71_6:
                                        ; implicit-def: $sgpr13
.LBB71_7:
	s_wait_kmcnt 0x0
	s_mov_b32 s13, s8
.LBB71_8:
	s_wait_kmcnt 0x0
	s_cmp_lg_u32 s12, 0
	s_mov_b32 s8, 0
	s_cselect_b32 s3, -1, 0
	s_cmp_lg_u32 s13, 1
	s_cselect_b32 s4, -1, 0
	s_delay_alu instid0(SALU_CYCLE_1) | instskip(NEXT) | instid1(SALU_CYCLE_1)
	s_or_b32 s3, s3, s4
	s_and_not1_b32 vcc_lo, exec_lo, s3
	s_cbranch_vccnz .LBB71_14
; %bb.9:
	s_load_b64 s[4:5], s[0:1], 0x20
	v_lshrrev_b32_e32 v1, 3, v0
	v_mov_b32_e32 v7, 0
	s_delay_alu instid0(VALU_DEP_2)
	v_lshl_or_b32 v6, ttmp9, 5, v1
	s_wait_kmcnt 0x0
	s_cmp_lg_u64 s[4:5], 0
	s_cbranch_scc0 .LBB71_15
; %bb.10:
	s_delay_alu instid0(VALU_DEP_1) | instskip(SKIP_2) | instid1(SALU_CYCLE_1)
	v_cmp_gt_i64_e32 vcc_lo, s[6:7], v[6:7]
	s_mov_b32 s6, 0
                                        ; implicit-def: $vgpr2_vgpr3
                                        ; implicit-def: $vgpr4_vgpr5
	s_and_saveexec_b32 s3, vcc_lo
	s_xor_b32 s7, exec_lo, s3
	s_cbranch_execz .LBB71_12
; %bb.11:
	v_lshlrev_b64_e32 v[1:2], 3, v[6:7]
	s_mov_b32 s3, 0
	s_mov_b32 s8, exec_lo
	v_dual_mov_b32 v5, s3 :: v_dual_mov_b32 v4, s2
	s_delay_alu instid0(VALU_DEP_2) | instskip(NEXT) | instid1(VALU_DEP_1)
	v_add_co_u32 v1, vcc_lo, s4, v1
	v_add_co_ci_u32_e64 v2, null, s5, v2, vcc_lo
	global_load_b64 v[2:3], v[1:2], off
	s_wait_loadcnt 0x0
	v_sub_co_u32 v2, vcc_lo, v2, s2
	s_wait_alu 0xfffd
	v_subrev_co_ci_u32_e64 v3, null, 0, v3, vcc_lo
.LBB71_12:
	s_wait_alu 0xfffe
	s_or_b32 exec_lo, exec_lo, s7
	s_delay_alu instid0(SALU_CYCLE_1)
	s_and_b32 vcc_lo, exec_lo, s6
	s_wait_alu 0xfffe
	s_cbranch_vccnz .LBB71_16
.LBB71_13:
	s_and_saveexec_b32 s2, s8
	s_cbranch_execnz .LBB71_19
.LBB71_14:
	s_endpgm
.LBB71_15:
                                        ; implicit-def: $vgpr2_vgpr3
                                        ; implicit-def: $vgpr4_vgpr5
	s_cbranch_execz .LBB71_13
.LBB71_16:
	s_load_b64 s[4:5], s[0:1], 0x0
	s_wait_kmcnt 0x0
	v_cmp_gt_i64_e32 vcc_lo, s[4:5], v[6:7]
	s_and_saveexec_b32 s4, vcc_lo
; %bb.17:
	s_mov_b32 s3, 0
	s_or_b32 s8, s8, exec_lo
; %bb.18:
	s_wait_alu 0xfffe
	s_or_b32 exec_lo, exec_lo, s4
	v_dual_mov_b32 v5, s3 :: v_dual_mov_b32 v4, s2
	v_dual_mov_b32 v2, v6 :: v_dual_mov_b32 v3, v7
	s_and_saveexec_b32 s2, s8
	s_cbranch_execz .LBB71_14
.LBB71_19:
	s_load_b256 s[4:11], s[0:1], 0x28
	s_delay_alu instid0(VALU_DEP_1) | instskip(SKIP_2) | instid1(VALU_DEP_2)
	v_lshlrev_b64_e32 v[6:7], 3, v[2:3]
	v_dual_mov_b32 v17, 0 :: v_dual_and_b32 v16, 7, v0
	s_wait_kmcnt 0x0
	v_add_co_u32 v8, vcc_lo, s4, v6
	s_wait_alu 0xfffd
	s_delay_alu instid0(VALU_DEP_3)
	v_add_co_ci_u32_e64 v9, null, s5, v7, vcc_lo
	v_add_co_u32 v1, vcc_lo, s6, v6
	s_wait_alu 0xfffd
	v_add_co_ci_u32_e64 v6, null, s7, v7, vcc_lo
	global_load_b64 v[10:11], v[8:9], off
	v_add_co_u32 v8, vcc_lo, v8, 8
	s_wait_alu 0xfffd
	v_add_co_ci_u32_e64 v7, null, 0, v9, vcc_lo
	s_cmp_eq_u64 s[6:7], 0
	s_cselect_b32 vcc_lo, -1, 0
	s_wait_alu 0xfffe
	v_dual_cndmask_b32 v7, v6, v7 :: v_dual_cndmask_b32 v6, v1, v8
	global_load_b64 v[8:9], v[6:7], off
	s_clause 0x1
	s_load_b32 s3, s[0:1], 0x8
	s_load_b64 s[4:5], s[0:1], 0x48
	s_wait_kmcnt 0x0
	s_cmp_eq_u32 s3, 1
	s_wait_loadcnt 0x1
	v_sub_co_u32 v0, vcc_lo, v10, v4
	s_wait_alu 0xfffd
	v_sub_co_ci_u32_e64 v1, null, v11, v5, vcc_lo
	s_delay_alu instid0(VALU_DEP_2) | instskip(SKIP_1) | instid1(VALU_DEP_2)
	v_add_co_u32 v0, vcc_lo, v0, v16
	s_wait_alu 0xfffd
	v_add_co_ci_u32_e64 v1, null, 0, v1, vcc_lo
	s_delay_alu instid0(VALU_DEP_2) | instskip(SKIP_1) | instid1(VALU_DEP_1)
	v_mad_co_u64_u32 v[6:7], null, v0, 9, s[10:11]
	s_wait_loadcnt 0x0
	v_mad_co_u64_u32 v[10:11], null, v1, 9, v[7:8]
	v_sub_co_u32 v8, vcc_lo, v8, v4
	s_wait_alu 0xfffd
	v_sub_co_ci_u32_e64 v9, null, v9, v5, vcc_lo
	s_delay_alu instid0(VALU_DEP_3) | instskip(NEXT) | instid1(VALU_DEP_2)
	v_mov_b32_e32 v7, v10
	v_cmp_lt_i64_e64 s2, v[0:1], v[8:9]
	s_cbranch_scc1 .LBB71_25
; %bb.20:
	v_dual_mov_b32 v18, 0 :: v_dual_mov_b32 v19, 0
	s_and_saveexec_b32 s6, s2
	s_cbranch_execz .LBB71_24
; %bb.21:
	v_lshlrev_b64_e32 v[10:11], 3, v[0:1]
	v_mov_b32_e32 v13, v7
	v_mov_b32_e32 v15, v1
	v_dual_mov_b32 v19, 0 :: v_dual_mov_b32 v18, 0
	v_dual_mov_b32 v17, 0 :: v_dual_mov_b32 v12, v6
	v_add_co_u32 v10, vcc_lo, s8, v10
	s_wait_alu 0xfffd
	v_add_co_ci_u32_e64 v11, null, s9, v11, vcc_lo
	v_mov_b32_e32 v14, v0
	s_mov_b32 s7, 0
.LBB71_22:                              ; =>This Inner Loop Header: Depth=1
	global_load_b64 v[20:21], v[10:11], off
	s_wait_loadcnt 0x0
	v_sub_co_u32 v20, vcc_lo, v20, v4
	s_wait_alu 0xfffd
	v_sub_co_ci_u32_e64 v22, null, v21, v5, vcc_lo
	s_delay_alu instid0(VALU_DEP_2) | instskip(NEXT) | instid1(VALU_DEP_1)
	v_mad_co_u64_u32 v[20:21], null, v20, 3, s[4:5]
	v_mad_co_u64_u32 v[21:22], null, v22, 3, v[21:22]
	s_clause 0x1
	global_load_b64 v[22:23], v[12:13], off
	global_load_i8 v24, v[12:13], off offset:8
	s_clause 0x1
	global_load_u16 v25, v[20:21], off
	global_load_i8 v20, v[20:21], off offset:2
	v_add_co_u32 v12, vcc_lo, 0x48, v12
	s_wait_alu 0xfffd
	v_add_co_ci_u32_e64 v13, null, 0, v13, vcc_lo
	v_add_co_u32 v14, vcc_lo, v14, 8
	s_wait_alu 0xfffd
	v_add_co_ci_u32_e64 v15, null, 0, v15, vcc_lo
	;; [unrolled: 3-line block ×3, first 2 shown]
	s_delay_alu instid0(VALU_DEP_3)
	v_cmp_ge_i64_e64 s3, v[14:15], v[8:9]
	s_wait_alu 0xfffe
	s_or_b32 s7, s3, s7
	s_wait_loadcnt 0x3
	v_lshrrev_b32_e32 v21, 8, v22
	v_lshrrev_b32_e32 v26, 16, v22
	s_wait_loadcnt 0x1
	v_lshrrev_b32_e32 v27, 8, v25
	v_bfe_i32 v28, v25, 0, 8
	v_bfe_i32 v21, v21, 0, 8
	v_bfe_i32 v26, v26, 0, 8
	s_delay_alu instid0(VALU_DEP_4) | instskip(NEXT) | instid1(VALU_DEP_2)
	v_bfe_i32 v27, v27, 0, 8
	v_perm_b32 v21, v26, v21, 0x5040100
	s_wait_loadcnt 0x0
	s_delay_alu instid0(VALU_DEP_2)
	v_perm_b32 v26, v20, v27, 0x5040100
	v_bfe_i32 v27, v22, 0, 8
	v_perm_b32 v22, v23, v22, 0xc050403
	v_perm_b32 v23, v24, v23, 0xc040302
	;; [unrolled: 1-line block ×3, first 2 shown]
	v_pk_mul_lo_u16 v21, v26, v21
	v_mad_i32_i24 v19, v28, v27, v19
	s_delay_alu instid0(VALU_DEP_3) | instskip(NEXT) | instid1(VALU_DEP_3)
	v_dot4_i32_iu8 v18, v20, v22, v18 neg_lo:[1,1,0]
	v_bfe_i32 v24, v21, 0, 16
	v_ashrrev_i32_e32 v21, 16, v21
	v_dot4_i32_iu8 v17, v20, v23, v17 neg_lo:[1,1,0]
	s_delay_alu instid0(VALU_DEP_2)
	v_add3_u32 v19, v19, v24, v21
	s_wait_alu 0xfffe
	s_and_not1_b32 exec_lo, exec_lo, s7
	s_cbranch_execnz .LBB71_22
; %bb.23:
	s_or_b32 exec_lo, exec_lo, s7
.LBB71_24:
	s_wait_alu 0xfffe
	s_or_b32 exec_lo, exec_lo, s6
	s_cbranch_execz .LBB71_26
	s_branch .LBB71_31
.LBB71_25:
                                        ; implicit-def: $vgpr17
                                        ; implicit-def: $vgpr18
                                        ; implicit-def: $vgpr19
.LBB71_26:
	v_dual_mov_b32 v17, 0 :: v_dual_mov_b32 v18, 0
	v_mov_b32_e32 v19, 0
	s_and_saveexec_b32 s3, s2
	s_cbranch_execz .LBB71_30
; %bb.27:
	v_lshlrev_b64_e32 v[10:11], 3, v[0:1]
	v_dual_mov_b32 v19, 0 :: v_dual_mov_b32 v18, 0
	v_mov_b32_e32 v17, 0
	s_mov_b32 s6, 0
	s_delay_alu instid0(VALU_DEP_3)
	v_add_co_u32 v10, vcc_lo, s8, v10
	s_wait_alu 0xfffd
	v_add_co_ci_u32_e64 v11, null, s9, v11, vcc_lo
.LBB71_28:                              ; =>This Inner Loop Header: Depth=1
	global_load_b64 v[12:13], v[10:11], off
	s_wait_loadcnt 0x0
	v_sub_co_u32 v12, vcc_lo, v12, v4
	s_wait_alu 0xfffd
	v_sub_co_ci_u32_e64 v14, null, v13, v5, vcc_lo
	v_add_co_u32 v0, vcc_lo, v0, 8
	s_delay_alu instid0(VALU_DEP_3) | instskip(SKIP_2) | instid1(VALU_DEP_1)
	v_mad_co_u64_u32 v[12:13], null, v12, 3, s[4:5]
	s_wait_alu 0xfffd
	v_add_co_ci_u32_e64 v1, null, 0, v1, vcc_lo
	v_cmp_ge_i64_e64 s2, v[0:1], v[8:9]
	s_delay_alu instid0(VALU_DEP_3)
	v_mad_co_u64_u32 v[13:14], null, v14, 3, v[13:14]
	s_clause 0x1
	global_load_i8 v20, v[6:7], off offset:8
	global_load_b64 v[14:15], v[6:7], off
	s_clause 0x1
	global_load_u16 v21, v[12:13], off
	global_load_i8 v12, v[12:13], off offset:2
	v_add_co_u32 v6, vcc_lo, 0x48, v6
	s_wait_alu 0xfffd
	v_add_co_ci_u32_e64 v7, null, 0, v7, vcc_lo
	v_add_co_u32 v10, vcc_lo, v10, 64
	s_wait_alu 0xfffd
	v_add_co_ci_u32_e64 v11, null, 0, v11, vcc_lo
	s_wait_alu 0xfffe
	s_or_b32 s6, s2, s6
	s_wait_loadcnt 0x2
	v_perm_b32 v13, v20, v15, 0xc04010c
	v_perm_b32 v20, v14, v14, 0xc0c0c02
	v_bfe_i32 v22, v14, 0, 8
	s_wait_loadcnt 0x1
	v_bfe_i32 v24, v21, 0, 8
	v_perm_b32 v23, v15, v14, 0xc0c0603
	v_perm_b32 v14, v15, v14, 0xc070401
	v_or_b32_e32 v13, v13, v20
	s_wait_loadcnt 0x0
	v_perm_b32 v15, v12, v21, 0xc040100
	v_perm_b32 v12, v12, v21, 0xc0c0401
	v_mad_i32_i24 v19, v24, v22, v19
	s_delay_alu instid0(VALU_DEP_3) | instskip(SKIP_1) | instid1(VALU_DEP_3)
	v_dot4_i32_iu8 v18, v15, v14, v18 neg_lo:[1,1,0]
	v_dot4_i32_iu8 v17, v15, v13, v17 neg_lo:[1,1,0]
	;; [unrolled: 1-line block ×3, first 2 shown]
	s_wait_alu 0xfffe
	s_and_not1_b32 exec_lo, exec_lo, s6
	s_cbranch_execnz .LBB71_28
; %bb.29:
	s_or_b32 exec_lo, exec_lo, s6
.LBB71_30:
	s_wait_alu 0xfffe
	s_or_b32 exec_lo, exec_lo, s3
.LBB71_31:
	v_mbcnt_lo_u32_b32 v0, -1, 0
	s_mov_b32 s2, -1
	s_delay_alu instid0(VALU_DEP_1) | instskip(SKIP_2) | instid1(VALU_DEP_3)
	v_xor_b32_e32 v1, 4, v0
	v_xor_b32_e32 v6, 2, v0
	;; [unrolled: 1-line block ×3, first 2 shown]
	v_cmp_gt_i32_e32 vcc_lo, 32, v1
	s_wait_alu 0xfffd
	v_cndmask_b32_e32 v1, v0, v1, vcc_lo
	v_cmp_gt_i32_e32 vcc_lo, 32, v6
	s_wait_alu 0xfffd
	v_cndmask_b32_e32 v6, v0, v6, vcc_lo
	v_cmp_gt_i32_e32 vcc_lo, 32, v9
	s_delay_alu instid0(VALU_DEP_2)
	v_lshlrev_b32_e32 v6, 2, v6
	v_lshlrev_b32_e32 v1, 2, v1
	s_wait_alu 0xfffd
	v_cndmask_b32_e32 v0, v0, v9, vcc_lo
	v_cmp_eq_u32_e32 vcc_lo, 7, v16
	ds_bpermute_b32 v4, v1, v19
	ds_bpermute_b32 v5, v1, v18
	;; [unrolled: 1-line block ×3, first 2 shown]
	v_lshlrev_b32_e32 v9, 2, v0
	s_wait_dscnt 0x2
	v_add_nc_u32_e32 v4, v4, v19
	s_wait_dscnt 0x1
	v_add_nc_u32_e32 v5, v5, v18
	;; [unrolled: 2-line block ×3, first 2 shown]
	ds_bpermute_b32 v1, v6, v4
	ds_bpermute_b32 v8, v6, v5
	ds_bpermute_b32 v6, v6, v7
	s_wait_dscnt 0x2
	v_add_nc_u32_e32 v0, v1, v4
	s_wait_dscnt 0x1
	v_add_nc_u32_e32 v1, v8, v5
	;; [unrolled: 2-line block ×3, first 2 shown]
	ds_bpermute_b32 v5, v9, v0
	ds_bpermute_b32 v6, v9, v1
	;; [unrolled: 1-line block ×3, first 2 shown]
	s_and_b32 exec_lo, exec_lo, vcc_lo
	s_cbranch_execz .LBB71_14
; %bb.32:
	s_load_b64 s[0:1], s[0:1], 0x58
	s_wait_dscnt 0x2
	v_add_nc_u32_e32 v0, v5, v0
	s_wait_dscnt 0x1
	v_add_nc_u32_e32 v1, v6, v1
	;; [unrolled: 2-line block ×3, first 2 shown]
	s_cmp_eq_u32 s13, 0
	v_mul_lo_u32 v0, v0, s12
	v_mul_lo_u32 v1, v1, s12
	s_delay_alu instid0(VALU_DEP_3)
	v_mul_lo_u32 v4, v4, s12
	s_cbranch_scc1 .LBB71_34
; %bb.33:
	s_wait_kmcnt 0x0
	v_mad_co_u64_u32 v[10:11], null, v2, 12, s[0:1]
	s_mov_b32 s2, 0
	v_mov_b32_e32 v5, v11
	s_delay_alu instid0(VALU_DEP_1) | instskip(NEXT) | instid1(VALU_DEP_1)
	v_mad_co_u64_u32 v[5:6], null, v3, 12, v[5:6]
	v_mov_b32_e32 v11, v5
	global_load_b96 v[5:7], v[10:11], off
	s_wait_loadcnt 0x0
	v_mad_co_u64_u32 v[12:13], null, v7, s13, v[4:5]
	v_mad_co_u64_u32 v[7:8], null, v5, s13, v[0:1]
	;; [unrolled: 1-line block ×3, first 2 shown]
	s_delay_alu instid0(VALU_DEP_3)
	v_mov_b32_e32 v9, v12
	global_store_b96 v[10:11], v[7:9], off
.LBB71_34:
	s_wait_alu 0xfffe
	s_and_not1_b32 vcc_lo, exec_lo, s2
	s_wait_alu 0xfffe
	s_cbranch_vccnz .LBB71_14
; %bb.35:
	s_wait_kmcnt 0x0
	v_mad_co_u64_u32 v[5:6], null, v2, 12, s[0:1]
	s_delay_alu instid0(VALU_DEP_1) | instskip(NEXT) | instid1(VALU_DEP_1)
	v_mov_b32_e32 v2, v6
	v_mad_co_u64_u32 v[2:3], null, v3, 12, v[2:3]
	s_delay_alu instid0(VALU_DEP_1)
	v_mov_b32_e32 v6, v2
	v_mov_b32_e32 v2, v4
	global_store_b96 v[5:6], v[0:2], off
	s_endpgm
	.section	.rodata,"a",@progbits
	.p2align	6, 0x0
	.amdhsa_kernel _ZN9rocsparseL18bsrxmvn_3x3_kernelILj256ELj8EillaaiEEvT3_20rocsparse_direction_NS_24const_host_device_scalarIT1_EES1_PKS1_PKT2_SA_S7_PKT4_PKT5_S5_PT6_21rocsparse_index_base_b
		.amdhsa_group_segment_fixed_size 0
		.amdhsa_private_segment_fixed_size 0
		.amdhsa_kernarg_size 104
		.amdhsa_user_sgpr_count 2
		.amdhsa_user_sgpr_dispatch_ptr 0
		.amdhsa_user_sgpr_queue_ptr 0
		.amdhsa_user_sgpr_kernarg_segment_ptr 1
		.amdhsa_user_sgpr_dispatch_id 0
		.amdhsa_user_sgpr_private_segment_size 0
		.amdhsa_wavefront_size32 1
		.amdhsa_uses_dynamic_stack 0
		.amdhsa_enable_private_segment 0
		.amdhsa_system_sgpr_workgroup_id_x 1
		.amdhsa_system_sgpr_workgroup_id_y 0
		.amdhsa_system_sgpr_workgroup_id_z 0
		.amdhsa_system_sgpr_workgroup_info 0
		.amdhsa_system_vgpr_workitem_id 0
		.amdhsa_next_free_vgpr 29
		.amdhsa_next_free_sgpr 14
		.amdhsa_reserve_vcc 1
		.amdhsa_float_round_mode_32 0
		.amdhsa_float_round_mode_16_64 0
		.amdhsa_float_denorm_mode_32 3
		.amdhsa_float_denorm_mode_16_64 3
		.amdhsa_fp16_overflow 0
		.amdhsa_workgroup_processor_mode 1
		.amdhsa_memory_ordered 1
		.amdhsa_forward_progress 1
		.amdhsa_inst_pref_size 17
		.amdhsa_round_robin_scheduling 0
		.amdhsa_exception_fp_ieee_invalid_op 0
		.amdhsa_exception_fp_denorm_src 0
		.amdhsa_exception_fp_ieee_div_zero 0
		.amdhsa_exception_fp_ieee_overflow 0
		.amdhsa_exception_fp_ieee_underflow 0
		.amdhsa_exception_fp_ieee_inexact 0
		.amdhsa_exception_int_div_zero 0
	.end_amdhsa_kernel
	.section	.text._ZN9rocsparseL18bsrxmvn_3x3_kernelILj256ELj8EillaaiEEvT3_20rocsparse_direction_NS_24const_host_device_scalarIT1_EES1_PKS1_PKT2_SA_S7_PKT4_PKT5_S5_PT6_21rocsparse_index_base_b,"axG",@progbits,_ZN9rocsparseL18bsrxmvn_3x3_kernelILj256ELj8EillaaiEEvT3_20rocsparse_direction_NS_24const_host_device_scalarIT1_EES1_PKS1_PKT2_SA_S7_PKT4_PKT5_S5_PT6_21rocsparse_index_base_b,comdat
.Lfunc_end71:
	.size	_ZN9rocsparseL18bsrxmvn_3x3_kernelILj256ELj8EillaaiEEvT3_20rocsparse_direction_NS_24const_host_device_scalarIT1_EES1_PKS1_PKT2_SA_S7_PKT4_PKT5_S5_PT6_21rocsparse_index_base_b, .Lfunc_end71-_ZN9rocsparseL18bsrxmvn_3x3_kernelILj256ELj8EillaaiEEvT3_20rocsparse_direction_NS_24const_host_device_scalarIT1_EES1_PKS1_PKT2_SA_S7_PKT4_PKT5_S5_PT6_21rocsparse_index_base_b
                                        ; -- End function
	.set _ZN9rocsparseL18bsrxmvn_3x3_kernelILj256ELj8EillaaiEEvT3_20rocsparse_direction_NS_24const_host_device_scalarIT1_EES1_PKS1_PKT2_SA_S7_PKT4_PKT5_S5_PT6_21rocsparse_index_base_b.num_vgpr, 29
	.set _ZN9rocsparseL18bsrxmvn_3x3_kernelILj256ELj8EillaaiEEvT3_20rocsparse_direction_NS_24const_host_device_scalarIT1_EES1_PKS1_PKT2_SA_S7_PKT4_PKT5_S5_PT6_21rocsparse_index_base_b.num_agpr, 0
	.set _ZN9rocsparseL18bsrxmvn_3x3_kernelILj256ELj8EillaaiEEvT3_20rocsparse_direction_NS_24const_host_device_scalarIT1_EES1_PKS1_PKT2_SA_S7_PKT4_PKT5_S5_PT6_21rocsparse_index_base_b.numbered_sgpr, 14
	.set _ZN9rocsparseL18bsrxmvn_3x3_kernelILj256ELj8EillaaiEEvT3_20rocsparse_direction_NS_24const_host_device_scalarIT1_EES1_PKS1_PKT2_SA_S7_PKT4_PKT5_S5_PT6_21rocsparse_index_base_b.num_named_barrier, 0
	.set _ZN9rocsparseL18bsrxmvn_3x3_kernelILj256ELj8EillaaiEEvT3_20rocsparse_direction_NS_24const_host_device_scalarIT1_EES1_PKS1_PKT2_SA_S7_PKT4_PKT5_S5_PT6_21rocsparse_index_base_b.private_seg_size, 0
	.set _ZN9rocsparseL18bsrxmvn_3x3_kernelILj256ELj8EillaaiEEvT3_20rocsparse_direction_NS_24const_host_device_scalarIT1_EES1_PKS1_PKT2_SA_S7_PKT4_PKT5_S5_PT6_21rocsparse_index_base_b.uses_vcc, 1
	.set _ZN9rocsparseL18bsrxmvn_3x3_kernelILj256ELj8EillaaiEEvT3_20rocsparse_direction_NS_24const_host_device_scalarIT1_EES1_PKS1_PKT2_SA_S7_PKT4_PKT5_S5_PT6_21rocsparse_index_base_b.uses_flat_scratch, 0
	.set _ZN9rocsparseL18bsrxmvn_3x3_kernelILj256ELj8EillaaiEEvT3_20rocsparse_direction_NS_24const_host_device_scalarIT1_EES1_PKS1_PKT2_SA_S7_PKT4_PKT5_S5_PT6_21rocsparse_index_base_b.has_dyn_sized_stack, 0
	.set _ZN9rocsparseL18bsrxmvn_3x3_kernelILj256ELj8EillaaiEEvT3_20rocsparse_direction_NS_24const_host_device_scalarIT1_EES1_PKS1_PKT2_SA_S7_PKT4_PKT5_S5_PT6_21rocsparse_index_base_b.has_recursion, 0
	.set _ZN9rocsparseL18bsrxmvn_3x3_kernelILj256ELj8EillaaiEEvT3_20rocsparse_direction_NS_24const_host_device_scalarIT1_EES1_PKS1_PKT2_SA_S7_PKT4_PKT5_S5_PT6_21rocsparse_index_base_b.has_indirect_call, 0
	.section	.AMDGPU.csdata,"",@progbits
; Kernel info:
; codeLenInByte = 2060
; TotalNumSgprs: 16
; NumVgprs: 29
; ScratchSize: 0
; MemoryBound: 0
; FloatMode: 240
; IeeeMode: 1
; LDSByteSize: 0 bytes/workgroup (compile time only)
; SGPRBlocks: 0
; VGPRBlocks: 3
; NumSGPRsForWavesPerEU: 16
; NumVGPRsForWavesPerEU: 29
; Occupancy: 16
; WaveLimiterHint : 1
; COMPUTE_PGM_RSRC2:SCRATCH_EN: 0
; COMPUTE_PGM_RSRC2:USER_SGPR: 2
; COMPUTE_PGM_RSRC2:TRAP_HANDLER: 0
; COMPUTE_PGM_RSRC2:TGID_X_EN: 1
; COMPUTE_PGM_RSRC2:TGID_Y_EN: 0
; COMPUTE_PGM_RSRC2:TGID_Z_EN: 0
; COMPUTE_PGM_RSRC2:TIDIG_COMP_CNT: 0
	.section	.text._ZN9rocsparseL18bsrxmvn_3x3_kernelILj256ELj16EillaaiEEvT3_20rocsparse_direction_NS_24const_host_device_scalarIT1_EES1_PKS1_PKT2_SA_S7_PKT4_PKT5_S5_PT6_21rocsparse_index_base_b,"axG",@progbits,_ZN9rocsparseL18bsrxmvn_3x3_kernelILj256ELj16EillaaiEEvT3_20rocsparse_direction_NS_24const_host_device_scalarIT1_EES1_PKS1_PKT2_SA_S7_PKT4_PKT5_S5_PT6_21rocsparse_index_base_b,comdat
	.globl	_ZN9rocsparseL18bsrxmvn_3x3_kernelILj256ELj16EillaaiEEvT3_20rocsparse_direction_NS_24const_host_device_scalarIT1_EES1_PKS1_PKT2_SA_S7_PKT4_PKT5_S5_PT6_21rocsparse_index_base_b ; -- Begin function _ZN9rocsparseL18bsrxmvn_3x3_kernelILj256ELj16EillaaiEEvT3_20rocsparse_direction_NS_24const_host_device_scalarIT1_EES1_PKS1_PKT2_SA_S7_PKT4_PKT5_S5_PT6_21rocsparse_index_base_b
	.p2align	8
	.type	_ZN9rocsparseL18bsrxmvn_3x3_kernelILj256ELj16EillaaiEEvT3_20rocsparse_direction_NS_24const_host_device_scalarIT1_EES1_PKS1_PKT2_SA_S7_PKT4_PKT5_S5_PT6_21rocsparse_index_base_b,@function
_ZN9rocsparseL18bsrxmvn_3x3_kernelILj256ELj16EillaaiEEvT3_20rocsparse_direction_NS_24const_host_device_scalarIT1_EES1_PKS1_PKT2_SA_S7_PKT4_PKT5_S5_PT6_21rocsparse_index_base_b: ; @_ZN9rocsparseL18bsrxmvn_3x3_kernelILj256ELj16EillaaiEEvT3_20rocsparse_direction_NS_24const_host_device_scalarIT1_EES1_PKS1_PKT2_SA_S7_PKT4_PKT5_S5_PT6_21rocsparse_index_base_b
; %bb.0:
	s_clause 0x1
	s_load_b64 s[2:3], s[0:1], 0x60
	s_load_b128 s[4:7], s[0:1], 0x10
	s_mov_b32 s10, -1
                                        ; implicit-def: $sgpr12
	s_wait_kmcnt 0x0
	s_bitcmp1_b32 s3, 0
	s_cselect_b32 s3, -1, 0
	s_delay_alu instid0(SALU_CYCLE_1) | instskip(NEXT) | instid1(SALU_CYCLE_1)
	s_xor_b32 s3, s3, -1
	s_and_b32 vcc_lo, exec_lo, s3
	s_cbranch_vccnz .LBB72_4
; %bb.1:
	s_load_b64 s[8:9], s[0:1], 0x50
	s_and_not1_b32 vcc_lo, exec_lo, s10
	s_cbranch_vccz .LBB72_5
.LBB72_2:
	s_and_b32 vcc_lo, exec_lo, s3
	s_cbranch_vccz .LBB72_6
.LBB72_3:
	s_wait_kmcnt 0x0
	s_load_b32 s13, s[8:9], 0x0
	s_cbranch_execz .LBB72_7
	s_branch .LBB72_8
.LBB72_4:
	s_load_b32 s12, s[4:5], 0x0
	s_load_b64 s[8:9], s[0:1], 0x50
	s_cbranch_execnz .LBB72_2
.LBB72_5:
	s_wait_kmcnt 0x0
	s_mov_b32 s12, s4
	s_and_b32 vcc_lo, exec_lo, s3
	s_cbranch_vccnz .LBB72_3
.LBB72_6:
                                        ; implicit-def: $sgpr13
.LBB72_7:
	s_wait_kmcnt 0x0
	s_mov_b32 s13, s8
.LBB72_8:
	s_wait_kmcnt 0x0
	s_cmp_lg_u32 s12, 0
	s_mov_b32 s8, 0
	s_cselect_b32 s3, -1, 0
	s_cmp_lg_u32 s13, 1
	s_cselect_b32 s4, -1, 0
	s_delay_alu instid0(SALU_CYCLE_1) | instskip(NEXT) | instid1(SALU_CYCLE_1)
	s_or_b32 s3, s3, s4
	s_and_not1_b32 vcc_lo, exec_lo, s3
	s_cbranch_vccnz .LBB72_14
; %bb.9:
	s_load_b64 s[4:5], s[0:1], 0x20
	v_lshrrev_b32_e32 v1, 4, v0
	v_mov_b32_e32 v7, 0
	s_delay_alu instid0(VALU_DEP_2)
	v_lshl_or_b32 v6, ttmp9, 4, v1
	s_wait_kmcnt 0x0
	s_cmp_lg_u64 s[4:5], 0
	s_cbranch_scc0 .LBB72_15
; %bb.10:
	s_delay_alu instid0(VALU_DEP_1) | instskip(SKIP_2) | instid1(SALU_CYCLE_1)
	v_cmp_gt_i64_e32 vcc_lo, s[6:7], v[6:7]
	s_mov_b32 s6, 0
                                        ; implicit-def: $vgpr2_vgpr3
                                        ; implicit-def: $vgpr4_vgpr5
	s_and_saveexec_b32 s3, vcc_lo
	s_xor_b32 s7, exec_lo, s3
	s_cbranch_execz .LBB72_12
; %bb.11:
	v_lshlrev_b64_e32 v[1:2], 3, v[6:7]
	s_mov_b32 s3, 0
	s_mov_b32 s8, exec_lo
	v_dual_mov_b32 v5, s3 :: v_dual_mov_b32 v4, s2
	s_delay_alu instid0(VALU_DEP_2) | instskip(NEXT) | instid1(VALU_DEP_1)
	v_add_co_u32 v1, vcc_lo, s4, v1
	v_add_co_ci_u32_e64 v2, null, s5, v2, vcc_lo
	global_load_b64 v[2:3], v[1:2], off
	s_wait_loadcnt 0x0
	v_sub_co_u32 v2, vcc_lo, v2, s2
	s_wait_alu 0xfffd
	v_subrev_co_ci_u32_e64 v3, null, 0, v3, vcc_lo
.LBB72_12:
	s_wait_alu 0xfffe
	s_or_b32 exec_lo, exec_lo, s7
	s_delay_alu instid0(SALU_CYCLE_1)
	s_and_b32 vcc_lo, exec_lo, s6
	s_wait_alu 0xfffe
	s_cbranch_vccnz .LBB72_16
.LBB72_13:
	s_and_saveexec_b32 s2, s8
	s_cbranch_execnz .LBB72_19
.LBB72_14:
	s_endpgm
.LBB72_15:
                                        ; implicit-def: $vgpr2_vgpr3
                                        ; implicit-def: $vgpr4_vgpr5
	s_cbranch_execz .LBB72_13
.LBB72_16:
	s_load_b64 s[4:5], s[0:1], 0x0
	s_wait_kmcnt 0x0
	v_cmp_gt_i64_e32 vcc_lo, s[4:5], v[6:7]
	s_and_saveexec_b32 s4, vcc_lo
; %bb.17:
	s_mov_b32 s3, 0
	s_or_b32 s8, s8, exec_lo
; %bb.18:
	s_wait_alu 0xfffe
	s_or_b32 exec_lo, exec_lo, s4
	v_dual_mov_b32 v5, s3 :: v_dual_mov_b32 v4, s2
	v_dual_mov_b32 v2, v6 :: v_dual_mov_b32 v3, v7
	s_and_saveexec_b32 s2, s8
	s_cbranch_execz .LBB72_14
.LBB72_19:
	s_load_b256 s[4:11], s[0:1], 0x28
	s_delay_alu instid0(VALU_DEP_1) | instskip(SKIP_2) | instid1(VALU_DEP_2)
	v_lshlrev_b64_e32 v[6:7], 3, v[2:3]
	v_dual_mov_b32 v17, 0 :: v_dual_and_b32 v16, 15, v0
	s_wait_kmcnt 0x0
	v_add_co_u32 v8, vcc_lo, s4, v6
	s_wait_alu 0xfffd
	s_delay_alu instid0(VALU_DEP_3)
	v_add_co_ci_u32_e64 v9, null, s5, v7, vcc_lo
	v_add_co_u32 v1, vcc_lo, s6, v6
	s_wait_alu 0xfffd
	v_add_co_ci_u32_e64 v6, null, s7, v7, vcc_lo
	global_load_b64 v[10:11], v[8:9], off
	v_add_co_u32 v8, vcc_lo, v8, 8
	s_wait_alu 0xfffd
	v_add_co_ci_u32_e64 v7, null, 0, v9, vcc_lo
	s_cmp_eq_u64 s[6:7], 0
	s_cselect_b32 vcc_lo, -1, 0
	s_wait_alu 0xfffe
	v_dual_cndmask_b32 v7, v6, v7 :: v_dual_cndmask_b32 v6, v1, v8
	global_load_b64 v[8:9], v[6:7], off
	s_clause 0x1
	s_load_b32 s3, s[0:1], 0x8
	s_load_b64 s[4:5], s[0:1], 0x48
	s_wait_kmcnt 0x0
	s_cmp_eq_u32 s3, 1
	s_wait_loadcnt 0x1
	v_sub_co_u32 v0, vcc_lo, v10, v4
	s_wait_alu 0xfffd
	v_sub_co_ci_u32_e64 v1, null, v11, v5, vcc_lo
	s_delay_alu instid0(VALU_DEP_2) | instskip(SKIP_1) | instid1(VALU_DEP_2)
	v_add_co_u32 v0, vcc_lo, v0, v16
	s_wait_alu 0xfffd
	v_add_co_ci_u32_e64 v1, null, 0, v1, vcc_lo
	s_delay_alu instid0(VALU_DEP_2) | instskip(SKIP_1) | instid1(VALU_DEP_1)
	v_mad_co_u64_u32 v[6:7], null, v0, 9, s[10:11]
	s_wait_loadcnt 0x0
	v_mad_co_u64_u32 v[10:11], null, v1, 9, v[7:8]
	v_sub_co_u32 v8, vcc_lo, v8, v4
	s_wait_alu 0xfffd
	v_sub_co_ci_u32_e64 v9, null, v9, v5, vcc_lo
	s_delay_alu instid0(VALU_DEP_3) | instskip(NEXT) | instid1(VALU_DEP_2)
	v_mov_b32_e32 v7, v10
	v_cmp_lt_i64_e64 s2, v[0:1], v[8:9]
	s_cbranch_scc1 .LBB72_25
; %bb.20:
	v_dual_mov_b32 v18, 0 :: v_dual_mov_b32 v19, 0
	s_and_saveexec_b32 s6, s2
	s_cbranch_execz .LBB72_24
; %bb.21:
	v_lshlrev_b64_e32 v[10:11], 3, v[0:1]
	v_mov_b32_e32 v13, v7
	v_mov_b32_e32 v15, v1
	v_dual_mov_b32 v19, 0 :: v_dual_mov_b32 v18, 0
	v_dual_mov_b32 v17, 0 :: v_dual_mov_b32 v12, v6
	v_add_co_u32 v10, vcc_lo, s8, v10
	s_wait_alu 0xfffd
	v_add_co_ci_u32_e64 v11, null, s9, v11, vcc_lo
	v_mov_b32_e32 v14, v0
	s_mov_b32 s7, 0
.LBB72_22:                              ; =>This Inner Loop Header: Depth=1
	global_load_b64 v[20:21], v[10:11], off
	s_wait_loadcnt 0x0
	v_sub_co_u32 v20, vcc_lo, v20, v4
	s_wait_alu 0xfffd
	v_sub_co_ci_u32_e64 v22, null, v21, v5, vcc_lo
	s_delay_alu instid0(VALU_DEP_2) | instskip(NEXT) | instid1(VALU_DEP_1)
	v_mad_co_u64_u32 v[20:21], null, v20, 3, s[4:5]
	v_mad_co_u64_u32 v[21:22], null, v22, 3, v[21:22]
	s_clause 0x1
	global_load_b64 v[22:23], v[12:13], off
	global_load_i8 v24, v[12:13], off offset:8
	s_clause 0x1
	global_load_u16 v25, v[20:21], off
	global_load_i8 v20, v[20:21], off offset:2
	v_add_co_u32 v12, vcc_lo, 0x90, v12
	s_wait_alu 0xfffd
	v_add_co_ci_u32_e64 v13, null, 0, v13, vcc_lo
	v_add_co_u32 v14, vcc_lo, v14, 16
	s_wait_alu 0xfffd
	v_add_co_ci_u32_e64 v15, null, 0, v15, vcc_lo
	;; [unrolled: 3-line block ×3, first 2 shown]
	s_delay_alu instid0(VALU_DEP_3)
	v_cmp_ge_i64_e64 s3, v[14:15], v[8:9]
	s_wait_alu 0xfffe
	s_or_b32 s7, s3, s7
	s_wait_loadcnt 0x3
	v_lshrrev_b32_e32 v21, 8, v22
	v_lshrrev_b32_e32 v26, 16, v22
	s_wait_loadcnt 0x1
	v_lshrrev_b32_e32 v27, 8, v25
	v_bfe_i32 v28, v25, 0, 8
	v_bfe_i32 v21, v21, 0, 8
	;; [unrolled: 1-line block ×3, first 2 shown]
	s_delay_alu instid0(VALU_DEP_4) | instskip(NEXT) | instid1(VALU_DEP_2)
	v_bfe_i32 v27, v27, 0, 8
	v_perm_b32 v21, v26, v21, 0x5040100
	s_wait_loadcnt 0x0
	s_delay_alu instid0(VALU_DEP_2)
	v_perm_b32 v26, v20, v27, 0x5040100
	v_bfe_i32 v27, v22, 0, 8
	v_perm_b32 v22, v23, v22, 0xc050403
	v_perm_b32 v23, v24, v23, 0xc040302
	;; [unrolled: 1-line block ×3, first 2 shown]
	v_pk_mul_lo_u16 v21, v26, v21
	v_mad_i32_i24 v19, v28, v27, v19
	s_delay_alu instid0(VALU_DEP_3) | instskip(NEXT) | instid1(VALU_DEP_3)
	v_dot4_i32_iu8 v18, v20, v22, v18 neg_lo:[1,1,0]
	v_bfe_i32 v24, v21, 0, 16
	v_ashrrev_i32_e32 v21, 16, v21
	v_dot4_i32_iu8 v17, v20, v23, v17 neg_lo:[1,1,0]
	s_delay_alu instid0(VALU_DEP_2)
	v_add3_u32 v19, v19, v24, v21
	s_wait_alu 0xfffe
	s_and_not1_b32 exec_lo, exec_lo, s7
	s_cbranch_execnz .LBB72_22
; %bb.23:
	s_or_b32 exec_lo, exec_lo, s7
.LBB72_24:
	s_wait_alu 0xfffe
	s_or_b32 exec_lo, exec_lo, s6
	s_cbranch_execz .LBB72_26
	s_branch .LBB72_31
.LBB72_25:
                                        ; implicit-def: $vgpr17
                                        ; implicit-def: $vgpr18
                                        ; implicit-def: $vgpr19
.LBB72_26:
	v_dual_mov_b32 v17, 0 :: v_dual_mov_b32 v18, 0
	v_mov_b32_e32 v19, 0
	s_and_saveexec_b32 s3, s2
	s_cbranch_execz .LBB72_30
; %bb.27:
	v_lshlrev_b64_e32 v[10:11], 3, v[0:1]
	v_dual_mov_b32 v19, 0 :: v_dual_mov_b32 v18, 0
	v_mov_b32_e32 v17, 0
	s_mov_b32 s6, 0
	s_delay_alu instid0(VALU_DEP_3)
	v_add_co_u32 v10, vcc_lo, s8, v10
	s_wait_alu 0xfffd
	v_add_co_ci_u32_e64 v11, null, s9, v11, vcc_lo
.LBB72_28:                              ; =>This Inner Loop Header: Depth=1
	global_load_b64 v[12:13], v[10:11], off
	s_wait_loadcnt 0x0
	v_sub_co_u32 v12, vcc_lo, v12, v4
	s_wait_alu 0xfffd
	v_sub_co_ci_u32_e64 v14, null, v13, v5, vcc_lo
	v_add_co_u32 v0, vcc_lo, v0, 16
	s_delay_alu instid0(VALU_DEP_3) | instskip(SKIP_2) | instid1(VALU_DEP_1)
	v_mad_co_u64_u32 v[12:13], null, v12, 3, s[4:5]
	s_wait_alu 0xfffd
	v_add_co_ci_u32_e64 v1, null, 0, v1, vcc_lo
	v_cmp_ge_i64_e64 s2, v[0:1], v[8:9]
	s_delay_alu instid0(VALU_DEP_3)
	v_mad_co_u64_u32 v[13:14], null, v14, 3, v[13:14]
	s_clause 0x1
	global_load_i8 v20, v[6:7], off offset:8
	global_load_b64 v[14:15], v[6:7], off
	s_clause 0x1
	global_load_u16 v21, v[12:13], off
	global_load_i8 v12, v[12:13], off offset:2
	v_add_co_u32 v6, vcc_lo, 0x90, v6
	s_wait_alu 0xfffd
	v_add_co_ci_u32_e64 v7, null, 0, v7, vcc_lo
	v_add_co_u32 v10, vcc_lo, 0x80, v10
	s_wait_alu 0xfffd
	v_add_co_ci_u32_e64 v11, null, 0, v11, vcc_lo
	s_wait_alu 0xfffe
	s_or_b32 s6, s2, s6
	s_wait_loadcnt 0x2
	v_perm_b32 v13, v20, v15, 0xc04010c
	v_perm_b32 v20, v14, v14, 0xc0c0c02
	v_bfe_i32 v22, v14, 0, 8
	s_wait_loadcnt 0x1
	v_bfe_i32 v24, v21, 0, 8
	v_perm_b32 v23, v15, v14, 0xc0c0603
	v_perm_b32 v14, v15, v14, 0xc070401
	v_or_b32_e32 v13, v13, v20
	s_wait_loadcnt 0x0
	v_perm_b32 v15, v12, v21, 0xc040100
	v_perm_b32 v12, v12, v21, 0xc0c0401
	v_mad_i32_i24 v19, v24, v22, v19
	s_delay_alu instid0(VALU_DEP_3) | instskip(SKIP_1) | instid1(VALU_DEP_3)
	v_dot4_i32_iu8 v18, v15, v14, v18 neg_lo:[1,1,0]
	v_dot4_i32_iu8 v17, v15, v13, v17 neg_lo:[1,1,0]
	;; [unrolled: 1-line block ×3, first 2 shown]
	s_wait_alu 0xfffe
	s_and_not1_b32 exec_lo, exec_lo, s6
	s_cbranch_execnz .LBB72_28
; %bb.29:
	s_or_b32 exec_lo, exec_lo, s6
.LBB72_30:
	s_wait_alu 0xfffe
	s_or_b32 exec_lo, exec_lo, s3
.LBB72_31:
	v_mbcnt_lo_u32_b32 v0, -1, 0
	s_mov_b32 s2, -1
	s_delay_alu instid0(VALU_DEP_1) | instskip(SKIP_2) | instid1(VALU_DEP_3)
	v_xor_b32_e32 v1, 8, v0
	v_xor_b32_e32 v6, 4, v0
	;; [unrolled: 1-line block ×3, first 2 shown]
	v_cmp_gt_i32_e32 vcc_lo, 32, v1
	s_wait_alu 0xfffd
	v_cndmask_b32_e32 v1, v0, v1, vcc_lo
	v_cmp_gt_i32_e32 vcc_lo, 32, v6
	s_wait_alu 0xfffd
	v_cndmask_b32_e32 v6, v0, v6, vcc_lo
	v_cmp_gt_i32_e32 vcc_lo, 32, v9
	s_delay_alu instid0(VALU_DEP_2)
	v_lshlrev_b32_e32 v6, 2, v6
	v_lshlrev_b32_e32 v1, 2, v1
	ds_bpermute_b32 v4, v1, v19
	ds_bpermute_b32 v5, v1, v18
	;; [unrolled: 1-line block ×3, first 2 shown]
	s_wait_dscnt 0x2
	v_add_nc_u32_e32 v4, v4, v19
	s_wait_dscnt 0x1
	v_add_nc_u32_e32 v5, v5, v18
	;; [unrolled: 2-line block ×3, first 2 shown]
	ds_bpermute_b32 v7, v6, v4
	ds_bpermute_b32 v8, v6, v5
	;; [unrolled: 1-line block ×3, first 2 shown]
	s_wait_dscnt 0x2
	s_wait_alu 0xfffd
	v_dual_cndmask_b32 v9, v0, v9 :: v_dual_add_nc_u32 v4, v7, v4
	s_delay_alu instid0(VALU_DEP_1)
	v_lshlrev_b32_e32 v9, 2, v9
	s_wait_dscnt 0x1
	v_add_nc_u32_e32 v5, v8, v5
	s_wait_dscnt 0x0
	v_add_nc_u32_e32 v6, v6, v1
	ds_bpermute_b32 v1, v9, v4
	ds_bpermute_b32 v7, v9, v5
	;; [unrolled: 1-line block ×3, first 2 shown]
	v_xor_b32_e32 v9, 1, v0
	s_delay_alu instid0(VALU_DEP_1) | instskip(SKIP_3) | instid1(VALU_DEP_2)
	v_cmp_gt_i32_e32 vcc_lo, 32, v9
	s_wait_alu 0xfffd
	v_cndmask_b32_e32 v0, v0, v9, vcc_lo
	v_cmp_eq_u32_e32 vcc_lo, 15, v16
	v_lshlrev_b32_e32 v9, 2, v0
	s_wait_dscnt 0x2
	v_add_nc_u32_e32 v0, v1, v4
	s_wait_dscnt 0x1
	v_add_nc_u32_e32 v1, v7, v5
	;; [unrolled: 2-line block ×3, first 2 shown]
	ds_bpermute_b32 v5, v9, v0
	ds_bpermute_b32 v6, v9, v1
	;; [unrolled: 1-line block ×3, first 2 shown]
	s_and_b32 exec_lo, exec_lo, vcc_lo
	s_cbranch_execz .LBB72_14
; %bb.32:
	s_load_b64 s[0:1], s[0:1], 0x58
	s_wait_dscnt 0x2
	v_add_nc_u32_e32 v0, v5, v0
	s_wait_dscnt 0x1
	v_add_nc_u32_e32 v1, v6, v1
	;; [unrolled: 2-line block ×3, first 2 shown]
	s_cmp_eq_u32 s13, 0
	v_mul_lo_u32 v0, v0, s12
	v_mul_lo_u32 v1, v1, s12
	s_delay_alu instid0(VALU_DEP_3)
	v_mul_lo_u32 v4, v4, s12
	s_cbranch_scc1 .LBB72_34
; %bb.33:
	s_wait_kmcnt 0x0
	v_mad_co_u64_u32 v[10:11], null, v2, 12, s[0:1]
	s_mov_b32 s2, 0
	v_mov_b32_e32 v5, v11
	s_delay_alu instid0(VALU_DEP_1) | instskip(NEXT) | instid1(VALU_DEP_1)
	v_mad_co_u64_u32 v[5:6], null, v3, 12, v[5:6]
	v_mov_b32_e32 v11, v5
	global_load_b96 v[5:7], v[10:11], off
	s_wait_loadcnt 0x0
	v_mad_co_u64_u32 v[12:13], null, v7, s13, v[4:5]
	v_mad_co_u64_u32 v[7:8], null, v5, s13, v[0:1]
	;; [unrolled: 1-line block ×3, first 2 shown]
	s_delay_alu instid0(VALU_DEP_3)
	v_mov_b32_e32 v9, v12
	global_store_b96 v[10:11], v[7:9], off
.LBB72_34:
	s_wait_alu 0xfffe
	s_and_not1_b32 vcc_lo, exec_lo, s2
	s_wait_alu 0xfffe
	s_cbranch_vccnz .LBB72_14
; %bb.35:
	s_wait_kmcnt 0x0
	v_mad_co_u64_u32 v[5:6], null, v2, 12, s[0:1]
	s_delay_alu instid0(VALU_DEP_1) | instskip(NEXT) | instid1(VALU_DEP_1)
	v_mov_b32_e32 v2, v6
	v_mad_co_u64_u32 v[2:3], null, v3, 12, v[2:3]
	s_delay_alu instid0(VALU_DEP_1)
	v_mov_b32_e32 v6, v2
	v_mov_b32_e32 v2, v4
	global_store_b96 v[5:6], v[0:2], off
	s_endpgm
	.section	.rodata,"a",@progbits
	.p2align	6, 0x0
	.amdhsa_kernel _ZN9rocsparseL18bsrxmvn_3x3_kernelILj256ELj16EillaaiEEvT3_20rocsparse_direction_NS_24const_host_device_scalarIT1_EES1_PKS1_PKT2_SA_S7_PKT4_PKT5_S5_PT6_21rocsparse_index_base_b
		.amdhsa_group_segment_fixed_size 0
		.amdhsa_private_segment_fixed_size 0
		.amdhsa_kernarg_size 104
		.amdhsa_user_sgpr_count 2
		.amdhsa_user_sgpr_dispatch_ptr 0
		.amdhsa_user_sgpr_queue_ptr 0
		.amdhsa_user_sgpr_kernarg_segment_ptr 1
		.amdhsa_user_sgpr_dispatch_id 0
		.amdhsa_user_sgpr_private_segment_size 0
		.amdhsa_wavefront_size32 1
		.amdhsa_uses_dynamic_stack 0
		.amdhsa_enable_private_segment 0
		.amdhsa_system_sgpr_workgroup_id_x 1
		.amdhsa_system_sgpr_workgroup_id_y 0
		.amdhsa_system_sgpr_workgroup_id_z 0
		.amdhsa_system_sgpr_workgroup_info 0
		.amdhsa_system_vgpr_workitem_id 0
		.amdhsa_next_free_vgpr 29
		.amdhsa_next_free_sgpr 14
		.amdhsa_reserve_vcc 1
		.amdhsa_float_round_mode_32 0
		.amdhsa_float_round_mode_16_64 0
		.amdhsa_float_denorm_mode_32 3
		.amdhsa_float_denorm_mode_16_64 3
		.amdhsa_fp16_overflow 0
		.amdhsa_workgroup_processor_mode 1
		.amdhsa_memory_ordered 1
		.amdhsa_forward_progress 1
		.amdhsa_inst_pref_size 17
		.amdhsa_round_robin_scheduling 0
		.amdhsa_exception_fp_ieee_invalid_op 0
		.amdhsa_exception_fp_denorm_src 0
		.amdhsa_exception_fp_ieee_div_zero 0
		.amdhsa_exception_fp_ieee_overflow 0
		.amdhsa_exception_fp_ieee_underflow 0
		.amdhsa_exception_fp_ieee_inexact 0
		.amdhsa_exception_int_div_zero 0
	.end_amdhsa_kernel
	.section	.text._ZN9rocsparseL18bsrxmvn_3x3_kernelILj256ELj16EillaaiEEvT3_20rocsparse_direction_NS_24const_host_device_scalarIT1_EES1_PKS1_PKT2_SA_S7_PKT4_PKT5_S5_PT6_21rocsparse_index_base_b,"axG",@progbits,_ZN9rocsparseL18bsrxmvn_3x3_kernelILj256ELj16EillaaiEEvT3_20rocsparse_direction_NS_24const_host_device_scalarIT1_EES1_PKS1_PKT2_SA_S7_PKT4_PKT5_S5_PT6_21rocsparse_index_base_b,comdat
.Lfunc_end72:
	.size	_ZN9rocsparseL18bsrxmvn_3x3_kernelILj256ELj16EillaaiEEvT3_20rocsparse_direction_NS_24const_host_device_scalarIT1_EES1_PKS1_PKT2_SA_S7_PKT4_PKT5_S5_PT6_21rocsparse_index_base_b, .Lfunc_end72-_ZN9rocsparseL18bsrxmvn_3x3_kernelILj256ELj16EillaaiEEvT3_20rocsparse_direction_NS_24const_host_device_scalarIT1_EES1_PKS1_PKT2_SA_S7_PKT4_PKT5_S5_PT6_21rocsparse_index_base_b
                                        ; -- End function
	.set _ZN9rocsparseL18bsrxmvn_3x3_kernelILj256ELj16EillaaiEEvT3_20rocsparse_direction_NS_24const_host_device_scalarIT1_EES1_PKS1_PKT2_SA_S7_PKT4_PKT5_S5_PT6_21rocsparse_index_base_b.num_vgpr, 29
	.set _ZN9rocsparseL18bsrxmvn_3x3_kernelILj256ELj16EillaaiEEvT3_20rocsparse_direction_NS_24const_host_device_scalarIT1_EES1_PKS1_PKT2_SA_S7_PKT4_PKT5_S5_PT6_21rocsparse_index_base_b.num_agpr, 0
	.set _ZN9rocsparseL18bsrxmvn_3x3_kernelILj256ELj16EillaaiEEvT3_20rocsparse_direction_NS_24const_host_device_scalarIT1_EES1_PKS1_PKT2_SA_S7_PKT4_PKT5_S5_PT6_21rocsparse_index_base_b.numbered_sgpr, 14
	.set _ZN9rocsparseL18bsrxmvn_3x3_kernelILj256ELj16EillaaiEEvT3_20rocsparse_direction_NS_24const_host_device_scalarIT1_EES1_PKS1_PKT2_SA_S7_PKT4_PKT5_S5_PT6_21rocsparse_index_base_b.num_named_barrier, 0
	.set _ZN9rocsparseL18bsrxmvn_3x3_kernelILj256ELj16EillaaiEEvT3_20rocsparse_direction_NS_24const_host_device_scalarIT1_EES1_PKS1_PKT2_SA_S7_PKT4_PKT5_S5_PT6_21rocsparse_index_base_b.private_seg_size, 0
	.set _ZN9rocsparseL18bsrxmvn_3x3_kernelILj256ELj16EillaaiEEvT3_20rocsparse_direction_NS_24const_host_device_scalarIT1_EES1_PKS1_PKT2_SA_S7_PKT4_PKT5_S5_PT6_21rocsparse_index_base_b.uses_vcc, 1
	.set _ZN9rocsparseL18bsrxmvn_3x3_kernelILj256ELj16EillaaiEEvT3_20rocsparse_direction_NS_24const_host_device_scalarIT1_EES1_PKS1_PKT2_SA_S7_PKT4_PKT5_S5_PT6_21rocsparse_index_base_b.uses_flat_scratch, 0
	.set _ZN9rocsparseL18bsrxmvn_3x3_kernelILj256ELj16EillaaiEEvT3_20rocsparse_direction_NS_24const_host_device_scalarIT1_EES1_PKS1_PKT2_SA_S7_PKT4_PKT5_S5_PT6_21rocsparse_index_base_b.has_dyn_sized_stack, 0
	.set _ZN9rocsparseL18bsrxmvn_3x3_kernelILj256ELj16EillaaiEEvT3_20rocsparse_direction_NS_24const_host_device_scalarIT1_EES1_PKS1_PKT2_SA_S7_PKT4_PKT5_S5_PT6_21rocsparse_index_base_b.has_recursion, 0
	.set _ZN9rocsparseL18bsrxmvn_3x3_kernelILj256ELj16EillaaiEEvT3_20rocsparse_direction_NS_24const_host_device_scalarIT1_EES1_PKS1_PKT2_SA_S7_PKT4_PKT5_S5_PT6_21rocsparse_index_base_b.has_indirect_call, 0
	.section	.AMDGPU.csdata,"",@progbits
; Kernel info:
; codeLenInByte = 2144
; TotalNumSgprs: 16
; NumVgprs: 29
; ScratchSize: 0
; MemoryBound: 0
; FloatMode: 240
; IeeeMode: 1
; LDSByteSize: 0 bytes/workgroup (compile time only)
; SGPRBlocks: 0
; VGPRBlocks: 3
; NumSGPRsForWavesPerEU: 16
; NumVGPRsForWavesPerEU: 29
; Occupancy: 16
; WaveLimiterHint : 1
; COMPUTE_PGM_RSRC2:SCRATCH_EN: 0
; COMPUTE_PGM_RSRC2:USER_SGPR: 2
; COMPUTE_PGM_RSRC2:TRAP_HANDLER: 0
; COMPUTE_PGM_RSRC2:TGID_X_EN: 1
; COMPUTE_PGM_RSRC2:TGID_Y_EN: 0
; COMPUTE_PGM_RSRC2:TGID_Z_EN: 0
; COMPUTE_PGM_RSRC2:TIDIG_COMP_CNT: 0
	.section	.text._ZN9rocsparseL18bsrxmvn_3x3_kernelILj256ELj32EillaaiEEvT3_20rocsparse_direction_NS_24const_host_device_scalarIT1_EES1_PKS1_PKT2_SA_S7_PKT4_PKT5_S5_PT6_21rocsparse_index_base_b,"axG",@progbits,_ZN9rocsparseL18bsrxmvn_3x3_kernelILj256ELj32EillaaiEEvT3_20rocsparse_direction_NS_24const_host_device_scalarIT1_EES1_PKS1_PKT2_SA_S7_PKT4_PKT5_S5_PT6_21rocsparse_index_base_b,comdat
	.globl	_ZN9rocsparseL18bsrxmvn_3x3_kernelILj256ELj32EillaaiEEvT3_20rocsparse_direction_NS_24const_host_device_scalarIT1_EES1_PKS1_PKT2_SA_S7_PKT4_PKT5_S5_PT6_21rocsparse_index_base_b ; -- Begin function _ZN9rocsparseL18bsrxmvn_3x3_kernelILj256ELj32EillaaiEEvT3_20rocsparse_direction_NS_24const_host_device_scalarIT1_EES1_PKS1_PKT2_SA_S7_PKT4_PKT5_S5_PT6_21rocsparse_index_base_b
	.p2align	8
	.type	_ZN9rocsparseL18bsrxmvn_3x3_kernelILj256ELj32EillaaiEEvT3_20rocsparse_direction_NS_24const_host_device_scalarIT1_EES1_PKS1_PKT2_SA_S7_PKT4_PKT5_S5_PT6_21rocsparse_index_base_b,@function
_ZN9rocsparseL18bsrxmvn_3x3_kernelILj256ELj32EillaaiEEvT3_20rocsparse_direction_NS_24const_host_device_scalarIT1_EES1_PKS1_PKT2_SA_S7_PKT4_PKT5_S5_PT6_21rocsparse_index_base_b: ; @_ZN9rocsparseL18bsrxmvn_3x3_kernelILj256ELj32EillaaiEEvT3_20rocsparse_direction_NS_24const_host_device_scalarIT1_EES1_PKS1_PKT2_SA_S7_PKT4_PKT5_S5_PT6_21rocsparse_index_base_b
; %bb.0:
	s_clause 0x1
	s_load_b64 s[2:3], s[0:1], 0x60
	s_load_b128 s[4:7], s[0:1], 0x10
	s_mov_b32 s10, -1
                                        ; implicit-def: $sgpr12
	s_wait_kmcnt 0x0
	s_bitcmp1_b32 s3, 0
	s_cselect_b32 s3, -1, 0
	s_delay_alu instid0(SALU_CYCLE_1) | instskip(NEXT) | instid1(SALU_CYCLE_1)
	s_xor_b32 s3, s3, -1
	s_and_b32 vcc_lo, exec_lo, s3
	s_cbranch_vccnz .LBB73_4
; %bb.1:
	s_load_b64 s[8:9], s[0:1], 0x50
	s_and_not1_b32 vcc_lo, exec_lo, s10
	s_cbranch_vccz .LBB73_5
.LBB73_2:
	s_and_b32 vcc_lo, exec_lo, s3
	s_cbranch_vccz .LBB73_6
.LBB73_3:
	s_wait_kmcnt 0x0
	s_load_b32 s13, s[8:9], 0x0
	s_cbranch_execz .LBB73_7
	s_branch .LBB73_8
.LBB73_4:
	s_load_b32 s12, s[4:5], 0x0
	s_load_b64 s[8:9], s[0:1], 0x50
	s_cbranch_execnz .LBB73_2
.LBB73_5:
	s_wait_kmcnt 0x0
	s_mov_b32 s12, s4
	s_and_b32 vcc_lo, exec_lo, s3
	s_cbranch_vccnz .LBB73_3
.LBB73_6:
                                        ; implicit-def: $sgpr13
.LBB73_7:
	s_wait_kmcnt 0x0
	s_mov_b32 s13, s8
.LBB73_8:
	s_wait_kmcnt 0x0
	s_cmp_lg_u32 s12, 0
	s_mov_b32 s8, 0
	s_cselect_b32 s3, -1, 0
	s_cmp_lg_u32 s13, 1
	s_cselect_b32 s4, -1, 0
	s_delay_alu instid0(SALU_CYCLE_1) | instskip(NEXT) | instid1(SALU_CYCLE_1)
	s_or_b32 s3, s3, s4
	s_and_not1_b32 vcc_lo, exec_lo, s3
	s_cbranch_vccnz .LBB73_14
; %bb.9:
	s_load_b64 s[4:5], s[0:1], 0x20
	v_lshrrev_b32_e32 v1, 5, v0
	v_mov_b32_e32 v7, 0
	s_delay_alu instid0(VALU_DEP_2)
	v_lshl_or_b32 v6, ttmp9, 3, v1
	s_wait_kmcnt 0x0
	s_cmp_lg_u64 s[4:5], 0
	s_cbranch_scc0 .LBB73_15
; %bb.10:
	s_delay_alu instid0(VALU_DEP_1) | instskip(SKIP_2) | instid1(SALU_CYCLE_1)
	v_cmp_gt_i64_e32 vcc_lo, s[6:7], v[6:7]
	s_mov_b32 s6, 0
                                        ; implicit-def: $vgpr2_vgpr3
                                        ; implicit-def: $vgpr4_vgpr5
	s_and_saveexec_b32 s3, vcc_lo
	s_xor_b32 s7, exec_lo, s3
	s_cbranch_execz .LBB73_12
; %bb.11:
	v_lshlrev_b64_e32 v[1:2], 3, v[6:7]
	s_mov_b32 s3, 0
	s_mov_b32 s8, exec_lo
	v_dual_mov_b32 v5, s3 :: v_dual_mov_b32 v4, s2
	s_delay_alu instid0(VALU_DEP_2) | instskip(NEXT) | instid1(VALU_DEP_1)
	v_add_co_u32 v1, vcc_lo, s4, v1
	v_add_co_ci_u32_e64 v2, null, s5, v2, vcc_lo
	global_load_b64 v[2:3], v[1:2], off
	s_wait_loadcnt 0x0
	v_sub_co_u32 v2, vcc_lo, v2, s2
	s_wait_alu 0xfffd
	v_subrev_co_ci_u32_e64 v3, null, 0, v3, vcc_lo
.LBB73_12:
	s_wait_alu 0xfffe
	s_or_b32 exec_lo, exec_lo, s7
	s_delay_alu instid0(SALU_CYCLE_1)
	s_and_b32 vcc_lo, exec_lo, s6
	s_wait_alu 0xfffe
	s_cbranch_vccnz .LBB73_16
.LBB73_13:
	s_and_saveexec_b32 s2, s8
	s_cbranch_execnz .LBB73_19
.LBB73_14:
	s_endpgm
.LBB73_15:
                                        ; implicit-def: $vgpr2_vgpr3
                                        ; implicit-def: $vgpr4_vgpr5
	s_cbranch_execz .LBB73_13
.LBB73_16:
	s_load_b64 s[4:5], s[0:1], 0x0
	s_wait_kmcnt 0x0
	v_cmp_gt_i64_e32 vcc_lo, s[4:5], v[6:7]
	s_and_saveexec_b32 s4, vcc_lo
; %bb.17:
	s_mov_b32 s3, 0
	s_or_b32 s8, s8, exec_lo
; %bb.18:
	s_wait_alu 0xfffe
	s_or_b32 exec_lo, exec_lo, s4
	v_dual_mov_b32 v5, s3 :: v_dual_mov_b32 v4, s2
	v_dual_mov_b32 v2, v6 :: v_dual_mov_b32 v3, v7
	s_and_saveexec_b32 s2, s8
	s_cbranch_execz .LBB73_14
.LBB73_19:
	s_load_b256 s[4:11], s[0:1], 0x28
	s_delay_alu instid0(VALU_DEP_1) | instskip(SKIP_2) | instid1(VALU_DEP_2)
	v_lshlrev_b64_e32 v[6:7], 3, v[2:3]
	v_dual_mov_b32 v17, 0 :: v_dual_and_b32 v16, 31, v0
	s_wait_kmcnt 0x0
	v_add_co_u32 v8, vcc_lo, s4, v6
	s_wait_alu 0xfffd
	s_delay_alu instid0(VALU_DEP_3)
	v_add_co_ci_u32_e64 v9, null, s5, v7, vcc_lo
	v_add_co_u32 v1, vcc_lo, s6, v6
	s_wait_alu 0xfffd
	v_add_co_ci_u32_e64 v6, null, s7, v7, vcc_lo
	global_load_b64 v[10:11], v[8:9], off
	v_add_co_u32 v8, vcc_lo, v8, 8
	s_wait_alu 0xfffd
	v_add_co_ci_u32_e64 v7, null, 0, v9, vcc_lo
	s_cmp_eq_u64 s[6:7], 0
	s_cselect_b32 vcc_lo, -1, 0
	s_wait_alu 0xfffe
	v_dual_cndmask_b32 v7, v6, v7 :: v_dual_cndmask_b32 v6, v1, v8
	global_load_b64 v[8:9], v[6:7], off
	s_clause 0x1
	s_load_b32 s3, s[0:1], 0x8
	s_load_b64 s[4:5], s[0:1], 0x48
	s_wait_kmcnt 0x0
	s_cmp_eq_u32 s3, 1
	s_wait_loadcnt 0x1
	v_sub_co_u32 v0, vcc_lo, v10, v4
	s_wait_alu 0xfffd
	v_sub_co_ci_u32_e64 v1, null, v11, v5, vcc_lo
	s_delay_alu instid0(VALU_DEP_2) | instskip(SKIP_1) | instid1(VALU_DEP_2)
	v_add_co_u32 v0, vcc_lo, v0, v16
	s_wait_alu 0xfffd
	v_add_co_ci_u32_e64 v1, null, 0, v1, vcc_lo
	s_delay_alu instid0(VALU_DEP_2) | instskip(SKIP_1) | instid1(VALU_DEP_1)
	v_mad_co_u64_u32 v[6:7], null, v0, 9, s[10:11]
	s_wait_loadcnt 0x0
	v_mad_co_u64_u32 v[10:11], null, v1, 9, v[7:8]
	v_sub_co_u32 v8, vcc_lo, v8, v4
	s_wait_alu 0xfffd
	v_sub_co_ci_u32_e64 v9, null, v9, v5, vcc_lo
	s_delay_alu instid0(VALU_DEP_3) | instskip(NEXT) | instid1(VALU_DEP_2)
	v_mov_b32_e32 v7, v10
	v_cmp_lt_i64_e64 s2, v[0:1], v[8:9]
	s_cbranch_scc1 .LBB73_25
; %bb.20:
	v_dual_mov_b32 v18, 0 :: v_dual_mov_b32 v19, 0
	s_and_saveexec_b32 s6, s2
	s_cbranch_execz .LBB73_24
; %bb.21:
	v_lshlrev_b64_e32 v[10:11], 3, v[0:1]
	v_mov_b32_e32 v13, v7
	v_mov_b32_e32 v15, v1
	v_dual_mov_b32 v19, 0 :: v_dual_mov_b32 v18, 0
	v_dual_mov_b32 v17, 0 :: v_dual_mov_b32 v12, v6
	v_add_co_u32 v10, vcc_lo, s8, v10
	s_wait_alu 0xfffd
	v_add_co_ci_u32_e64 v11, null, s9, v11, vcc_lo
	v_mov_b32_e32 v14, v0
	s_mov_b32 s7, 0
.LBB73_22:                              ; =>This Inner Loop Header: Depth=1
	global_load_b64 v[20:21], v[10:11], off
	s_wait_loadcnt 0x0
	v_sub_co_u32 v20, vcc_lo, v20, v4
	s_wait_alu 0xfffd
	v_sub_co_ci_u32_e64 v22, null, v21, v5, vcc_lo
	s_delay_alu instid0(VALU_DEP_2) | instskip(NEXT) | instid1(VALU_DEP_1)
	v_mad_co_u64_u32 v[20:21], null, v20, 3, s[4:5]
	v_mad_co_u64_u32 v[21:22], null, v22, 3, v[21:22]
	s_clause 0x1
	global_load_b64 v[22:23], v[12:13], off
	global_load_i8 v24, v[12:13], off offset:8
	s_clause 0x1
	global_load_u16 v25, v[20:21], off
	global_load_i8 v20, v[20:21], off offset:2
	v_add_co_u32 v12, vcc_lo, 0x120, v12
	s_wait_alu 0xfffd
	v_add_co_ci_u32_e64 v13, null, 0, v13, vcc_lo
	v_add_co_u32 v14, vcc_lo, v14, 32
	s_wait_alu 0xfffd
	v_add_co_ci_u32_e64 v15, null, 0, v15, vcc_lo
	;; [unrolled: 3-line block ×3, first 2 shown]
	s_delay_alu instid0(VALU_DEP_3)
	v_cmp_ge_i64_e64 s3, v[14:15], v[8:9]
	s_wait_alu 0xfffe
	s_or_b32 s7, s3, s7
	s_wait_loadcnt 0x3
	v_lshrrev_b32_e32 v21, 8, v22
	v_lshrrev_b32_e32 v26, 16, v22
	s_wait_loadcnt 0x1
	v_lshrrev_b32_e32 v27, 8, v25
	v_bfe_i32 v28, v25, 0, 8
	v_bfe_i32 v21, v21, 0, 8
	;; [unrolled: 1-line block ×3, first 2 shown]
	s_delay_alu instid0(VALU_DEP_4) | instskip(NEXT) | instid1(VALU_DEP_2)
	v_bfe_i32 v27, v27, 0, 8
	v_perm_b32 v21, v26, v21, 0x5040100
	s_wait_loadcnt 0x0
	s_delay_alu instid0(VALU_DEP_2)
	v_perm_b32 v26, v20, v27, 0x5040100
	v_bfe_i32 v27, v22, 0, 8
	v_perm_b32 v22, v23, v22, 0xc050403
	v_perm_b32 v23, v24, v23, 0xc040302
	;; [unrolled: 1-line block ×3, first 2 shown]
	v_pk_mul_lo_u16 v21, v26, v21
	v_mad_i32_i24 v19, v28, v27, v19
	s_delay_alu instid0(VALU_DEP_3) | instskip(NEXT) | instid1(VALU_DEP_3)
	v_dot4_i32_iu8 v18, v20, v22, v18 neg_lo:[1,1,0]
	v_bfe_i32 v24, v21, 0, 16
	v_ashrrev_i32_e32 v21, 16, v21
	v_dot4_i32_iu8 v17, v20, v23, v17 neg_lo:[1,1,0]
	s_delay_alu instid0(VALU_DEP_2)
	v_add3_u32 v19, v19, v24, v21
	s_wait_alu 0xfffe
	s_and_not1_b32 exec_lo, exec_lo, s7
	s_cbranch_execnz .LBB73_22
; %bb.23:
	s_or_b32 exec_lo, exec_lo, s7
.LBB73_24:
	s_wait_alu 0xfffe
	s_or_b32 exec_lo, exec_lo, s6
	s_cbranch_execz .LBB73_26
	s_branch .LBB73_31
.LBB73_25:
                                        ; implicit-def: $vgpr17
                                        ; implicit-def: $vgpr18
                                        ; implicit-def: $vgpr19
.LBB73_26:
	v_dual_mov_b32 v17, 0 :: v_dual_mov_b32 v18, 0
	v_mov_b32_e32 v19, 0
	s_and_saveexec_b32 s3, s2
	s_cbranch_execz .LBB73_30
; %bb.27:
	v_lshlrev_b64_e32 v[10:11], 3, v[0:1]
	v_dual_mov_b32 v19, 0 :: v_dual_mov_b32 v18, 0
	v_mov_b32_e32 v17, 0
	s_mov_b32 s6, 0
	s_delay_alu instid0(VALU_DEP_3)
	v_add_co_u32 v10, vcc_lo, s8, v10
	s_wait_alu 0xfffd
	v_add_co_ci_u32_e64 v11, null, s9, v11, vcc_lo
.LBB73_28:                              ; =>This Inner Loop Header: Depth=1
	global_load_b64 v[12:13], v[10:11], off
	s_wait_loadcnt 0x0
	v_sub_co_u32 v12, vcc_lo, v12, v4
	s_wait_alu 0xfffd
	v_sub_co_ci_u32_e64 v14, null, v13, v5, vcc_lo
	v_add_co_u32 v0, vcc_lo, v0, 32
	s_delay_alu instid0(VALU_DEP_3) | instskip(SKIP_2) | instid1(VALU_DEP_1)
	v_mad_co_u64_u32 v[12:13], null, v12, 3, s[4:5]
	s_wait_alu 0xfffd
	v_add_co_ci_u32_e64 v1, null, 0, v1, vcc_lo
	v_cmp_ge_i64_e64 s2, v[0:1], v[8:9]
	s_delay_alu instid0(VALU_DEP_3)
	v_mad_co_u64_u32 v[13:14], null, v14, 3, v[13:14]
	s_clause 0x1
	global_load_i8 v20, v[6:7], off offset:8
	global_load_b64 v[14:15], v[6:7], off
	s_clause 0x1
	global_load_u16 v21, v[12:13], off
	global_load_i8 v12, v[12:13], off offset:2
	v_add_co_u32 v6, vcc_lo, 0x120, v6
	s_wait_alu 0xfffd
	v_add_co_ci_u32_e64 v7, null, 0, v7, vcc_lo
	v_add_co_u32 v10, vcc_lo, 0x100, v10
	s_wait_alu 0xfffd
	v_add_co_ci_u32_e64 v11, null, 0, v11, vcc_lo
	s_wait_alu 0xfffe
	s_or_b32 s6, s2, s6
	s_wait_loadcnt 0x2
	v_perm_b32 v13, v20, v15, 0xc04010c
	v_perm_b32 v20, v14, v14, 0xc0c0c02
	v_bfe_i32 v22, v14, 0, 8
	s_wait_loadcnt 0x1
	v_bfe_i32 v24, v21, 0, 8
	v_perm_b32 v23, v15, v14, 0xc0c0603
	v_perm_b32 v14, v15, v14, 0xc070401
	v_or_b32_e32 v13, v13, v20
	s_wait_loadcnt 0x0
	v_perm_b32 v15, v12, v21, 0xc040100
	v_perm_b32 v12, v12, v21, 0xc0c0401
	v_mad_i32_i24 v19, v24, v22, v19
	s_delay_alu instid0(VALU_DEP_3) | instskip(SKIP_1) | instid1(VALU_DEP_3)
	v_dot4_i32_iu8 v18, v15, v14, v18 neg_lo:[1,1,0]
	v_dot4_i32_iu8 v17, v15, v13, v17 neg_lo:[1,1,0]
	;; [unrolled: 1-line block ×3, first 2 shown]
	s_wait_alu 0xfffe
	s_and_not1_b32 exec_lo, exec_lo, s6
	s_cbranch_execnz .LBB73_28
; %bb.29:
	s_or_b32 exec_lo, exec_lo, s6
.LBB73_30:
	s_wait_alu 0xfffe
	s_or_b32 exec_lo, exec_lo, s3
.LBB73_31:
	v_mbcnt_lo_u32_b32 v0, -1, 0
	s_mov_b32 s2, -1
	s_delay_alu instid0(VALU_DEP_1) | instskip(SKIP_2) | instid1(VALU_DEP_3)
	v_xor_b32_e32 v1, 16, v0
	v_xor_b32_e32 v6, 8, v0
	;; [unrolled: 1-line block ×3, first 2 shown]
	v_cmp_gt_i32_e32 vcc_lo, 32, v1
	s_wait_alu 0xfffd
	v_cndmask_b32_e32 v1, v0, v1, vcc_lo
	v_cmp_gt_i32_e32 vcc_lo, 32, v6
	s_wait_alu 0xfffd
	v_cndmask_b32_e32 v6, v0, v6, vcc_lo
	v_cmp_gt_i32_e32 vcc_lo, 32, v9
	s_delay_alu instid0(VALU_DEP_2)
	v_lshlrev_b32_e32 v6, 2, v6
	v_lshlrev_b32_e32 v1, 2, v1
	ds_bpermute_b32 v4, v1, v19
	ds_bpermute_b32 v5, v1, v18
	;; [unrolled: 1-line block ×3, first 2 shown]
	s_wait_dscnt 0x2
	v_add_nc_u32_e32 v4, v4, v19
	s_wait_dscnt 0x1
	v_add_nc_u32_e32 v5, v5, v18
	;; [unrolled: 2-line block ×3, first 2 shown]
	ds_bpermute_b32 v7, v6, v4
	ds_bpermute_b32 v8, v6, v5
	;; [unrolled: 1-line block ×3, first 2 shown]
	s_wait_dscnt 0x2
	s_wait_alu 0xfffd
	v_dual_cndmask_b32 v9, v0, v9 :: v_dual_add_nc_u32 v4, v7, v4
	s_delay_alu instid0(VALU_DEP_1)
	v_lshlrev_b32_e32 v9, 2, v9
	s_wait_dscnt 0x1
	v_add_nc_u32_e32 v5, v8, v5
	s_wait_dscnt 0x0
	v_add_nc_u32_e32 v1, v6, v1
	ds_bpermute_b32 v6, v9, v4
	ds_bpermute_b32 v7, v9, v5
	;; [unrolled: 1-line block ×3, first 2 shown]
	v_xor_b32_e32 v9, 2, v0
	s_delay_alu instid0(VALU_DEP_1) | instskip(SKIP_3) | instid1(VALU_DEP_1)
	v_cmp_gt_i32_e32 vcc_lo, 32, v9
	s_wait_dscnt 0x2
	s_wait_alu 0xfffd
	v_dual_cndmask_b32 v9, v0, v9 :: v_dual_add_nc_u32 v4, v6, v4
	v_lshlrev_b32_e32 v9, 2, v9
	s_wait_dscnt 0x1
	v_add_nc_u32_e32 v5, v7, v5
	s_wait_dscnt 0x0
	v_add_nc_u32_e32 v6, v8, v1
	ds_bpermute_b32 v1, v9, v4
	ds_bpermute_b32 v7, v9, v5
	ds_bpermute_b32 v8, v9, v6
	v_xor_b32_e32 v9, 1, v0
	s_delay_alu instid0(VALU_DEP_1) | instskip(SKIP_3) | instid1(VALU_DEP_2)
	v_cmp_gt_i32_e32 vcc_lo, 32, v9
	s_wait_alu 0xfffd
	v_cndmask_b32_e32 v0, v0, v9, vcc_lo
	v_cmp_eq_u32_e32 vcc_lo, 31, v16
	v_lshlrev_b32_e32 v9, 2, v0
	s_wait_dscnt 0x2
	v_add_nc_u32_e32 v0, v1, v4
	s_wait_dscnt 0x1
	v_add_nc_u32_e32 v1, v7, v5
	;; [unrolled: 2-line block ×3, first 2 shown]
	ds_bpermute_b32 v5, v9, v0
	ds_bpermute_b32 v6, v9, v1
	;; [unrolled: 1-line block ×3, first 2 shown]
	s_and_b32 exec_lo, exec_lo, vcc_lo
	s_cbranch_execz .LBB73_14
; %bb.32:
	s_load_b64 s[0:1], s[0:1], 0x58
	s_wait_dscnt 0x2
	v_add_nc_u32_e32 v0, v5, v0
	s_wait_dscnt 0x1
	v_add_nc_u32_e32 v1, v6, v1
	;; [unrolled: 2-line block ×3, first 2 shown]
	s_cmp_eq_u32 s13, 0
	v_mul_lo_u32 v0, v0, s12
	v_mul_lo_u32 v1, v1, s12
	s_delay_alu instid0(VALU_DEP_3)
	v_mul_lo_u32 v4, v4, s12
	s_cbranch_scc1 .LBB73_34
; %bb.33:
	s_wait_kmcnt 0x0
	v_mad_co_u64_u32 v[10:11], null, v2, 12, s[0:1]
	s_mov_b32 s2, 0
	v_mov_b32_e32 v5, v11
	s_delay_alu instid0(VALU_DEP_1) | instskip(NEXT) | instid1(VALU_DEP_1)
	v_mad_co_u64_u32 v[5:6], null, v3, 12, v[5:6]
	v_mov_b32_e32 v11, v5
	global_load_b96 v[5:7], v[10:11], off
	s_wait_loadcnt 0x0
	v_mad_co_u64_u32 v[12:13], null, v7, s13, v[4:5]
	v_mad_co_u64_u32 v[7:8], null, v5, s13, v[0:1]
	;; [unrolled: 1-line block ×3, first 2 shown]
	s_delay_alu instid0(VALU_DEP_3)
	v_mov_b32_e32 v9, v12
	global_store_b96 v[10:11], v[7:9], off
.LBB73_34:
	s_wait_alu 0xfffe
	s_and_not1_b32 vcc_lo, exec_lo, s2
	s_wait_alu 0xfffe
	s_cbranch_vccnz .LBB73_14
; %bb.35:
	s_wait_kmcnt 0x0
	v_mad_co_u64_u32 v[5:6], null, v2, 12, s[0:1]
	s_delay_alu instid0(VALU_DEP_1) | instskip(NEXT) | instid1(VALU_DEP_1)
	v_mov_b32_e32 v2, v6
	v_mad_co_u64_u32 v[2:3], null, v3, 12, v[2:3]
	s_delay_alu instid0(VALU_DEP_1)
	v_mov_b32_e32 v6, v2
	v_mov_b32_e32 v2, v4
	global_store_b96 v[5:6], v[0:2], off
	s_endpgm
	.section	.rodata,"a",@progbits
	.p2align	6, 0x0
	.amdhsa_kernel _ZN9rocsparseL18bsrxmvn_3x3_kernelILj256ELj32EillaaiEEvT3_20rocsparse_direction_NS_24const_host_device_scalarIT1_EES1_PKS1_PKT2_SA_S7_PKT4_PKT5_S5_PT6_21rocsparse_index_base_b
		.amdhsa_group_segment_fixed_size 0
		.amdhsa_private_segment_fixed_size 0
		.amdhsa_kernarg_size 104
		.amdhsa_user_sgpr_count 2
		.amdhsa_user_sgpr_dispatch_ptr 0
		.amdhsa_user_sgpr_queue_ptr 0
		.amdhsa_user_sgpr_kernarg_segment_ptr 1
		.amdhsa_user_sgpr_dispatch_id 0
		.amdhsa_user_sgpr_private_segment_size 0
		.amdhsa_wavefront_size32 1
		.amdhsa_uses_dynamic_stack 0
		.amdhsa_enable_private_segment 0
		.amdhsa_system_sgpr_workgroup_id_x 1
		.amdhsa_system_sgpr_workgroup_id_y 0
		.amdhsa_system_sgpr_workgroup_id_z 0
		.amdhsa_system_sgpr_workgroup_info 0
		.amdhsa_system_vgpr_workitem_id 0
		.amdhsa_next_free_vgpr 29
		.amdhsa_next_free_sgpr 14
		.amdhsa_reserve_vcc 1
		.amdhsa_float_round_mode_32 0
		.amdhsa_float_round_mode_16_64 0
		.amdhsa_float_denorm_mode_32 3
		.amdhsa_float_denorm_mode_16_64 3
		.amdhsa_fp16_overflow 0
		.amdhsa_workgroup_processor_mode 1
		.amdhsa_memory_ordered 1
		.amdhsa_forward_progress 1
		.amdhsa_inst_pref_size 18
		.amdhsa_round_robin_scheduling 0
		.amdhsa_exception_fp_ieee_invalid_op 0
		.amdhsa_exception_fp_denorm_src 0
		.amdhsa_exception_fp_ieee_div_zero 0
		.amdhsa_exception_fp_ieee_overflow 0
		.amdhsa_exception_fp_ieee_underflow 0
		.amdhsa_exception_fp_ieee_inexact 0
		.amdhsa_exception_int_div_zero 0
	.end_amdhsa_kernel
	.section	.text._ZN9rocsparseL18bsrxmvn_3x3_kernelILj256ELj32EillaaiEEvT3_20rocsparse_direction_NS_24const_host_device_scalarIT1_EES1_PKS1_PKT2_SA_S7_PKT4_PKT5_S5_PT6_21rocsparse_index_base_b,"axG",@progbits,_ZN9rocsparseL18bsrxmvn_3x3_kernelILj256ELj32EillaaiEEvT3_20rocsparse_direction_NS_24const_host_device_scalarIT1_EES1_PKS1_PKT2_SA_S7_PKT4_PKT5_S5_PT6_21rocsparse_index_base_b,comdat
.Lfunc_end73:
	.size	_ZN9rocsparseL18bsrxmvn_3x3_kernelILj256ELj32EillaaiEEvT3_20rocsparse_direction_NS_24const_host_device_scalarIT1_EES1_PKS1_PKT2_SA_S7_PKT4_PKT5_S5_PT6_21rocsparse_index_base_b, .Lfunc_end73-_ZN9rocsparseL18bsrxmvn_3x3_kernelILj256ELj32EillaaiEEvT3_20rocsparse_direction_NS_24const_host_device_scalarIT1_EES1_PKS1_PKT2_SA_S7_PKT4_PKT5_S5_PT6_21rocsparse_index_base_b
                                        ; -- End function
	.set _ZN9rocsparseL18bsrxmvn_3x3_kernelILj256ELj32EillaaiEEvT3_20rocsparse_direction_NS_24const_host_device_scalarIT1_EES1_PKS1_PKT2_SA_S7_PKT4_PKT5_S5_PT6_21rocsparse_index_base_b.num_vgpr, 29
	.set _ZN9rocsparseL18bsrxmvn_3x3_kernelILj256ELj32EillaaiEEvT3_20rocsparse_direction_NS_24const_host_device_scalarIT1_EES1_PKS1_PKT2_SA_S7_PKT4_PKT5_S5_PT6_21rocsparse_index_base_b.num_agpr, 0
	.set _ZN9rocsparseL18bsrxmvn_3x3_kernelILj256ELj32EillaaiEEvT3_20rocsparse_direction_NS_24const_host_device_scalarIT1_EES1_PKS1_PKT2_SA_S7_PKT4_PKT5_S5_PT6_21rocsparse_index_base_b.numbered_sgpr, 14
	.set _ZN9rocsparseL18bsrxmvn_3x3_kernelILj256ELj32EillaaiEEvT3_20rocsparse_direction_NS_24const_host_device_scalarIT1_EES1_PKS1_PKT2_SA_S7_PKT4_PKT5_S5_PT6_21rocsparse_index_base_b.num_named_barrier, 0
	.set _ZN9rocsparseL18bsrxmvn_3x3_kernelILj256ELj32EillaaiEEvT3_20rocsparse_direction_NS_24const_host_device_scalarIT1_EES1_PKS1_PKT2_SA_S7_PKT4_PKT5_S5_PT6_21rocsparse_index_base_b.private_seg_size, 0
	.set _ZN9rocsparseL18bsrxmvn_3x3_kernelILj256ELj32EillaaiEEvT3_20rocsparse_direction_NS_24const_host_device_scalarIT1_EES1_PKS1_PKT2_SA_S7_PKT4_PKT5_S5_PT6_21rocsparse_index_base_b.uses_vcc, 1
	.set _ZN9rocsparseL18bsrxmvn_3x3_kernelILj256ELj32EillaaiEEvT3_20rocsparse_direction_NS_24const_host_device_scalarIT1_EES1_PKS1_PKT2_SA_S7_PKT4_PKT5_S5_PT6_21rocsparse_index_base_b.uses_flat_scratch, 0
	.set _ZN9rocsparseL18bsrxmvn_3x3_kernelILj256ELj32EillaaiEEvT3_20rocsparse_direction_NS_24const_host_device_scalarIT1_EES1_PKS1_PKT2_SA_S7_PKT4_PKT5_S5_PT6_21rocsparse_index_base_b.has_dyn_sized_stack, 0
	.set _ZN9rocsparseL18bsrxmvn_3x3_kernelILj256ELj32EillaaiEEvT3_20rocsparse_direction_NS_24const_host_device_scalarIT1_EES1_PKS1_PKT2_SA_S7_PKT4_PKT5_S5_PT6_21rocsparse_index_base_b.has_recursion, 0
	.set _ZN9rocsparseL18bsrxmvn_3x3_kernelILj256ELj32EillaaiEEvT3_20rocsparse_direction_NS_24const_host_device_scalarIT1_EES1_PKS1_PKT2_SA_S7_PKT4_PKT5_S5_PT6_21rocsparse_index_base_b.has_indirect_call, 0
	.section	.AMDGPU.csdata,"",@progbits
; Kernel info:
; codeLenInByte = 2216
; TotalNumSgprs: 16
; NumVgprs: 29
; ScratchSize: 0
; MemoryBound: 0
; FloatMode: 240
; IeeeMode: 1
; LDSByteSize: 0 bytes/workgroup (compile time only)
; SGPRBlocks: 0
; VGPRBlocks: 3
; NumSGPRsForWavesPerEU: 16
; NumVGPRsForWavesPerEU: 29
; Occupancy: 16
; WaveLimiterHint : 1
; COMPUTE_PGM_RSRC2:SCRATCH_EN: 0
; COMPUTE_PGM_RSRC2:USER_SGPR: 2
; COMPUTE_PGM_RSRC2:TRAP_HANDLER: 0
; COMPUTE_PGM_RSRC2:TGID_X_EN: 1
; COMPUTE_PGM_RSRC2:TGID_Y_EN: 0
; COMPUTE_PGM_RSRC2:TGID_Z_EN: 0
; COMPUTE_PGM_RSRC2:TIDIG_COMP_CNT: 0
	.section	.text._ZN9rocsparseL18bsrxmvn_3x3_kernelILj256ELj64EillaaiEEvT3_20rocsparse_direction_NS_24const_host_device_scalarIT1_EES1_PKS1_PKT2_SA_S7_PKT4_PKT5_S5_PT6_21rocsparse_index_base_b,"axG",@progbits,_ZN9rocsparseL18bsrxmvn_3x3_kernelILj256ELj64EillaaiEEvT3_20rocsparse_direction_NS_24const_host_device_scalarIT1_EES1_PKS1_PKT2_SA_S7_PKT4_PKT5_S5_PT6_21rocsparse_index_base_b,comdat
	.globl	_ZN9rocsparseL18bsrxmvn_3x3_kernelILj256ELj64EillaaiEEvT3_20rocsparse_direction_NS_24const_host_device_scalarIT1_EES1_PKS1_PKT2_SA_S7_PKT4_PKT5_S5_PT6_21rocsparse_index_base_b ; -- Begin function _ZN9rocsparseL18bsrxmvn_3x3_kernelILj256ELj64EillaaiEEvT3_20rocsparse_direction_NS_24const_host_device_scalarIT1_EES1_PKS1_PKT2_SA_S7_PKT4_PKT5_S5_PT6_21rocsparse_index_base_b
	.p2align	8
	.type	_ZN9rocsparseL18bsrxmvn_3x3_kernelILj256ELj64EillaaiEEvT3_20rocsparse_direction_NS_24const_host_device_scalarIT1_EES1_PKS1_PKT2_SA_S7_PKT4_PKT5_S5_PT6_21rocsparse_index_base_b,@function
_ZN9rocsparseL18bsrxmvn_3x3_kernelILj256ELj64EillaaiEEvT3_20rocsparse_direction_NS_24const_host_device_scalarIT1_EES1_PKS1_PKT2_SA_S7_PKT4_PKT5_S5_PT6_21rocsparse_index_base_b: ; @_ZN9rocsparseL18bsrxmvn_3x3_kernelILj256ELj64EillaaiEEvT3_20rocsparse_direction_NS_24const_host_device_scalarIT1_EES1_PKS1_PKT2_SA_S7_PKT4_PKT5_S5_PT6_21rocsparse_index_base_b
; %bb.0:
	s_clause 0x1
	s_load_b64 s[2:3], s[0:1], 0x60
	s_load_b128 s[4:7], s[0:1], 0x10
	s_mov_b32 s10, -1
                                        ; implicit-def: $sgpr12
	s_wait_kmcnt 0x0
	s_bitcmp1_b32 s3, 0
	s_cselect_b32 s3, -1, 0
	s_delay_alu instid0(SALU_CYCLE_1) | instskip(NEXT) | instid1(SALU_CYCLE_1)
	s_xor_b32 s3, s3, -1
	s_and_b32 vcc_lo, exec_lo, s3
	s_cbranch_vccnz .LBB74_4
; %bb.1:
	s_load_b64 s[8:9], s[0:1], 0x50
	s_and_not1_b32 vcc_lo, exec_lo, s10
	s_cbranch_vccz .LBB74_5
.LBB74_2:
	s_and_b32 vcc_lo, exec_lo, s3
	s_cbranch_vccz .LBB74_6
.LBB74_3:
	s_wait_kmcnt 0x0
	s_load_b32 s13, s[8:9], 0x0
	s_cbranch_execz .LBB74_7
	s_branch .LBB74_8
.LBB74_4:
	s_load_b32 s12, s[4:5], 0x0
	s_load_b64 s[8:9], s[0:1], 0x50
	s_cbranch_execnz .LBB74_2
.LBB74_5:
	s_wait_kmcnt 0x0
	s_mov_b32 s12, s4
	s_and_b32 vcc_lo, exec_lo, s3
	s_cbranch_vccnz .LBB74_3
.LBB74_6:
                                        ; implicit-def: $sgpr13
.LBB74_7:
	s_wait_kmcnt 0x0
	s_mov_b32 s13, s8
.LBB74_8:
	s_wait_kmcnt 0x0
	s_cmp_lg_u32 s12, 0
	s_mov_b32 s8, 0
	s_cselect_b32 s3, -1, 0
	s_cmp_lg_u32 s13, 1
	s_cselect_b32 s4, -1, 0
	s_delay_alu instid0(SALU_CYCLE_1) | instskip(NEXT) | instid1(SALU_CYCLE_1)
	s_or_b32 s3, s3, s4
	s_and_not1_b32 vcc_lo, exec_lo, s3
	s_cbranch_vccnz .LBB74_14
; %bb.9:
	s_load_b64 s[4:5], s[0:1], 0x20
	v_lshrrev_b32_e32 v1, 6, v0
	v_mov_b32_e32 v7, 0
	s_delay_alu instid0(VALU_DEP_2)
	v_lshl_or_b32 v6, ttmp9, 2, v1
	s_wait_kmcnt 0x0
	s_cmp_lg_u64 s[4:5], 0
	s_cbranch_scc0 .LBB74_15
; %bb.10:
	s_delay_alu instid0(VALU_DEP_1) | instskip(SKIP_2) | instid1(SALU_CYCLE_1)
	v_cmp_gt_i64_e32 vcc_lo, s[6:7], v[6:7]
	s_mov_b32 s6, 0
                                        ; implicit-def: $vgpr2_vgpr3
                                        ; implicit-def: $vgpr4_vgpr5
	s_and_saveexec_b32 s3, vcc_lo
	s_xor_b32 s7, exec_lo, s3
	s_cbranch_execz .LBB74_12
; %bb.11:
	v_lshlrev_b64_e32 v[1:2], 3, v[6:7]
	s_mov_b32 s3, 0
	s_mov_b32 s8, exec_lo
	v_dual_mov_b32 v5, s3 :: v_dual_mov_b32 v4, s2
	s_delay_alu instid0(VALU_DEP_2) | instskip(NEXT) | instid1(VALU_DEP_1)
	v_add_co_u32 v1, vcc_lo, s4, v1
	v_add_co_ci_u32_e64 v2, null, s5, v2, vcc_lo
	global_load_b64 v[2:3], v[1:2], off
	s_wait_loadcnt 0x0
	v_sub_co_u32 v2, vcc_lo, v2, s2
	s_wait_alu 0xfffd
	v_subrev_co_ci_u32_e64 v3, null, 0, v3, vcc_lo
.LBB74_12:
	s_wait_alu 0xfffe
	s_or_b32 exec_lo, exec_lo, s7
	s_delay_alu instid0(SALU_CYCLE_1)
	s_and_b32 vcc_lo, exec_lo, s6
	s_wait_alu 0xfffe
	s_cbranch_vccnz .LBB74_16
.LBB74_13:
	s_and_saveexec_b32 s2, s8
	s_cbranch_execnz .LBB74_19
.LBB74_14:
	s_endpgm
.LBB74_15:
                                        ; implicit-def: $vgpr2_vgpr3
                                        ; implicit-def: $vgpr4_vgpr5
	s_cbranch_execz .LBB74_13
.LBB74_16:
	s_load_b64 s[4:5], s[0:1], 0x0
	s_wait_kmcnt 0x0
	v_cmp_gt_i64_e32 vcc_lo, s[4:5], v[6:7]
	s_and_saveexec_b32 s4, vcc_lo
; %bb.17:
	s_mov_b32 s3, 0
	s_or_b32 s8, s8, exec_lo
; %bb.18:
	s_wait_alu 0xfffe
	s_or_b32 exec_lo, exec_lo, s4
	v_dual_mov_b32 v5, s3 :: v_dual_mov_b32 v4, s2
	v_dual_mov_b32 v2, v6 :: v_dual_mov_b32 v3, v7
	s_and_saveexec_b32 s2, s8
	s_cbranch_execz .LBB74_14
.LBB74_19:
	s_load_b256 s[4:11], s[0:1], 0x28
	s_delay_alu instid0(VALU_DEP_1) | instskip(SKIP_2) | instid1(VALU_DEP_2)
	v_lshlrev_b64_e32 v[6:7], 3, v[2:3]
	v_dual_mov_b32 v17, 0 :: v_dual_and_b32 v16, 63, v0
	s_wait_kmcnt 0x0
	v_add_co_u32 v8, vcc_lo, s4, v6
	s_wait_alu 0xfffd
	s_delay_alu instid0(VALU_DEP_3)
	v_add_co_ci_u32_e64 v9, null, s5, v7, vcc_lo
	v_add_co_u32 v1, vcc_lo, s6, v6
	s_wait_alu 0xfffd
	v_add_co_ci_u32_e64 v6, null, s7, v7, vcc_lo
	global_load_b64 v[10:11], v[8:9], off
	v_add_co_u32 v8, vcc_lo, v8, 8
	s_wait_alu 0xfffd
	v_add_co_ci_u32_e64 v7, null, 0, v9, vcc_lo
	s_cmp_eq_u64 s[6:7], 0
	s_cselect_b32 vcc_lo, -1, 0
	s_wait_alu 0xfffe
	v_dual_cndmask_b32 v7, v6, v7 :: v_dual_cndmask_b32 v6, v1, v8
	global_load_b64 v[8:9], v[6:7], off
	s_clause 0x1
	s_load_b32 s3, s[0:1], 0x8
	s_load_b64 s[4:5], s[0:1], 0x48
	s_wait_kmcnt 0x0
	s_cmp_eq_u32 s3, 1
	s_wait_loadcnt 0x1
	v_sub_co_u32 v0, vcc_lo, v10, v4
	s_wait_alu 0xfffd
	v_sub_co_ci_u32_e64 v1, null, v11, v5, vcc_lo
	s_delay_alu instid0(VALU_DEP_2) | instskip(SKIP_1) | instid1(VALU_DEP_2)
	v_add_co_u32 v0, vcc_lo, v0, v16
	s_wait_alu 0xfffd
	v_add_co_ci_u32_e64 v1, null, 0, v1, vcc_lo
	s_delay_alu instid0(VALU_DEP_2) | instskip(SKIP_1) | instid1(VALU_DEP_1)
	v_mad_co_u64_u32 v[6:7], null, v0, 9, s[10:11]
	s_wait_loadcnt 0x0
	v_mad_co_u64_u32 v[10:11], null, v1, 9, v[7:8]
	v_sub_co_u32 v8, vcc_lo, v8, v4
	s_wait_alu 0xfffd
	v_sub_co_ci_u32_e64 v9, null, v9, v5, vcc_lo
	s_delay_alu instid0(VALU_DEP_3) | instskip(NEXT) | instid1(VALU_DEP_2)
	v_mov_b32_e32 v7, v10
	v_cmp_lt_i64_e64 s2, v[0:1], v[8:9]
	s_cbranch_scc1 .LBB74_25
; %bb.20:
	v_dual_mov_b32 v18, 0 :: v_dual_mov_b32 v19, 0
	s_and_saveexec_b32 s6, s2
	s_cbranch_execz .LBB74_24
; %bb.21:
	v_lshlrev_b64_e32 v[10:11], 3, v[0:1]
	v_mov_b32_e32 v13, v7
	v_mov_b32_e32 v15, v1
	v_dual_mov_b32 v19, 0 :: v_dual_mov_b32 v18, 0
	v_dual_mov_b32 v17, 0 :: v_dual_mov_b32 v12, v6
	v_add_co_u32 v10, vcc_lo, s8, v10
	s_wait_alu 0xfffd
	v_add_co_ci_u32_e64 v11, null, s9, v11, vcc_lo
	v_mov_b32_e32 v14, v0
	s_mov_b32 s7, 0
.LBB74_22:                              ; =>This Inner Loop Header: Depth=1
	global_load_b64 v[20:21], v[10:11], off
	s_wait_loadcnt 0x0
	v_sub_co_u32 v20, vcc_lo, v20, v4
	s_wait_alu 0xfffd
	v_sub_co_ci_u32_e64 v22, null, v21, v5, vcc_lo
	s_delay_alu instid0(VALU_DEP_2) | instskip(NEXT) | instid1(VALU_DEP_1)
	v_mad_co_u64_u32 v[20:21], null, v20, 3, s[4:5]
	v_mad_co_u64_u32 v[21:22], null, v22, 3, v[21:22]
	s_clause 0x1
	global_load_b64 v[22:23], v[12:13], off
	global_load_i8 v24, v[12:13], off offset:8
	s_clause 0x1
	global_load_u16 v25, v[20:21], off
	global_load_i8 v20, v[20:21], off offset:2
	v_add_co_u32 v12, vcc_lo, 0x240, v12
	s_wait_alu 0xfffd
	v_add_co_ci_u32_e64 v13, null, 0, v13, vcc_lo
	v_add_co_u32 v14, vcc_lo, v14, 64
	s_wait_alu 0xfffd
	v_add_co_ci_u32_e64 v15, null, 0, v15, vcc_lo
	;; [unrolled: 3-line block ×3, first 2 shown]
	s_delay_alu instid0(VALU_DEP_3)
	v_cmp_ge_i64_e64 s3, v[14:15], v[8:9]
	s_wait_alu 0xfffe
	s_or_b32 s7, s3, s7
	s_wait_loadcnt 0x3
	v_lshrrev_b32_e32 v21, 8, v22
	v_lshrrev_b32_e32 v26, 16, v22
	s_wait_loadcnt 0x1
	v_lshrrev_b32_e32 v27, 8, v25
	v_bfe_i32 v28, v25, 0, 8
	v_bfe_i32 v21, v21, 0, 8
	;; [unrolled: 1-line block ×3, first 2 shown]
	s_delay_alu instid0(VALU_DEP_4) | instskip(NEXT) | instid1(VALU_DEP_2)
	v_bfe_i32 v27, v27, 0, 8
	v_perm_b32 v21, v26, v21, 0x5040100
	s_wait_loadcnt 0x0
	s_delay_alu instid0(VALU_DEP_2)
	v_perm_b32 v26, v20, v27, 0x5040100
	v_bfe_i32 v27, v22, 0, 8
	v_perm_b32 v22, v23, v22, 0xc050403
	v_perm_b32 v23, v24, v23, 0xc040302
	;; [unrolled: 1-line block ×3, first 2 shown]
	v_pk_mul_lo_u16 v21, v26, v21
	v_mad_i32_i24 v19, v28, v27, v19
	s_delay_alu instid0(VALU_DEP_3) | instskip(NEXT) | instid1(VALU_DEP_3)
	v_dot4_i32_iu8 v18, v20, v22, v18 neg_lo:[1,1,0]
	v_bfe_i32 v24, v21, 0, 16
	v_ashrrev_i32_e32 v21, 16, v21
	v_dot4_i32_iu8 v17, v20, v23, v17 neg_lo:[1,1,0]
	s_delay_alu instid0(VALU_DEP_2)
	v_add3_u32 v19, v19, v24, v21
	s_wait_alu 0xfffe
	s_and_not1_b32 exec_lo, exec_lo, s7
	s_cbranch_execnz .LBB74_22
; %bb.23:
	s_or_b32 exec_lo, exec_lo, s7
.LBB74_24:
	s_wait_alu 0xfffe
	s_or_b32 exec_lo, exec_lo, s6
	s_cbranch_execz .LBB74_26
	s_branch .LBB74_31
.LBB74_25:
                                        ; implicit-def: $vgpr17
                                        ; implicit-def: $vgpr18
                                        ; implicit-def: $vgpr19
.LBB74_26:
	v_dual_mov_b32 v17, 0 :: v_dual_mov_b32 v18, 0
	v_mov_b32_e32 v19, 0
	s_and_saveexec_b32 s3, s2
	s_cbranch_execz .LBB74_30
; %bb.27:
	v_lshlrev_b64_e32 v[10:11], 3, v[0:1]
	v_dual_mov_b32 v19, 0 :: v_dual_mov_b32 v18, 0
	v_mov_b32_e32 v17, 0
	s_mov_b32 s6, 0
	s_delay_alu instid0(VALU_DEP_3)
	v_add_co_u32 v10, vcc_lo, s8, v10
	s_wait_alu 0xfffd
	v_add_co_ci_u32_e64 v11, null, s9, v11, vcc_lo
.LBB74_28:                              ; =>This Inner Loop Header: Depth=1
	global_load_b64 v[12:13], v[10:11], off
	s_wait_loadcnt 0x0
	v_sub_co_u32 v12, vcc_lo, v12, v4
	s_wait_alu 0xfffd
	v_sub_co_ci_u32_e64 v14, null, v13, v5, vcc_lo
	v_add_co_u32 v0, vcc_lo, v0, 64
	s_delay_alu instid0(VALU_DEP_3) | instskip(SKIP_2) | instid1(VALU_DEP_1)
	v_mad_co_u64_u32 v[12:13], null, v12, 3, s[4:5]
	s_wait_alu 0xfffd
	v_add_co_ci_u32_e64 v1, null, 0, v1, vcc_lo
	v_cmp_ge_i64_e64 s2, v[0:1], v[8:9]
	s_delay_alu instid0(VALU_DEP_3)
	v_mad_co_u64_u32 v[13:14], null, v14, 3, v[13:14]
	s_clause 0x1
	global_load_i8 v20, v[6:7], off offset:8
	global_load_b64 v[14:15], v[6:7], off
	s_clause 0x1
	global_load_u16 v21, v[12:13], off
	global_load_i8 v12, v[12:13], off offset:2
	v_add_co_u32 v6, vcc_lo, 0x240, v6
	s_wait_alu 0xfffd
	v_add_co_ci_u32_e64 v7, null, 0, v7, vcc_lo
	v_add_co_u32 v10, vcc_lo, 0x200, v10
	s_wait_alu 0xfffd
	v_add_co_ci_u32_e64 v11, null, 0, v11, vcc_lo
	s_wait_alu 0xfffe
	s_or_b32 s6, s2, s6
	s_wait_loadcnt 0x2
	v_perm_b32 v13, v20, v15, 0xc04010c
	v_perm_b32 v20, v14, v14, 0xc0c0c02
	v_bfe_i32 v22, v14, 0, 8
	s_wait_loadcnt 0x1
	v_bfe_i32 v24, v21, 0, 8
	v_perm_b32 v23, v15, v14, 0xc0c0603
	v_perm_b32 v14, v15, v14, 0xc070401
	v_or_b32_e32 v13, v13, v20
	s_wait_loadcnt 0x0
	v_perm_b32 v15, v12, v21, 0xc040100
	v_perm_b32 v12, v12, v21, 0xc0c0401
	v_mad_i32_i24 v19, v24, v22, v19
	s_delay_alu instid0(VALU_DEP_3) | instskip(SKIP_1) | instid1(VALU_DEP_3)
	v_dot4_i32_iu8 v18, v15, v14, v18 neg_lo:[1,1,0]
	v_dot4_i32_iu8 v17, v15, v13, v17 neg_lo:[1,1,0]
	;; [unrolled: 1-line block ×3, first 2 shown]
	s_wait_alu 0xfffe
	s_and_not1_b32 exec_lo, exec_lo, s6
	s_cbranch_execnz .LBB74_28
; %bb.29:
	s_or_b32 exec_lo, exec_lo, s6
.LBB74_30:
	s_wait_alu 0xfffe
	s_or_b32 exec_lo, exec_lo, s3
.LBB74_31:
	v_mbcnt_lo_u32_b32 v0, -1, 0
	s_mov_b32 s2, -1
	s_delay_alu instid0(VALU_DEP_1) | instskip(SKIP_2) | instid1(VALU_DEP_3)
	v_or_b32_e32 v1, 32, v0
	v_xor_b32_e32 v6, 16, v0
	v_xor_b32_e32 v9, 8, v0
	v_cmp_gt_i32_e32 vcc_lo, 32, v1
	s_wait_alu 0xfffd
	v_cndmask_b32_e32 v1, v0, v1, vcc_lo
	v_cmp_gt_i32_e32 vcc_lo, 32, v6
	s_wait_alu 0xfffd
	v_cndmask_b32_e32 v6, v0, v6, vcc_lo
	v_cmp_gt_i32_e32 vcc_lo, 32, v9
	s_delay_alu instid0(VALU_DEP_2)
	v_lshlrev_b32_e32 v6, 2, v6
	v_lshlrev_b32_e32 v1, 2, v1
	ds_bpermute_b32 v4, v1, v19
	ds_bpermute_b32 v5, v1, v18
	;; [unrolled: 1-line block ×3, first 2 shown]
	s_wait_dscnt 0x2
	v_add_nc_u32_e32 v4, v4, v19
	s_wait_dscnt 0x1
	v_add_nc_u32_e32 v5, v5, v18
	;; [unrolled: 2-line block ×3, first 2 shown]
	ds_bpermute_b32 v7, v6, v4
	ds_bpermute_b32 v8, v6, v5
	ds_bpermute_b32 v6, v6, v1
	s_wait_dscnt 0x2
	s_wait_alu 0xfffd
	v_dual_cndmask_b32 v9, v0, v9 :: v_dual_add_nc_u32 v4, v7, v4
	s_delay_alu instid0(VALU_DEP_1)
	v_lshlrev_b32_e32 v9, 2, v9
	s_wait_dscnt 0x1
	v_add_nc_u32_e32 v5, v8, v5
	s_wait_dscnt 0x0
	v_add_nc_u32_e32 v1, v6, v1
	ds_bpermute_b32 v6, v9, v4
	ds_bpermute_b32 v7, v9, v5
	;; [unrolled: 1-line block ×3, first 2 shown]
	v_xor_b32_e32 v9, 4, v0
	s_delay_alu instid0(VALU_DEP_1) | instskip(SKIP_3) | instid1(VALU_DEP_1)
	v_cmp_gt_i32_e32 vcc_lo, 32, v9
	s_wait_dscnt 0x2
	s_wait_alu 0xfffd
	v_dual_cndmask_b32 v9, v0, v9 :: v_dual_add_nc_u32 v4, v6, v4
	v_lshlrev_b32_e32 v9, 2, v9
	s_wait_dscnt 0x1
	v_add_nc_u32_e32 v5, v7, v5
	s_wait_dscnt 0x0
	v_add_nc_u32_e32 v1, v8, v1
	ds_bpermute_b32 v6, v9, v4
	ds_bpermute_b32 v7, v9, v5
	;; [unrolled: 1-line block ×3, first 2 shown]
	v_xor_b32_e32 v9, 2, v0
	s_delay_alu instid0(VALU_DEP_1) | instskip(SKIP_3) | instid1(VALU_DEP_1)
	v_cmp_gt_i32_e32 vcc_lo, 32, v9
	s_wait_dscnt 0x2
	s_wait_alu 0xfffd
	v_dual_cndmask_b32 v9, v0, v9 :: v_dual_add_nc_u32 v4, v6, v4
	v_lshlrev_b32_e32 v9, 2, v9
	s_wait_dscnt 0x1
	v_add_nc_u32_e32 v5, v7, v5
	s_wait_dscnt 0x0
	v_add_nc_u32_e32 v6, v8, v1
	ds_bpermute_b32 v1, v9, v4
	ds_bpermute_b32 v7, v9, v5
	;; [unrolled: 1-line block ×3, first 2 shown]
	v_xor_b32_e32 v9, 1, v0
	s_delay_alu instid0(VALU_DEP_1) | instskip(SKIP_3) | instid1(VALU_DEP_2)
	v_cmp_gt_i32_e32 vcc_lo, 32, v9
	s_wait_alu 0xfffd
	v_cndmask_b32_e32 v0, v0, v9, vcc_lo
	v_cmp_eq_u32_e32 vcc_lo, 63, v16
	v_lshlrev_b32_e32 v9, 2, v0
	s_wait_dscnt 0x2
	v_add_nc_u32_e32 v0, v1, v4
	s_wait_dscnt 0x1
	v_add_nc_u32_e32 v1, v7, v5
	;; [unrolled: 2-line block ×3, first 2 shown]
	ds_bpermute_b32 v5, v9, v0
	ds_bpermute_b32 v6, v9, v1
	;; [unrolled: 1-line block ×3, first 2 shown]
	s_and_b32 exec_lo, exec_lo, vcc_lo
	s_cbranch_execz .LBB74_14
; %bb.32:
	s_load_b64 s[0:1], s[0:1], 0x58
	s_wait_dscnt 0x2
	v_add_nc_u32_e32 v0, v5, v0
	s_wait_dscnt 0x1
	v_add_nc_u32_e32 v1, v6, v1
	;; [unrolled: 2-line block ×3, first 2 shown]
	s_cmp_eq_u32 s13, 0
	v_mul_lo_u32 v0, v0, s12
	v_mul_lo_u32 v1, v1, s12
	s_delay_alu instid0(VALU_DEP_3)
	v_mul_lo_u32 v4, v4, s12
	s_cbranch_scc1 .LBB74_34
; %bb.33:
	s_wait_kmcnt 0x0
	v_mad_co_u64_u32 v[10:11], null, v2, 12, s[0:1]
	s_mov_b32 s2, 0
	v_mov_b32_e32 v5, v11
	s_delay_alu instid0(VALU_DEP_1) | instskip(NEXT) | instid1(VALU_DEP_1)
	v_mad_co_u64_u32 v[5:6], null, v3, 12, v[5:6]
	v_mov_b32_e32 v11, v5
	global_load_b96 v[5:7], v[10:11], off
	s_wait_loadcnt 0x0
	v_mad_co_u64_u32 v[12:13], null, v7, s13, v[4:5]
	v_mad_co_u64_u32 v[7:8], null, v5, s13, v[0:1]
	;; [unrolled: 1-line block ×3, first 2 shown]
	s_delay_alu instid0(VALU_DEP_3)
	v_mov_b32_e32 v9, v12
	global_store_b96 v[10:11], v[7:9], off
.LBB74_34:
	s_wait_alu 0xfffe
	s_and_not1_b32 vcc_lo, exec_lo, s2
	s_wait_alu 0xfffe
	s_cbranch_vccnz .LBB74_14
; %bb.35:
	s_wait_kmcnt 0x0
	v_mad_co_u64_u32 v[5:6], null, v2, 12, s[0:1]
	s_delay_alu instid0(VALU_DEP_1) | instskip(NEXT) | instid1(VALU_DEP_1)
	v_mov_b32_e32 v2, v6
	v_mad_co_u64_u32 v[2:3], null, v3, 12, v[2:3]
	s_delay_alu instid0(VALU_DEP_1)
	v_mov_b32_e32 v6, v2
	v_mov_b32_e32 v2, v4
	global_store_b96 v[5:6], v[0:2], off
	s_endpgm
	.section	.rodata,"a",@progbits
	.p2align	6, 0x0
	.amdhsa_kernel _ZN9rocsparseL18bsrxmvn_3x3_kernelILj256ELj64EillaaiEEvT3_20rocsparse_direction_NS_24const_host_device_scalarIT1_EES1_PKS1_PKT2_SA_S7_PKT4_PKT5_S5_PT6_21rocsparse_index_base_b
		.amdhsa_group_segment_fixed_size 0
		.amdhsa_private_segment_fixed_size 0
		.amdhsa_kernarg_size 104
		.amdhsa_user_sgpr_count 2
		.amdhsa_user_sgpr_dispatch_ptr 0
		.amdhsa_user_sgpr_queue_ptr 0
		.amdhsa_user_sgpr_kernarg_segment_ptr 1
		.amdhsa_user_sgpr_dispatch_id 0
		.amdhsa_user_sgpr_private_segment_size 0
		.amdhsa_wavefront_size32 1
		.amdhsa_uses_dynamic_stack 0
		.amdhsa_enable_private_segment 0
		.amdhsa_system_sgpr_workgroup_id_x 1
		.amdhsa_system_sgpr_workgroup_id_y 0
		.amdhsa_system_sgpr_workgroup_id_z 0
		.amdhsa_system_sgpr_workgroup_info 0
		.amdhsa_system_vgpr_workitem_id 0
		.amdhsa_next_free_vgpr 29
		.amdhsa_next_free_sgpr 14
		.amdhsa_reserve_vcc 1
		.amdhsa_float_round_mode_32 0
		.amdhsa_float_round_mode_16_64 0
		.amdhsa_float_denorm_mode_32 3
		.amdhsa_float_denorm_mode_16_64 3
		.amdhsa_fp16_overflow 0
		.amdhsa_workgroup_processor_mode 1
		.amdhsa_memory_ordered 1
		.amdhsa_forward_progress 1
		.amdhsa_inst_pref_size 18
		.amdhsa_round_robin_scheduling 0
		.amdhsa_exception_fp_ieee_invalid_op 0
		.amdhsa_exception_fp_denorm_src 0
		.amdhsa_exception_fp_ieee_div_zero 0
		.amdhsa_exception_fp_ieee_overflow 0
		.amdhsa_exception_fp_ieee_underflow 0
		.amdhsa_exception_fp_ieee_inexact 0
		.amdhsa_exception_int_div_zero 0
	.end_amdhsa_kernel
	.section	.text._ZN9rocsparseL18bsrxmvn_3x3_kernelILj256ELj64EillaaiEEvT3_20rocsparse_direction_NS_24const_host_device_scalarIT1_EES1_PKS1_PKT2_SA_S7_PKT4_PKT5_S5_PT6_21rocsparse_index_base_b,"axG",@progbits,_ZN9rocsparseL18bsrxmvn_3x3_kernelILj256ELj64EillaaiEEvT3_20rocsparse_direction_NS_24const_host_device_scalarIT1_EES1_PKS1_PKT2_SA_S7_PKT4_PKT5_S5_PT6_21rocsparse_index_base_b,comdat
.Lfunc_end74:
	.size	_ZN9rocsparseL18bsrxmvn_3x3_kernelILj256ELj64EillaaiEEvT3_20rocsparse_direction_NS_24const_host_device_scalarIT1_EES1_PKS1_PKT2_SA_S7_PKT4_PKT5_S5_PT6_21rocsparse_index_base_b, .Lfunc_end74-_ZN9rocsparseL18bsrxmvn_3x3_kernelILj256ELj64EillaaiEEvT3_20rocsparse_direction_NS_24const_host_device_scalarIT1_EES1_PKS1_PKT2_SA_S7_PKT4_PKT5_S5_PT6_21rocsparse_index_base_b
                                        ; -- End function
	.set _ZN9rocsparseL18bsrxmvn_3x3_kernelILj256ELj64EillaaiEEvT3_20rocsparse_direction_NS_24const_host_device_scalarIT1_EES1_PKS1_PKT2_SA_S7_PKT4_PKT5_S5_PT6_21rocsparse_index_base_b.num_vgpr, 29
	.set _ZN9rocsparseL18bsrxmvn_3x3_kernelILj256ELj64EillaaiEEvT3_20rocsparse_direction_NS_24const_host_device_scalarIT1_EES1_PKS1_PKT2_SA_S7_PKT4_PKT5_S5_PT6_21rocsparse_index_base_b.num_agpr, 0
	.set _ZN9rocsparseL18bsrxmvn_3x3_kernelILj256ELj64EillaaiEEvT3_20rocsparse_direction_NS_24const_host_device_scalarIT1_EES1_PKS1_PKT2_SA_S7_PKT4_PKT5_S5_PT6_21rocsparse_index_base_b.numbered_sgpr, 14
	.set _ZN9rocsparseL18bsrxmvn_3x3_kernelILj256ELj64EillaaiEEvT3_20rocsparse_direction_NS_24const_host_device_scalarIT1_EES1_PKS1_PKT2_SA_S7_PKT4_PKT5_S5_PT6_21rocsparse_index_base_b.num_named_barrier, 0
	.set _ZN9rocsparseL18bsrxmvn_3x3_kernelILj256ELj64EillaaiEEvT3_20rocsparse_direction_NS_24const_host_device_scalarIT1_EES1_PKS1_PKT2_SA_S7_PKT4_PKT5_S5_PT6_21rocsparse_index_base_b.private_seg_size, 0
	.set _ZN9rocsparseL18bsrxmvn_3x3_kernelILj256ELj64EillaaiEEvT3_20rocsparse_direction_NS_24const_host_device_scalarIT1_EES1_PKS1_PKT2_SA_S7_PKT4_PKT5_S5_PT6_21rocsparse_index_base_b.uses_vcc, 1
	.set _ZN9rocsparseL18bsrxmvn_3x3_kernelILj256ELj64EillaaiEEvT3_20rocsparse_direction_NS_24const_host_device_scalarIT1_EES1_PKS1_PKT2_SA_S7_PKT4_PKT5_S5_PT6_21rocsparse_index_base_b.uses_flat_scratch, 0
	.set _ZN9rocsparseL18bsrxmvn_3x3_kernelILj256ELj64EillaaiEEvT3_20rocsparse_direction_NS_24const_host_device_scalarIT1_EES1_PKS1_PKT2_SA_S7_PKT4_PKT5_S5_PT6_21rocsparse_index_base_b.has_dyn_sized_stack, 0
	.set _ZN9rocsparseL18bsrxmvn_3x3_kernelILj256ELj64EillaaiEEvT3_20rocsparse_direction_NS_24const_host_device_scalarIT1_EES1_PKS1_PKT2_SA_S7_PKT4_PKT5_S5_PT6_21rocsparse_index_base_b.has_recursion, 0
	.set _ZN9rocsparseL18bsrxmvn_3x3_kernelILj256ELj64EillaaiEEvT3_20rocsparse_direction_NS_24const_host_device_scalarIT1_EES1_PKS1_PKT2_SA_S7_PKT4_PKT5_S5_PT6_21rocsparse_index_base_b.has_indirect_call, 0
	.section	.AMDGPU.csdata,"",@progbits
; Kernel info:
; codeLenInByte = 2288
; TotalNumSgprs: 16
; NumVgprs: 29
; ScratchSize: 0
; MemoryBound: 0
; FloatMode: 240
; IeeeMode: 1
; LDSByteSize: 0 bytes/workgroup (compile time only)
; SGPRBlocks: 0
; VGPRBlocks: 3
; NumSGPRsForWavesPerEU: 16
; NumVGPRsForWavesPerEU: 29
; Occupancy: 16
; WaveLimiterHint : 1
; COMPUTE_PGM_RSRC2:SCRATCH_EN: 0
; COMPUTE_PGM_RSRC2:USER_SGPR: 2
; COMPUTE_PGM_RSRC2:TRAP_HANDLER: 0
; COMPUTE_PGM_RSRC2:TGID_X_EN: 1
; COMPUTE_PGM_RSRC2:TGID_Y_EN: 0
; COMPUTE_PGM_RSRC2:TGID_Z_EN: 0
; COMPUTE_PGM_RSRC2:TIDIG_COMP_CNT: 0
	.section	.text._ZN9rocsparseL18bsrxmvn_3x3_kernelILj256ELj4EfiiaafEEvT3_20rocsparse_direction_NS_24const_host_device_scalarIT1_EES1_PKS1_PKT2_SA_S7_PKT4_PKT5_S5_PT6_21rocsparse_index_base_b,"axG",@progbits,_ZN9rocsparseL18bsrxmvn_3x3_kernelILj256ELj4EfiiaafEEvT3_20rocsparse_direction_NS_24const_host_device_scalarIT1_EES1_PKS1_PKT2_SA_S7_PKT4_PKT5_S5_PT6_21rocsparse_index_base_b,comdat
	.globl	_ZN9rocsparseL18bsrxmvn_3x3_kernelILj256ELj4EfiiaafEEvT3_20rocsparse_direction_NS_24const_host_device_scalarIT1_EES1_PKS1_PKT2_SA_S7_PKT4_PKT5_S5_PT6_21rocsparse_index_base_b ; -- Begin function _ZN9rocsparseL18bsrxmvn_3x3_kernelILj256ELj4EfiiaafEEvT3_20rocsparse_direction_NS_24const_host_device_scalarIT1_EES1_PKS1_PKT2_SA_S7_PKT4_PKT5_S5_PT6_21rocsparse_index_base_b
	.p2align	8
	.type	_ZN9rocsparseL18bsrxmvn_3x3_kernelILj256ELj4EfiiaafEEvT3_20rocsparse_direction_NS_24const_host_device_scalarIT1_EES1_PKS1_PKT2_SA_S7_PKT4_PKT5_S5_PT6_21rocsparse_index_base_b,@function
_ZN9rocsparseL18bsrxmvn_3x3_kernelILj256ELj4EfiiaafEEvT3_20rocsparse_direction_NS_24const_host_device_scalarIT1_EES1_PKS1_PKT2_SA_S7_PKT4_PKT5_S5_PT6_21rocsparse_index_base_b: ; @_ZN9rocsparseL18bsrxmvn_3x3_kernelILj256ELj4EfiiaafEEvT3_20rocsparse_direction_NS_24const_host_device_scalarIT1_EES1_PKS1_PKT2_SA_S7_PKT4_PKT5_S5_PT6_21rocsparse_index_base_b
; %bb.0:
	s_clause 0x2
	s_load_b64 s[16:17], s[0:1], 0x58
	s_load_b64 s[14:15], s[0:1], 0x8
	;; [unrolled: 1-line block ×3, first 2 shown]
	s_wait_kmcnt 0x0
	s_bitcmp1_b32 s17, 0
	s_cselect_b32 s2, -1, 0
	s_delay_alu instid0(SALU_CYCLE_1)
	s_and_b32 vcc_lo, exec_lo, s2
	s_xor_b32 s2, s2, -1
	s_cbranch_vccnz .LBB75_2
; %bb.1:
	s_load_b32 s14, s[14:15], 0x0
.LBB75_2:
	s_and_not1_b32 vcc_lo, exec_lo, s2
	s_cbranch_vccnz .LBB75_4
; %bb.3:
	s_load_b32 s12, s[12:13], 0x0
.LBB75_4:
	s_wait_kmcnt 0x0
	s_cmp_neq_f32 s14, 0
	s_mov_b32 s6, 0
	s_cselect_b32 s2, -1, 0
	s_cmp_neq_f32 s12, 1.0
	s_cselect_b32 s3, -1, 0
	s_delay_alu instid0(SALU_CYCLE_1) | instskip(NEXT) | instid1(SALU_CYCLE_1)
	s_or_b32 s2, s2, s3
	s_and_not1_b32 vcc_lo, exec_lo, s2
	s_cbranch_vccnz .LBB75_10
; %bb.5:
	s_clause 0x1
	s_load_b64 s[4:5], s[0:1], 0x18
	s_load_b64 s[2:3], s[0:1], 0x0
	v_lshrrev_b32_e32 v1, 2, v0
	s_delay_alu instid0(VALU_DEP_1)
	v_lshl_or_b32 v1, ttmp9, 6, v1
	s_wait_kmcnt 0x0
	s_cmp_lg_u64 s[4:5], 0
	s_cbranch_scc0 .LBB75_11
; %bb.6:
	s_load_b32 s6, s[0:1], 0x10
	s_mov_b32 s7, 0
                                        ; implicit-def: $vgpr2
	s_wait_kmcnt 0x0
	v_cmp_gt_i32_e32 vcc_lo, s6, v1
	s_mov_b32 s6, 0
	s_and_saveexec_b32 s8, vcc_lo
	s_delay_alu instid0(SALU_CYCLE_1)
	s_xor_b32 s8, exec_lo, s8
	s_cbranch_execz .LBB75_8
; %bb.7:
	v_ashrrev_i32_e32 v2, 31, v1
	s_mov_b32 s6, exec_lo
	s_delay_alu instid0(VALU_DEP_1) | instskip(NEXT) | instid1(VALU_DEP_1)
	v_lshlrev_b64_e32 v[2:3], 2, v[1:2]
	v_add_co_u32 v2, vcc_lo, s4, v2
	s_delay_alu instid0(VALU_DEP_1)
	v_add_co_ci_u32_e64 v3, null, s5, v3, vcc_lo
	global_load_b32 v2, v[2:3], off
	s_wait_loadcnt 0x0
	v_subrev_nc_u32_e32 v2, s16, v2
.LBB75_8:
	s_or_b32 exec_lo, exec_lo, s8
	s_delay_alu instid0(SALU_CYCLE_1)
	s_and_b32 vcc_lo, exec_lo, s7
	s_wait_alu 0xfffe
	s_cbranch_vccz .LBB75_12
.LBB75_9:
	v_cmp_gt_i32_e32 vcc_lo, s2, v1
	s_and_not1_b32 s2, s6, exec_lo
	s_and_b32 s4, vcc_lo, exec_lo
	s_wait_alu 0xfffe
	s_or_b32 s6, s2, s4
	s_wait_alu 0xfffe
	s_and_saveexec_b32 s2, s6
	s_cbranch_execnz .LBB75_13
.LBB75_10:
	s_endpgm
.LBB75_11:
                                        ; implicit-def: $vgpr2
	s_cbranch_execnz .LBB75_9
.LBB75_12:
	v_mov_b32_e32 v1, v2
	s_and_saveexec_b32 s2, s6
	s_cbranch_execz .LBB75_10
.LBB75_13:
	s_load_b256 s[4:11], s[0:1], 0x20
	s_delay_alu instid0(VALU_DEP_1) | instskip(SKIP_1) | instid1(VALU_DEP_2)
	v_ashrrev_i32_e32 v2, 31, v1
	v_and_b32_e32 v0, 3, v0
	v_lshlrev_b64_e32 v[2:3], 2, v[1:2]
	s_wait_kmcnt 0x0
	s_delay_alu instid0(VALU_DEP_1) | instskip(SKIP_1) | instid1(VALU_DEP_2)
	v_add_co_u32 v4, vcc_lo, s4, v2
	s_wait_alu 0xfffd
	v_add_co_ci_u32_e64 v5, null, s5, v3, vcc_lo
	v_add_co_u32 v2, vcc_lo, s6, v2
	s_wait_alu 0xfffd
	v_add_co_ci_u32_e64 v3, null, s7, v3, vcc_lo
	;; [unrolled: 3-line block ×3, first 2 shown]
	s_cmp_eq_u64 s[6:7], 0
	global_load_b32 v4, v[4:5], off
	s_cselect_b32 vcc_lo, -1, 0
	s_load_b64 s[4:5], s[0:1], 0x40
	v_dual_cndmask_b32 v3, v3, v7 :: v_dual_cndmask_b32 v2, v2, v6
	s_cmp_eq_u32 s3, 1
	global_load_b32 v3, v[2:3], off
	s_wait_loadcnt 0x1
	v_subrev_nc_u32_e32 v2, s16, v4
	s_delay_alu instid0(VALU_DEP_1) | instskip(SKIP_2) | instid1(VALU_DEP_2)
	v_add_nc_u32_e32 v2, v2, v0
	s_wait_loadcnt 0x0
	v_subrev_nc_u32_e32 v13, s16, v3
	v_mad_co_i64_i32 v[4:5], null, v2, 9, s[10:11]
	s_delay_alu instid0(VALU_DEP_2)
	v_cmp_lt_i32_e64 s2, v2, v13
	s_cbranch_scc1 .LBB75_19
; %bb.14:
	v_dual_mov_b32 v10, 0 :: v_dual_mov_b32 v11, 0
	v_mov_b32_e32 v12, 0
	s_and_saveexec_b32 s3, s2
	s_cbranch_execz .LBB75_18
; %bb.15:
	v_dual_mov_b32 v10, 0 :: v_dual_mov_b32 v7, v5
	v_dual_mov_b32 v6, v4 :: v_dual_mov_b32 v11, 0
	v_mov_b32_e32 v8, v2
	v_mov_b32_e32 v12, 0
	s_mov_b32 s6, 0
.LBB75_16:                              ; =>This Inner Loop Header: Depth=1
	s_delay_alu instid0(VALU_DEP_2) | instskip(NEXT) | instid1(VALU_DEP_1)
	v_ashrrev_i32_e32 v9, 31, v8
	v_lshlrev_b64_e32 v[14:15], 2, v[8:9]
	s_delay_alu instid0(VALU_DEP_1) | instskip(SKIP_1) | instid1(VALU_DEP_2)
	v_add_co_u32 v14, vcc_lo, s8, v14
	s_wait_alu 0xfffd
	v_add_co_ci_u32_e64 v15, null, s9, v15, vcc_lo
	global_load_b32 v3, v[14:15], off
	global_load_b64 v[14:15], v[6:7], off
	s_wait_loadcnt 0x1
	v_subrev_nc_u32_e32 v3, s16, v3
	s_wait_loadcnt 0x0
	v_bfe_i32 v18, v14, 8, 8
	v_bfe_i32 v19, v14, 16, 8
	;; [unrolled: 1-line block ×4, first 2 shown]
	v_lshl_add_u32 v3, v3, 1, v3
	v_bfe_i32 v21, v15, 8, 8
	v_ashrrev_i32_e32 v15, 24, v15
	v_cvt_f32_i32_e32 v22, v22
	v_cvt_f32_i32_e32 v18, v18
	v_ashrrev_i32_e32 v9, 31, v3
	s_wait_kmcnt 0x0
	v_add_co_u32 v16, vcc_lo, s4, v3
	v_cvt_f32_i32_e32 v20, v20
	v_cvt_f32_i32_e32 v15, v15
	s_wait_alu 0xfffd
	v_add_co_ci_u32_e64 v17, null, s5, v9, vcc_lo
	v_cvt_f32_i32_e32 v19, v19
	v_cvt_f32_i32_e32 v21, v21
	s_clause 0x1
	global_load_i8 v3, v[16:17], off offset:2
	global_load_u16 v9, v[16:17], off
	global_load_i8 v16, v[6:7], off offset:8
	v_bfe_i32 v17, v14, 0, 8
	v_ashrrev_i32_e32 v14, 24, v14
	v_add_co_u32 v6, vcc_lo, v6, 36
	s_wait_alu 0xfffd
	v_add_co_ci_u32_e64 v7, null, 0, v7, vcc_lo
	v_cvt_f32_i32_e32 v17, v17
	v_cvt_f32_i32_e32 v14, v14
	s_wait_loadcnt 0x2
	v_cvt_f32_i32_e32 v3, v3
	s_wait_loadcnt 0x1
	v_bfe_i32 v23, v9, 0, 8
	v_bfe_i32 v9, v9, 8, 8
	s_wait_loadcnt 0x0
	v_cvt_f32_i32_e32 v16, v16
	s_delay_alu instid0(VALU_DEP_3) | instskip(NEXT) | instid1(VALU_DEP_3)
	v_bfe_i32 v23, v23, 0, 16
	v_cvt_f32_i32_e32 v9, v9
	s_delay_alu instid0(VALU_DEP_2) | instskip(NEXT) | instid1(VALU_DEP_1)
	v_cvt_f32_i32_e32 v23, v23
	v_dual_fmac_f32 v11, v14, v23 :: v_dual_add_nc_u32 v8, 4, v8
	v_fmac_f32_e32 v12, v17, v23
	v_fmac_f32_e32 v10, v22, v23
	s_delay_alu instid0(VALU_DEP_3) | instskip(NEXT) | instid1(VALU_DEP_4)
	v_cmp_ge_i32_e32 vcc_lo, v8, v13
	v_fmac_f32_e32 v11, v20, v9
	s_delay_alu instid0(VALU_DEP_4) | instskip(NEXT) | instid1(VALU_DEP_4)
	v_fmac_f32_e32 v12, v18, v9
	v_fmac_f32_e32 v10, v15, v9
	s_wait_alu 0xfffe
	s_or_b32 s6, vcc_lo, s6
	v_fmac_f32_e32 v11, v21, v3
	v_fmac_f32_e32 v12, v19, v3
	;; [unrolled: 1-line block ×3, first 2 shown]
	s_wait_alu 0xfffe
	s_and_not1_b32 exec_lo, exec_lo, s6
	s_cbranch_execnz .LBB75_16
; %bb.17:
	s_or_b32 exec_lo, exec_lo, s6
.LBB75_18:
	s_wait_alu 0xfffe
	s_or_b32 exec_lo, exec_lo, s3
	s_cbranch_execz .LBB75_20
	s_branch .LBB75_25
.LBB75_19:
                                        ; implicit-def: $vgpr10
                                        ; implicit-def: $vgpr11
                                        ; implicit-def: $vgpr12
.LBB75_20:
	v_dual_mov_b32 v10, 0 :: v_dual_mov_b32 v11, 0
	v_mov_b32_e32 v12, 0
	s_and_saveexec_b32 s3, s2
	s_cbranch_execz .LBB75_24
; %bb.21:
	v_dual_mov_b32 v10, 0 :: v_dual_mov_b32 v11, 0
	v_mov_b32_e32 v12, 0
	s_mov_b32 s2, 0
.LBB75_22:                              ; =>This Inner Loop Header: Depth=1
	v_ashrrev_i32_e32 v3, 31, v2
	s_delay_alu instid0(VALU_DEP_1) | instskip(NEXT) | instid1(VALU_DEP_1)
	v_lshlrev_b64_e32 v[6:7], 2, v[2:3]
	v_add_co_u32 v6, vcc_lo, s8, v6
	s_wait_alu 0xfffd
	s_delay_alu instid0(VALU_DEP_2)
	v_add_co_ci_u32_e64 v7, null, s9, v7, vcc_lo
	global_load_b32 v3, v[6:7], off
	global_load_b64 v[6:7], v[4:5], off
	s_wait_loadcnt 0x1
	v_subrev_nc_u32_e32 v3, s16, v3
	s_wait_loadcnt 0x0
	v_bfe_i32 v15, v6, 8, 8
	v_bfe_i32 v14, v6, 0, 8
	;; [unrolled: 1-line block ×4, first 2 shown]
	v_lshl_add_u32 v3, v3, 1, v3
	v_cvt_f32_i32_e32 v15, v15
	v_ashrrev_i32_e32 v6, 24, v6
	v_bfe_i32 v18, v7, 8, 8
	v_bfe_i32 v19, v7, 16, 8
	v_ashrrev_i32_e32 v9, 31, v3
	s_wait_kmcnt 0x0
	v_add_co_u32 v8, vcc_lo, s4, v3
	v_ashrrev_i32_e32 v7, 24, v7
	v_cvt_f32_i32_e32 v14, v14
	s_wait_alu 0xfffd
	v_add_co_ci_u32_e64 v9, null, s5, v9, vcc_lo
	v_cvt_f32_i32_e32 v16, v16
	v_cvt_f32_i32_e32 v17, v17
	;; [unrolled: 1-line block ×3, first 2 shown]
	s_clause 0x1
	global_load_i8 v3, v[8:9], off offset:2
	global_load_u16 v8, v[8:9], off
	global_load_i8 v9, v[4:5], off offset:8
	v_cvt_f32_i32_e32 v18, v18
	v_cvt_f32_i32_e32 v19, v19
	v_cvt_f32_i32_e32 v7, v7
	v_add_co_u32 v4, vcc_lo, v4, 36
	s_wait_alu 0xfffd
	v_add_co_ci_u32_e64 v5, null, 0, v5, vcc_lo
	s_wait_loadcnt 0x2
	v_cvt_f32_i32_e32 v3, v3
	s_wait_loadcnt 0x1
	v_bfe_i32 v20, v8, 0, 8
	v_bfe_i32 v8, v8, 8, 8
	s_wait_loadcnt 0x0
	v_cvt_f32_i32_e32 v9, v9
	s_delay_alu instid0(VALU_DEP_3) | instskip(NEXT) | instid1(VALU_DEP_3)
	v_bfe_i32 v20, v20, 0, 16
	v_cvt_f32_i32_e32 v8, v8
	s_delay_alu instid0(VALU_DEP_2) | instskip(NEXT) | instid1(VALU_DEP_1)
	v_cvt_f32_i32_e32 v20, v20
	v_dual_fmac_f32 v11, v15, v20 :: v_dual_add_nc_u32 v2, 4, v2
	v_fmac_f32_e32 v10, v16, v20
	s_delay_alu instid0(VALU_DEP_2) | instskip(NEXT) | instid1(VALU_DEP_3)
	v_cmp_ge_i32_e32 vcc_lo, v2, v13
	v_fmac_f32_e32 v11, v17, v8
	v_fmac_f32_e32 v12, v14, v20
	s_delay_alu instid0(VALU_DEP_4) | instskip(SKIP_2) | instid1(VALU_DEP_2)
	v_fmac_f32_e32 v10, v18, v8
	s_wait_alu 0xfffe
	s_or_b32 s2, vcc_lo, s2
	v_dual_fmac_f32 v11, v7, v3 :: v_dual_fmac_f32 v12, v6, v8
	s_delay_alu instid0(VALU_DEP_2) | instskip(NEXT) | instid1(VALU_DEP_2)
	v_fmac_f32_e32 v10, v9, v3
	v_fmac_f32_e32 v12, v19, v3
	s_wait_alu 0xfffe
	s_and_not1_b32 exec_lo, exec_lo, s2
	s_cbranch_execnz .LBB75_22
; %bb.23:
	s_or_b32 exec_lo, exec_lo, s2
.LBB75_24:
	s_wait_alu 0xfffe
	s_or_b32 exec_lo, exec_lo, s3
.LBB75_25:
	v_mbcnt_lo_u32_b32 v2, -1, 0
	s_mov_b32 s2, -1
	s_delay_alu instid0(VALU_DEP_1) | instskip(NEXT) | instid1(VALU_DEP_1)
	v_xor_b32_e32 v3, 2, v2
	v_cmp_gt_i32_e32 vcc_lo, 32, v3
	s_wait_alu 0xfffd
	v_cndmask_b32_e32 v3, v2, v3, vcc_lo
	s_delay_alu instid0(VALU_DEP_1) | instskip(SKIP_4) | instid1(VALU_DEP_1)
	v_lshlrev_b32_e32 v3, 2, v3
	ds_bpermute_b32 v4, v3, v12
	ds_bpermute_b32 v5, v3, v11
	;; [unrolled: 1-line block ×3, first 2 shown]
	v_xor_b32_e32 v3, 1, v2
	v_cmp_gt_i32_e32 vcc_lo, 32, v3
	s_wait_alu 0xfffd
	v_cndmask_b32_e32 v2, v2, v3, vcc_lo
	v_cmp_eq_u32_e32 vcc_lo, 3, v0
	s_wait_dscnt 0x1
	v_add_f32_e32 v3, v11, v5
	s_delay_alu instid0(VALU_DEP_3)
	v_dual_add_f32 v2, v12, v4 :: v_dual_lshlrev_b32 v7, 2, v2
	s_wait_dscnt 0x0
	v_add_f32_e32 v4, v10, v6
	ds_bpermute_b32 v6, v7, v3
	ds_bpermute_b32 v5, v7, v2
	;; [unrolled: 1-line block ×3, first 2 shown]
	s_and_b32 exec_lo, exec_lo, vcc_lo
	s_cbranch_execz .LBB75_10
; %bb.26:
	s_load_b64 s[0:1], s[0:1], 0x50
	s_wait_dscnt 0x1
	v_add_f32_e32 v0, v2, v5
	v_add_f32_e32 v2, v3, v6
	s_wait_dscnt 0x0
	v_add_f32_e32 v4, v4, v7
	v_lshl_add_u32 v3, v1, 1, v1
	s_cmp_eq_f32 s12, 0
	v_dual_mul_f32 v1, s14, v2 :: v_dual_mul_f32 v0, s14, v0
	s_delay_alu instid0(VALU_DEP_3) | instskip(NEXT) | instid1(VALU_DEP_3)
	v_mul_f32_e32 v2, s14, v4
	v_ashrrev_i32_e32 v4, 31, v3
	s_cbranch_scc0 .LBB75_28
; %bb.27:
	s_delay_alu instid0(VALU_DEP_1) | instskip(SKIP_2) | instid1(VALU_DEP_1)
	v_lshlrev_b64_e32 v[5:6], 2, v[3:4]
	s_mov_b32 s2, 0
	s_wait_kmcnt 0x0
	v_add_co_u32 v5, vcc_lo, s0, v5
	s_wait_alu 0xfffd
	s_delay_alu instid0(VALU_DEP_2)
	v_add_co_ci_u32_e64 v6, null, s1, v6, vcc_lo
	global_store_b96 v[5:6], v[0:2], off
.LBB75_28:
	s_wait_alu 0xfffe
	s_and_not1_b32 vcc_lo, exec_lo, s2
	s_wait_alu 0xfffe
	s_cbranch_vccnz .LBB75_10
; %bb.29:
	v_lshlrev_b64_e32 v[3:4], 2, v[3:4]
	s_wait_kmcnt 0x0
	s_delay_alu instid0(VALU_DEP_1) | instskip(SKIP_1) | instid1(VALU_DEP_2)
	v_add_co_u32 v6, vcc_lo, s0, v3
	s_wait_alu 0xfffd
	v_add_co_ci_u32_e64 v7, null, s1, v4, vcc_lo
	global_load_b96 v[3:5], v[6:7], off
	s_wait_loadcnt 0x0
	v_dual_fmac_f32 v0, s12, v3 :: v_dual_fmac_f32 v1, s12, v4
	v_fmac_f32_e32 v2, s12, v5
	global_store_b96 v[6:7], v[0:2], off
	s_endpgm
	.section	.rodata,"a",@progbits
	.p2align	6, 0x0
	.amdhsa_kernel _ZN9rocsparseL18bsrxmvn_3x3_kernelILj256ELj4EfiiaafEEvT3_20rocsparse_direction_NS_24const_host_device_scalarIT1_EES1_PKS1_PKT2_SA_S7_PKT4_PKT5_S5_PT6_21rocsparse_index_base_b
		.amdhsa_group_segment_fixed_size 0
		.amdhsa_private_segment_fixed_size 0
		.amdhsa_kernarg_size 96
		.amdhsa_user_sgpr_count 2
		.amdhsa_user_sgpr_dispatch_ptr 0
		.amdhsa_user_sgpr_queue_ptr 0
		.amdhsa_user_sgpr_kernarg_segment_ptr 1
		.amdhsa_user_sgpr_dispatch_id 0
		.amdhsa_user_sgpr_private_segment_size 0
		.amdhsa_wavefront_size32 1
		.amdhsa_uses_dynamic_stack 0
		.amdhsa_enable_private_segment 0
		.amdhsa_system_sgpr_workgroup_id_x 1
		.amdhsa_system_sgpr_workgroup_id_y 0
		.amdhsa_system_sgpr_workgroup_id_z 0
		.amdhsa_system_sgpr_workgroup_info 0
		.amdhsa_system_vgpr_workitem_id 0
		.amdhsa_next_free_vgpr 24
		.amdhsa_next_free_sgpr 18
		.amdhsa_reserve_vcc 1
		.amdhsa_float_round_mode_32 0
		.amdhsa_float_round_mode_16_64 0
		.amdhsa_float_denorm_mode_32 3
		.amdhsa_float_denorm_mode_16_64 3
		.amdhsa_fp16_overflow 0
		.amdhsa_workgroup_processor_mode 1
		.amdhsa_memory_ordered 1
		.amdhsa_forward_progress 1
		.amdhsa_inst_pref_size 14
		.amdhsa_round_robin_scheduling 0
		.amdhsa_exception_fp_ieee_invalid_op 0
		.amdhsa_exception_fp_denorm_src 0
		.amdhsa_exception_fp_ieee_div_zero 0
		.amdhsa_exception_fp_ieee_overflow 0
		.amdhsa_exception_fp_ieee_underflow 0
		.amdhsa_exception_fp_ieee_inexact 0
		.amdhsa_exception_int_div_zero 0
	.end_amdhsa_kernel
	.section	.text._ZN9rocsparseL18bsrxmvn_3x3_kernelILj256ELj4EfiiaafEEvT3_20rocsparse_direction_NS_24const_host_device_scalarIT1_EES1_PKS1_PKT2_SA_S7_PKT4_PKT5_S5_PT6_21rocsparse_index_base_b,"axG",@progbits,_ZN9rocsparseL18bsrxmvn_3x3_kernelILj256ELj4EfiiaafEEvT3_20rocsparse_direction_NS_24const_host_device_scalarIT1_EES1_PKS1_PKT2_SA_S7_PKT4_PKT5_S5_PT6_21rocsparse_index_base_b,comdat
.Lfunc_end75:
	.size	_ZN9rocsparseL18bsrxmvn_3x3_kernelILj256ELj4EfiiaafEEvT3_20rocsparse_direction_NS_24const_host_device_scalarIT1_EES1_PKS1_PKT2_SA_S7_PKT4_PKT5_S5_PT6_21rocsparse_index_base_b, .Lfunc_end75-_ZN9rocsparseL18bsrxmvn_3x3_kernelILj256ELj4EfiiaafEEvT3_20rocsparse_direction_NS_24const_host_device_scalarIT1_EES1_PKS1_PKT2_SA_S7_PKT4_PKT5_S5_PT6_21rocsparse_index_base_b
                                        ; -- End function
	.set _ZN9rocsparseL18bsrxmvn_3x3_kernelILj256ELj4EfiiaafEEvT3_20rocsparse_direction_NS_24const_host_device_scalarIT1_EES1_PKS1_PKT2_SA_S7_PKT4_PKT5_S5_PT6_21rocsparse_index_base_b.num_vgpr, 24
	.set _ZN9rocsparseL18bsrxmvn_3x3_kernelILj256ELj4EfiiaafEEvT3_20rocsparse_direction_NS_24const_host_device_scalarIT1_EES1_PKS1_PKT2_SA_S7_PKT4_PKT5_S5_PT6_21rocsparse_index_base_b.num_agpr, 0
	.set _ZN9rocsparseL18bsrxmvn_3x3_kernelILj256ELj4EfiiaafEEvT3_20rocsparse_direction_NS_24const_host_device_scalarIT1_EES1_PKS1_PKT2_SA_S7_PKT4_PKT5_S5_PT6_21rocsparse_index_base_b.numbered_sgpr, 18
	.set _ZN9rocsparseL18bsrxmvn_3x3_kernelILj256ELj4EfiiaafEEvT3_20rocsparse_direction_NS_24const_host_device_scalarIT1_EES1_PKS1_PKT2_SA_S7_PKT4_PKT5_S5_PT6_21rocsparse_index_base_b.num_named_barrier, 0
	.set _ZN9rocsparseL18bsrxmvn_3x3_kernelILj256ELj4EfiiaafEEvT3_20rocsparse_direction_NS_24const_host_device_scalarIT1_EES1_PKS1_PKT2_SA_S7_PKT4_PKT5_S5_PT6_21rocsparse_index_base_b.private_seg_size, 0
	.set _ZN9rocsparseL18bsrxmvn_3x3_kernelILj256ELj4EfiiaafEEvT3_20rocsparse_direction_NS_24const_host_device_scalarIT1_EES1_PKS1_PKT2_SA_S7_PKT4_PKT5_S5_PT6_21rocsparse_index_base_b.uses_vcc, 1
	.set _ZN9rocsparseL18bsrxmvn_3x3_kernelILj256ELj4EfiiaafEEvT3_20rocsparse_direction_NS_24const_host_device_scalarIT1_EES1_PKS1_PKT2_SA_S7_PKT4_PKT5_S5_PT6_21rocsparse_index_base_b.uses_flat_scratch, 0
	.set _ZN9rocsparseL18bsrxmvn_3x3_kernelILj256ELj4EfiiaafEEvT3_20rocsparse_direction_NS_24const_host_device_scalarIT1_EES1_PKS1_PKT2_SA_S7_PKT4_PKT5_S5_PT6_21rocsparse_index_base_b.has_dyn_sized_stack, 0
	.set _ZN9rocsparseL18bsrxmvn_3x3_kernelILj256ELj4EfiiaafEEvT3_20rocsparse_direction_NS_24const_host_device_scalarIT1_EES1_PKS1_PKT2_SA_S7_PKT4_PKT5_S5_PT6_21rocsparse_index_base_b.has_recursion, 0
	.set _ZN9rocsparseL18bsrxmvn_3x3_kernelILj256ELj4EfiiaafEEvT3_20rocsparse_direction_NS_24const_host_device_scalarIT1_EES1_PKS1_PKT2_SA_S7_PKT4_PKT5_S5_PT6_21rocsparse_index_base_b.has_indirect_call, 0
	.section	.AMDGPU.csdata,"",@progbits
; Kernel info:
; codeLenInByte = 1776
; TotalNumSgprs: 20
; NumVgprs: 24
; ScratchSize: 0
; MemoryBound: 0
; FloatMode: 240
; IeeeMode: 1
; LDSByteSize: 0 bytes/workgroup (compile time only)
; SGPRBlocks: 0
; VGPRBlocks: 2
; NumSGPRsForWavesPerEU: 20
; NumVGPRsForWavesPerEU: 24
; Occupancy: 16
; WaveLimiterHint : 1
; COMPUTE_PGM_RSRC2:SCRATCH_EN: 0
; COMPUTE_PGM_RSRC2:USER_SGPR: 2
; COMPUTE_PGM_RSRC2:TRAP_HANDLER: 0
; COMPUTE_PGM_RSRC2:TGID_X_EN: 1
; COMPUTE_PGM_RSRC2:TGID_Y_EN: 0
; COMPUTE_PGM_RSRC2:TGID_Z_EN: 0
; COMPUTE_PGM_RSRC2:TIDIG_COMP_CNT: 0
	.section	.text._ZN9rocsparseL18bsrxmvn_3x3_kernelILj256ELj8EfiiaafEEvT3_20rocsparse_direction_NS_24const_host_device_scalarIT1_EES1_PKS1_PKT2_SA_S7_PKT4_PKT5_S5_PT6_21rocsparse_index_base_b,"axG",@progbits,_ZN9rocsparseL18bsrxmvn_3x3_kernelILj256ELj8EfiiaafEEvT3_20rocsparse_direction_NS_24const_host_device_scalarIT1_EES1_PKS1_PKT2_SA_S7_PKT4_PKT5_S5_PT6_21rocsparse_index_base_b,comdat
	.globl	_ZN9rocsparseL18bsrxmvn_3x3_kernelILj256ELj8EfiiaafEEvT3_20rocsparse_direction_NS_24const_host_device_scalarIT1_EES1_PKS1_PKT2_SA_S7_PKT4_PKT5_S5_PT6_21rocsparse_index_base_b ; -- Begin function _ZN9rocsparseL18bsrxmvn_3x3_kernelILj256ELj8EfiiaafEEvT3_20rocsparse_direction_NS_24const_host_device_scalarIT1_EES1_PKS1_PKT2_SA_S7_PKT4_PKT5_S5_PT6_21rocsparse_index_base_b
	.p2align	8
	.type	_ZN9rocsparseL18bsrxmvn_3x3_kernelILj256ELj8EfiiaafEEvT3_20rocsparse_direction_NS_24const_host_device_scalarIT1_EES1_PKS1_PKT2_SA_S7_PKT4_PKT5_S5_PT6_21rocsparse_index_base_b,@function
_ZN9rocsparseL18bsrxmvn_3x3_kernelILj256ELj8EfiiaafEEvT3_20rocsparse_direction_NS_24const_host_device_scalarIT1_EES1_PKS1_PKT2_SA_S7_PKT4_PKT5_S5_PT6_21rocsparse_index_base_b: ; @_ZN9rocsparseL18bsrxmvn_3x3_kernelILj256ELj8EfiiaafEEvT3_20rocsparse_direction_NS_24const_host_device_scalarIT1_EES1_PKS1_PKT2_SA_S7_PKT4_PKT5_S5_PT6_21rocsparse_index_base_b
; %bb.0:
	s_clause 0x2
	s_load_b64 s[16:17], s[0:1], 0x58
	s_load_b64 s[14:15], s[0:1], 0x8
	s_load_b64 s[12:13], s[0:1], 0x48
	s_wait_kmcnt 0x0
	s_bitcmp1_b32 s17, 0
	s_cselect_b32 s2, -1, 0
	s_delay_alu instid0(SALU_CYCLE_1)
	s_and_b32 vcc_lo, exec_lo, s2
	s_xor_b32 s2, s2, -1
	s_cbranch_vccnz .LBB76_2
; %bb.1:
	s_load_b32 s14, s[14:15], 0x0
.LBB76_2:
	s_and_not1_b32 vcc_lo, exec_lo, s2
	s_cbranch_vccnz .LBB76_4
; %bb.3:
	s_load_b32 s12, s[12:13], 0x0
.LBB76_4:
	s_wait_kmcnt 0x0
	s_cmp_neq_f32 s14, 0
	s_mov_b32 s6, 0
	s_cselect_b32 s2, -1, 0
	s_cmp_neq_f32 s12, 1.0
	s_cselect_b32 s3, -1, 0
	s_delay_alu instid0(SALU_CYCLE_1) | instskip(NEXT) | instid1(SALU_CYCLE_1)
	s_or_b32 s2, s2, s3
	s_and_not1_b32 vcc_lo, exec_lo, s2
	s_cbranch_vccnz .LBB76_10
; %bb.5:
	s_clause 0x1
	s_load_b64 s[4:5], s[0:1], 0x18
	s_load_b64 s[2:3], s[0:1], 0x0
	v_lshrrev_b32_e32 v1, 3, v0
	s_delay_alu instid0(VALU_DEP_1)
	v_lshl_or_b32 v1, ttmp9, 5, v1
	s_wait_kmcnt 0x0
	s_cmp_lg_u64 s[4:5], 0
	s_cbranch_scc0 .LBB76_11
; %bb.6:
	s_load_b32 s6, s[0:1], 0x10
	s_mov_b32 s7, 0
                                        ; implicit-def: $vgpr2
	s_wait_kmcnt 0x0
	v_cmp_gt_i32_e32 vcc_lo, s6, v1
	s_mov_b32 s6, 0
	s_and_saveexec_b32 s8, vcc_lo
	s_delay_alu instid0(SALU_CYCLE_1)
	s_xor_b32 s8, exec_lo, s8
	s_cbranch_execz .LBB76_8
; %bb.7:
	v_ashrrev_i32_e32 v2, 31, v1
	s_mov_b32 s6, exec_lo
	s_delay_alu instid0(VALU_DEP_1) | instskip(NEXT) | instid1(VALU_DEP_1)
	v_lshlrev_b64_e32 v[2:3], 2, v[1:2]
	v_add_co_u32 v2, vcc_lo, s4, v2
	s_delay_alu instid0(VALU_DEP_1)
	v_add_co_ci_u32_e64 v3, null, s5, v3, vcc_lo
	global_load_b32 v2, v[2:3], off
	s_wait_loadcnt 0x0
	v_subrev_nc_u32_e32 v2, s16, v2
.LBB76_8:
	s_or_b32 exec_lo, exec_lo, s8
	s_delay_alu instid0(SALU_CYCLE_1)
	s_and_b32 vcc_lo, exec_lo, s7
	s_wait_alu 0xfffe
	s_cbranch_vccz .LBB76_12
.LBB76_9:
	v_cmp_gt_i32_e32 vcc_lo, s2, v1
	s_and_not1_b32 s2, s6, exec_lo
	s_and_b32 s4, vcc_lo, exec_lo
	s_wait_alu 0xfffe
	s_or_b32 s6, s2, s4
	s_wait_alu 0xfffe
	s_and_saveexec_b32 s2, s6
	s_cbranch_execnz .LBB76_13
.LBB76_10:
	s_endpgm
.LBB76_11:
                                        ; implicit-def: $vgpr2
	s_cbranch_execnz .LBB76_9
.LBB76_12:
	v_mov_b32_e32 v1, v2
	s_and_saveexec_b32 s2, s6
	s_cbranch_execz .LBB76_10
.LBB76_13:
	s_load_b256 s[4:11], s[0:1], 0x20
	s_delay_alu instid0(VALU_DEP_1) | instskip(SKIP_1) | instid1(VALU_DEP_2)
	v_ashrrev_i32_e32 v2, 31, v1
	v_and_b32_e32 v0, 7, v0
	v_lshlrev_b64_e32 v[2:3], 2, v[1:2]
	s_wait_kmcnt 0x0
	s_delay_alu instid0(VALU_DEP_1) | instskip(SKIP_1) | instid1(VALU_DEP_2)
	v_add_co_u32 v4, vcc_lo, s4, v2
	s_wait_alu 0xfffd
	v_add_co_ci_u32_e64 v5, null, s5, v3, vcc_lo
	v_add_co_u32 v2, vcc_lo, s6, v2
	s_wait_alu 0xfffd
	v_add_co_ci_u32_e64 v3, null, s7, v3, vcc_lo
	;; [unrolled: 3-line block ×3, first 2 shown]
	s_cmp_eq_u64 s[6:7], 0
	global_load_b32 v4, v[4:5], off
	s_cselect_b32 vcc_lo, -1, 0
	s_load_b64 s[4:5], s[0:1], 0x40
	v_dual_cndmask_b32 v3, v3, v7 :: v_dual_cndmask_b32 v2, v2, v6
	s_cmp_eq_u32 s3, 1
	global_load_b32 v3, v[2:3], off
	s_wait_loadcnt 0x1
	v_subrev_nc_u32_e32 v2, s16, v4
	s_delay_alu instid0(VALU_DEP_1) | instskip(SKIP_2) | instid1(VALU_DEP_2)
	v_add_nc_u32_e32 v2, v2, v0
	s_wait_loadcnt 0x0
	v_subrev_nc_u32_e32 v13, s16, v3
	v_mad_co_i64_i32 v[4:5], null, v2, 9, s[10:11]
	s_delay_alu instid0(VALU_DEP_2)
	v_cmp_lt_i32_e64 s2, v2, v13
	s_cbranch_scc1 .LBB76_19
; %bb.14:
	v_dual_mov_b32 v10, 0 :: v_dual_mov_b32 v11, 0
	v_mov_b32_e32 v12, 0
	s_and_saveexec_b32 s3, s2
	s_cbranch_execz .LBB76_18
; %bb.15:
	v_dual_mov_b32 v10, 0 :: v_dual_mov_b32 v7, v5
	v_dual_mov_b32 v6, v4 :: v_dual_mov_b32 v11, 0
	v_mov_b32_e32 v8, v2
	v_mov_b32_e32 v12, 0
	s_mov_b32 s6, 0
.LBB76_16:                              ; =>This Inner Loop Header: Depth=1
	s_delay_alu instid0(VALU_DEP_2) | instskip(NEXT) | instid1(VALU_DEP_1)
	v_ashrrev_i32_e32 v9, 31, v8
	v_lshlrev_b64_e32 v[14:15], 2, v[8:9]
	s_delay_alu instid0(VALU_DEP_1) | instskip(SKIP_1) | instid1(VALU_DEP_2)
	v_add_co_u32 v14, vcc_lo, s8, v14
	s_wait_alu 0xfffd
	v_add_co_ci_u32_e64 v15, null, s9, v15, vcc_lo
	global_load_b32 v3, v[14:15], off
	global_load_b64 v[14:15], v[6:7], off
	s_wait_loadcnt 0x1
	v_subrev_nc_u32_e32 v3, s16, v3
	s_wait_loadcnt 0x0
	v_bfe_i32 v18, v14, 8, 8
	v_bfe_i32 v19, v14, 16, 8
	v_bfe_i32 v22, v15, 16, 8
	v_bfe_i32 v20, v15, 0, 8
	v_lshl_add_u32 v3, v3, 1, v3
	v_bfe_i32 v21, v15, 8, 8
	v_ashrrev_i32_e32 v15, 24, v15
	v_cvt_f32_i32_e32 v22, v22
	v_cvt_f32_i32_e32 v18, v18
	v_ashrrev_i32_e32 v9, 31, v3
	s_wait_kmcnt 0x0
	v_add_co_u32 v16, vcc_lo, s4, v3
	v_cvt_f32_i32_e32 v20, v20
	v_cvt_f32_i32_e32 v15, v15
	s_wait_alu 0xfffd
	v_add_co_ci_u32_e64 v17, null, s5, v9, vcc_lo
	v_cvt_f32_i32_e32 v19, v19
	v_cvt_f32_i32_e32 v21, v21
	s_clause 0x1
	global_load_i8 v3, v[16:17], off offset:2
	global_load_u16 v9, v[16:17], off
	global_load_i8 v16, v[6:7], off offset:8
	v_bfe_i32 v17, v14, 0, 8
	v_ashrrev_i32_e32 v14, 24, v14
	v_add_co_u32 v6, vcc_lo, 0x48, v6
	s_wait_alu 0xfffd
	v_add_co_ci_u32_e64 v7, null, 0, v7, vcc_lo
	v_cvt_f32_i32_e32 v17, v17
	v_cvt_f32_i32_e32 v14, v14
	s_wait_loadcnt 0x2
	v_cvt_f32_i32_e32 v3, v3
	s_wait_loadcnt 0x1
	v_bfe_i32 v23, v9, 0, 8
	v_bfe_i32 v9, v9, 8, 8
	s_wait_loadcnt 0x0
	v_cvt_f32_i32_e32 v16, v16
	s_delay_alu instid0(VALU_DEP_3) | instskip(NEXT) | instid1(VALU_DEP_3)
	v_bfe_i32 v23, v23, 0, 16
	v_cvt_f32_i32_e32 v9, v9
	s_delay_alu instid0(VALU_DEP_2) | instskip(NEXT) | instid1(VALU_DEP_1)
	v_cvt_f32_i32_e32 v23, v23
	v_dual_fmac_f32 v11, v14, v23 :: v_dual_add_nc_u32 v8, 8, v8
	v_fmac_f32_e32 v12, v17, v23
	v_fmac_f32_e32 v10, v22, v23
	s_delay_alu instid0(VALU_DEP_3) | instskip(NEXT) | instid1(VALU_DEP_4)
	v_cmp_ge_i32_e32 vcc_lo, v8, v13
	v_fmac_f32_e32 v11, v20, v9
	s_delay_alu instid0(VALU_DEP_4) | instskip(NEXT) | instid1(VALU_DEP_4)
	v_fmac_f32_e32 v12, v18, v9
	v_fmac_f32_e32 v10, v15, v9
	s_wait_alu 0xfffe
	s_or_b32 s6, vcc_lo, s6
	v_fmac_f32_e32 v11, v21, v3
	v_fmac_f32_e32 v12, v19, v3
	;; [unrolled: 1-line block ×3, first 2 shown]
	s_wait_alu 0xfffe
	s_and_not1_b32 exec_lo, exec_lo, s6
	s_cbranch_execnz .LBB76_16
; %bb.17:
	s_or_b32 exec_lo, exec_lo, s6
.LBB76_18:
	s_wait_alu 0xfffe
	s_or_b32 exec_lo, exec_lo, s3
	s_cbranch_execz .LBB76_20
	s_branch .LBB76_25
.LBB76_19:
                                        ; implicit-def: $vgpr10
                                        ; implicit-def: $vgpr11
                                        ; implicit-def: $vgpr12
.LBB76_20:
	v_dual_mov_b32 v10, 0 :: v_dual_mov_b32 v11, 0
	v_mov_b32_e32 v12, 0
	s_and_saveexec_b32 s3, s2
	s_cbranch_execz .LBB76_24
; %bb.21:
	v_dual_mov_b32 v10, 0 :: v_dual_mov_b32 v11, 0
	v_mov_b32_e32 v12, 0
	s_mov_b32 s2, 0
.LBB76_22:                              ; =>This Inner Loop Header: Depth=1
	v_ashrrev_i32_e32 v3, 31, v2
	s_delay_alu instid0(VALU_DEP_1) | instskip(NEXT) | instid1(VALU_DEP_1)
	v_lshlrev_b64_e32 v[6:7], 2, v[2:3]
	v_add_co_u32 v6, vcc_lo, s8, v6
	s_wait_alu 0xfffd
	s_delay_alu instid0(VALU_DEP_2)
	v_add_co_ci_u32_e64 v7, null, s9, v7, vcc_lo
	global_load_b32 v3, v[6:7], off
	global_load_b64 v[6:7], v[4:5], off
	s_wait_loadcnt 0x1
	v_subrev_nc_u32_e32 v3, s16, v3
	s_wait_loadcnt 0x0
	v_bfe_i32 v15, v6, 8, 8
	v_bfe_i32 v14, v6, 0, 8
	;; [unrolled: 1-line block ×4, first 2 shown]
	v_lshl_add_u32 v3, v3, 1, v3
	v_cvt_f32_i32_e32 v15, v15
	v_ashrrev_i32_e32 v6, 24, v6
	v_bfe_i32 v18, v7, 8, 8
	v_bfe_i32 v19, v7, 16, 8
	v_ashrrev_i32_e32 v9, 31, v3
	s_wait_kmcnt 0x0
	v_add_co_u32 v8, vcc_lo, s4, v3
	v_ashrrev_i32_e32 v7, 24, v7
	v_cvt_f32_i32_e32 v14, v14
	s_wait_alu 0xfffd
	v_add_co_ci_u32_e64 v9, null, s5, v9, vcc_lo
	v_cvt_f32_i32_e32 v16, v16
	v_cvt_f32_i32_e32 v17, v17
	;; [unrolled: 1-line block ×3, first 2 shown]
	s_clause 0x1
	global_load_i8 v3, v[8:9], off offset:2
	global_load_u16 v8, v[8:9], off
	global_load_i8 v9, v[4:5], off offset:8
	v_cvt_f32_i32_e32 v18, v18
	v_cvt_f32_i32_e32 v19, v19
	;; [unrolled: 1-line block ×3, first 2 shown]
	v_add_co_u32 v4, vcc_lo, 0x48, v4
	s_wait_alu 0xfffd
	v_add_co_ci_u32_e64 v5, null, 0, v5, vcc_lo
	s_wait_loadcnt 0x2
	v_cvt_f32_i32_e32 v3, v3
	s_wait_loadcnt 0x1
	v_bfe_i32 v20, v8, 0, 8
	v_bfe_i32 v8, v8, 8, 8
	s_wait_loadcnt 0x0
	v_cvt_f32_i32_e32 v9, v9
	s_delay_alu instid0(VALU_DEP_3) | instskip(NEXT) | instid1(VALU_DEP_3)
	v_bfe_i32 v20, v20, 0, 16
	v_cvt_f32_i32_e32 v8, v8
	s_delay_alu instid0(VALU_DEP_2) | instskip(NEXT) | instid1(VALU_DEP_1)
	v_cvt_f32_i32_e32 v20, v20
	v_dual_fmac_f32 v11, v15, v20 :: v_dual_add_nc_u32 v2, 8, v2
	v_fmac_f32_e32 v10, v16, v20
	s_delay_alu instid0(VALU_DEP_2) | instskip(NEXT) | instid1(VALU_DEP_3)
	v_cmp_ge_i32_e32 vcc_lo, v2, v13
	v_fmac_f32_e32 v11, v17, v8
	v_fmac_f32_e32 v12, v14, v20
	s_delay_alu instid0(VALU_DEP_4) | instskip(SKIP_2) | instid1(VALU_DEP_2)
	v_fmac_f32_e32 v10, v18, v8
	s_wait_alu 0xfffe
	s_or_b32 s2, vcc_lo, s2
	v_dual_fmac_f32 v11, v7, v3 :: v_dual_fmac_f32 v12, v6, v8
	s_delay_alu instid0(VALU_DEP_2) | instskip(NEXT) | instid1(VALU_DEP_2)
	v_fmac_f32_e32 v10, v9, v3
	v_fmac_f32_e32 v12, v19, v3
	s_wait_alu 0xfffe
	s_and_not1_b32 exec_lo, exec_lo, s2
	s_cbranch_execnz .LBB76_22
; %bb.23:
	s_or_b32 exec_lo, exec_lo, s2
.LBB76_24:
	s_wait_alu 0xfffe
	s_or_b32 exec_lo, exec_lo, s3
.LBB76_25:
	v_mbcnt_lo_u32_b32 v2, -1, 0
	s_mov_b32 s2, -1
	s_delay_alu instid0(VALU_DEP_1) | instskip(SKIP_2) | instid1(VALU_DEP_3)
	v_xor_b32_e32 v3, 4, v2
	v_xor_b32_e32 v6, 2, v2
	;; [unrolled: 1-line block ×3, first 2 shown]
	v_cmp_gt_i32_e32 vcc_lo, 32, v3
	s_wait_alu 0xfffd
	v_cndmask_b32_e32 v3, v2, v3, vcc_lo
	v_cmp_gt_i32_e32 vcc_lo, 32, v6
	s_wait_alu 0xfffd
	v_cndmask_b32_e32 v6, v2, v6, vcc_lo
	v_cmp_gt_i32_e32 vcc_lo, 32, v9
	s_delay_alu instid0(VALU_DEP_2)
	v_lshlrev_b32_e32 v6, 2, v6
	v_lshlrev_b32_e32 v3, 2, v3
	ds_bpermute_b32 v4, v3, v12
	s_wait_dscnt 0x0
	v_add_f32_e32 v4, v12, v4
	ds_bpermute_b32 v5, v3, v11
	ds_bpermute_b32 v3, v3, v10
	s_wait_dscnt 0x1
	v_add_f32_e32 v5, v11, v5
	s_wait_dscnt 0x0
	v_add_f32_e32 v7, v10, v3
	ds_bpermute_b32 v3, v6, v4
	ds_bpermute_b32 v8, v6, v5
	;; [unrolled: 1-line block ×3, first 2 shown]
	s_wait_alu 0xfffd
	v_cndmask_b32_e32 v2, v2, v9, vcc_lo
	v_cmp_eq_u32_e32 vcc_lo, 7, v0
	s_wait_dscnt 0x2
	s_delay_alu instid0(VALU_DEP_2)
	v_dual_add_f32 v2, v4, v3 :: v_dual_lshlrev_b32 v9, 2, v2
	s_wait_dscnt 0x0
	v_dual_add_f32 v3, v5, v8 :: v_dual_add_f32 v4, v7, v6
	ds_bpermute_b32 v5, v9, v2
	ds_bpermute_b32 v6, v9, v3
	;; [unrolled: 1-line block ×3, first 2 shown]
	s_and_b32 exec_lo, exec_lo, vcc_lo
	s_cbranch_execz .LBB76_10
; %bb.26:
	s_load_b64 s[0:1], s[0:1], 0x50
	s_wait_dscnt 0x2
	v_add_f32_e32 v0, v2, v5
	s_wait_dscnt 0x1
	v_add_f32_e32 v2, v3, v6
	;; [unrolled: 2-line block ×3, first 2 shown]
	v_lshl_add_u32 v3, v1, 1, v1
	s_cmp_eq_f32 s12, 0
	v_dual_mul_f32 v1, s14, v2 :: v_dual_mul_f32 v0, s14, v0
	s_delay_alu instid0(VALU_DEP_3) | instskip(NEXT) | instid1(VALU_DEP_3)
	v_mul_f32_e32 v2, s14, v4
	v_ashrrev_i32_e32 v4, 31, v3
	s_cbranch_scc0 .LBB76_28
; %bb.27:
	s_delay_alu instid0(VALU_DEP_1) | instskip(SKIP_2) | instid1(VALU_DEP_1)
	v_lshlrev_b64_e32 v[5:6], 2, v[3:4]
	s_mov_b32 s2, 0
	s_wait_kmcnt 0x0
	v_add_co_u32 v5, vcc_lo, s0, v5
	s_wait_alu 0xfffd
	s_delay_alu instid0(VALU_DEP_2)
	v_add_co_ci_u32_e64 v6, null, s1, v6, vcc_lo
	global_store_b96 v[5:6], v[0:2], off
.LBB76_28:
	s_wait_alu 0xfffe
	s_and_not1_b32 vcc_lo, exec_lo, s2
	s_wait_alu 0xfffe
	s_cbranch_vccnz .LBB76_10
; %bb.29:
	v_lshlrev_b64_e32 v[3:4], 2, v[3:4]
	s_wait_kmcnt 0x0
	s_delay_alu instid0(VALU_DEP_1) | instskip(SKIP_1) | instid1(VALU_DEP_2)
	v_add_co_u32 v6, vcc_lo, s0, v3
	s_wait_alu 0xfffd
	v_add_co_ci_u32_e64 v7, null, s1, v4, vcc_lo
	global_load_b96 v[3:5], v[6:7], off
	s_wait_loadcnt 0x0
	v_dual_fmac_f32 v0, s12, v3 :: v_dual_fmac_f32 v1, s12, v4
	v_fmac_f32_e32 v2, s12, v5
	global_store_b96 v[6:7], v[0:2], off
	s_endpgm
	.section	.rodata,"a",@progbits
	.p2align	6, 0x0
	.amdhsa_kernel _ZN9rocsparseL18bsrxmvn_3x3_kernelILj256ELj8EfiiaafEEvT3_20rocsparse_direction_NS_24const_host_device_scalarIT1_EES1_PKS1_PKT2_SA_S7_PKT4_PKT5_S5_PT6_21rocsparse_index_base_b
		.amdhsa_group_segment_fixed_size 0
		.amdhsa_private_segment_fixed_size 0
		.amdhsa_kernarg_size 96
		.amdhsa_user_sgpr_count 2
		.amdhsa_user_sgpr_dispatch_ptr 0
		.amdhsa_user_sgpr_queue_ptr 0
		.amdhsa_user_sgpr_kernarg_segment_ptr 1
		.amdhsa_user_sgpr_dispatch_id 0
		.amdhsa_user_sgpr_private_segment_size 0
		.amdhsa_wavefront_size32 1
		.amdhsa_uses_dynamic_stack 0
		.amdhsa_enable_private_segment 0
		.amdhsa_system_sgpr_workgroup_id_x 1
		.amdhsa_system_sgpr_workgroup_id_y 0
		.amdhsa_system_sgpr_workgroup_id_z 0
		.amdhsa_system_sgpr_workgroup_info 0
		.amdhsa_system_vgpr_workitem_id 0
		.amdhsa_next_free_vgpr 24
		.amdhsa_next_free_sgpr 18
		.amdhsa_reserve_vcc 1
		.amdhsa_float_round_mode_32 0
		.amdhsa_float_round_mode_16_64 0
		.amdhsa_float_denorm_mode_32 3
		.amdhsa_float_denorm_mode_16_64 3
		.amdhsa_fp16_overflow 0
		.amdhsa_workgroup_processor_mode 1
		.amdhsa_memory_ordered 1
		.amdhsa_forward_progress 1
		.amdhsa_inst_pref_size 15
		.amdhsa_round_robin_scheduling 0
		.amdhsa_exception_fp_ieee_invalid_op 0
		.amdhsa_exception_fp_denorm_src 0
		.amdhsa_exception_fp_ieee_div_zero 0
		.amdhsa_exception_fp_ieee_overflow 0
		.amdhsa_exception_fp_ieee_underflow 0
		.amdhsa_exception_fp_ieee_inexact 0
		.amdhsa_exception_int_div_zero 0
	.end_amdhsa_kernel
	.section	.text._ZN9rocsparseL18bsrxmvn_3x3_kernelILj256ELj8EfiiaafEEvT3_20rocsparse_direction_NS_24const_host_device_scalarIT1_EES1_PKS1_PKT2_SA_S7_PKT4_PKT5_S5_PT6_21rocsparse_index_base_b,"axG",@progbits,_ZN9rocsparseL18bsrxmvn_3x3_kernelILj256ELj8EfiiaafEEvT3_20rocsparse_direction_NS_24const_host_device_scalarIT1_EES1_PKS1_PKT2_SA_S7_PKT4_PKT5_S5_PT6_21rocsparse_index_base_b,comdat
.Lfunc_end76:
	.size	_ZN9rocsparseL18bsrxmvn_3x3_kernelILj256ELj8EfiiaafEEvT3_20rocsparse_direction_NS_24const_host_device_scalarIT1_EES1_PKS1_PKT2_SA_S7_PKT4_PKT5_S5_PT6_21rocsparse_index_base_b, .Lfunc_end76-_ZN9rocsparseL18bsrxmvn_3x3_kernelILj256ELj8EfiiaafEEvT3_20rocsparse_direction_NS_24const_host_device_scalarIT1_EES1_PKS1_PKT2_SA_S7_PKT4_PKT5_S5_PT6_21rocsparse_index_base_b
                                        ; -- End function
	.set _ZN9rocsparseL18bsrxmvn_3x3_kernelILj256ELj8EfiiaafEEvT3_20rocsparse_direction_NS_24const_host_device_scalarIT1_EES1_PKS1_PKT2_SA_S7_PKT4_PKT5_S5_PT6_21rocsparse_index_base_b.num_vgpr, 24
	.set _ZN9rocsparseL18bsrxmvn_3x3_kernelILj256ELj8EfiiaafEEvT3_20rocsparse_direction_NS_24const_host_device_scalarIT1_EES1_PKS1_PKT2_SA_S7_PKT4_PKT5_S5_PT6_21rocsparse_index_base_b.num_agpr, 0
	.set _ZN9rocsparseL18bsrxmvn_3x3_kernelILj256ELj8EfiiaafEEvT3_20rocsparse_direction_NS_24const_host_device_scalarIT1_EES1_PKS1_PKT2_SA_S7_PKT4_PKT5_S5_PT6_21rocsparse_index_base_b.numbered_sgpr, 18
	.set _ZN9rocsparseL18bsrxmvn_3x3_kernelILj256ELj8EfiiaafEEvT3_20rocsparse_direction_NS_24const_host_device_scalarIT1_EES1_PKS1_PKT2_SA_S7_PKT4_PKT5_S5_PT6_21rocsparse_index_base_b.num_named_barrier, 0
	.set _ZN9rocsparseL18bsrxmvn_3x3_kernelILj256ELj8EfiiaafEEvT3_20rocsparse_direction_NS_24const_host_device_scalarIT1_EES1_PKS1_PKT2_SA_S7_PKT4_PKT5_S5_PT6_21rocsparse_index_base_b.private_seg_size, 0
	.set _ZN9rocsparseL18bsrxmvn_3x3_kernelILj256ELj8EfiiaafEEvT3_20rocsparse_direction_NS_24const_host_device_scalarIT1_EES1_PKS1_PKT2_SA_S7_PKT4_PKT5_S5_PT6_21rocsparse_index_base_b.uses_vcc, 1
	.set _ZN9rocsparseL18bsrxmvn_3x3_kernelILj256ELj8EfiiaafEEvT3_20rocsparse_direction_NS_24const_host_device_scalarIT1_EES1_PKS1_PKT2_SA_S7_PKT4_PKT5_S5_PT6_21rocsparse_index_base_b.uses_flat_scratch, 0
	.set _ZN9rocsparseL18bsrxmvn_3x3_kernelILj256ELj8EfiiaafEEvT3_20rocsparse_direction_NS_24const_host_device_scalarIT1_EES1_PKS1_PKT2_SA_S7_PKT4_PKT5_S5_PT6_21rocsparse_index_base_b.has_dyn_sized_stack, 0
	.set _ZN9rocsparseL18bsrxmvn_3x3_kernelILj256ELj8EfiiaafEEvT3_20rocsparse_direction_NS_24const_host_device_scalarIT1_EES1_PKS1_PKT2_SA_S7_PKT4_PKT5_S5_PT6_21rocsparse_index_base_b.has_recursion, 0
	.set _ZN9rocsparseL18bsrxmvn_3x3_kernelILj256ELj8EfiiaafEEvT3_20rocsparse_direction_NS_24const_host_device_scalarIT1_EES1_PKS1_PKT2_SA_S7_PKT4_PKT5_S5_PT6_21rocsparse_index_base_b.has_indirect_call, 0
	.section	.AMDGPU.csdata,"",@progbits
; Kernel info:
; codeLenInByte = 1856
; TotalNumSgprs: 20
; NumVgprs: 24
; ScratchSize: 0
; MemoryBound: 0
; FloatMode: 240
; IeeeMode: 1
; LDSByteSize: 0 bytes/workgroup (compile time only)
; SGPRBlocks: 0
; VGPRBlocks: 2
; NumSGPRsForWavesPerEU: 20
; NumVGPRsForWavesPerEU: 24
; Occupancy: 16
; WaveLimiterHint : 1
; COMPUTE_PGM_RSRC2:SCRATCH_EN: 0
; COMPUTE_PGM_RSRC2:USER_SGPR: 2
; COMPUTE_PGM_RSRC2:TRAP_HANDLER: 0
; COMPUTE_PGM_RSRC2:TGID_X_EN: 1
; COMPUTE_PGM_RSRC2:TGID_Y_EN: 0
; COMPUTE_PGM_RSRC2:TGID_Z_EN: 0
; COMPUTE_PGM_RSRC2:TIDIG_COMP_CNT: 0
	.section	.text._ZN9rocsparseL18bsrxmvn_3x3_kernelILj256ELj16EfiiaafEEvT3_20rocsparse_direction_NS_24const_host_device_scalarIT1_EES1_PKS1_PKT2_SA_S7_PKT4_PKT5_S5_PT6_21rocsparse_index_base_b,"axG",@progbits,_ZN9rocsparseL18bsrxmvn_3x3_kernelILj256ELj16EfiiaafEEvT3_20rocsparse_direction_NS_24const_host_device_scalarIT1_EES1_PKS1_PKT2_SA_S7_PKT4_PKT5_S5_PT6_21rocsparse_index_base_b,comdat
	.globl	_ZN9rocsparseL18bsrxmvn_3x3_kernelILj256ELj16EfiiaafEEvT3_20rocsparse_direction_NS_24const_host_device_scalarIT1_EES1_PKS1_PKT2_SA_S7_PKT4_PKT5_S5_PT6_21rocsparse_index_base_b ; -- Begin function _ZN9rocsparseL18bsrxmvn_3x3_kernelILj256ELj16EfiiaafEEvT3_20rocsparse_direction_NS_24const_host_device_scalarIT1_EES1_PKS1_PKT2_SA_S7_PKT4_PKT5_S5_PT6_21rocsparse_index_base_b
	.p2align	8
	.type	_ZN9rocsparseL18bsrxmvn_3x3_kernelILj256ELj16EfiiaafEEvT3_20rocsparse_direction_NS_24const_host_device_scalarIT1_EES1_PKS1_PKT2_SA_S7_PKT4_PKT5_S5_PT6_21rocsparse_index_base_b,@function
_ZN9rocsparseL18bsrxmvn_3x3_kernelILj256ELj16EfiiaafEEvT3_20rocsparse_direction_NS_24const_host_device_scalarIT1_EES1_PKS1_PKT2_SA_S7_PKT4_PKT5_S5_PT6_21rocsparse_index_base_b: ; @_ZN9rocsparseL18bsrxmvn_3x3_kernelILj256ELj16EfiiaafEEvT3_20rocsparse_direction_NS_24const_host_device_scalarIT1_EES1_PKS1_PKT2_SA_S7_PKT4_PKT5_S5_PT6_21rocsparse_index_base_b
; %bb.0:
	s_clause 0x2
	s_load_b64 s[16:17], s[0:1], 0x58
	s_load_b64 s[14:15], s[0:1], 0x8
	s_load_b64 s[12:13], s[0:1], 0x48
	s_wait_kmcnt 0x0
	s_bitcmp1_b32 s17, 0
	s_cselect_b32 s2, -1, 0
	s_delay_alu instid0(SALU_CYCLE_1)
	s_and_b32 vcc_lo, exec_lo, s2
	s_xor_b32 s2, s2, -1
	s_cbranch_vccnz .LBB77_2
; %bb.1:
	s_load_b32 s14, s[14:15], 0x0
.LBB77_2:
	s_and_not1_b32 vcc_lo, exec_lo, s2
	s_cbranch_vccnz .LBB77_4
; %bb.3:
	s_load_b32 s12, s[12:13], 0x0
.LBB77_4:
	s_wait_kmcnt 0x0
	s_cmp_neq_f32 s14, 0
	s_mov_b32 s6, 0
	s_cselect_b32 s2, -1, 0
	s_cmp_neq_f32 s12, 1.0
	s_cselect_b32 s3, -1, 0
	s_delay_alu instid0(SALU_CYCLE_1) | instskip(NEXT) | instid1(SALU_CYCLE_1)
	s_or_b32 s2, s2, s3
	s_and_not1_b32 vcc_lo, exec_lo, s2
	s_cbranch_vccnz .LBB77_10
; %bb.5:
	s_clause 0x1
	s_load_b64 s[4:5], s[0:1], 0x18
	s_load_b64 s[2:3], s[0:1], 0x0
	v_lshrrev_b32_e32 v1, 4, v0
	s_delay_alu instid0(VALU_DEP_1)
	v_lshl_or_b32 v1, ttmp9, 4, v1
	s_wait_kmcnt 0x0
	s_cmp_lg_u64 s[4:5], 0
	s_cbranch_scc0 .LBB77_11
; %bb.6:
	s_load_b32 s6, s[0:1], 0x10
	s_mov_b32 s7, 0
                                        ; implicit-def: $vgpr2
	s_wait_kmcnt 0x0
	v_cmp_gt_i32_e32 vcc_lo, s6, v1
	s_mov_b32 s6, 0
	s_and_saveexec_b32 s8, vcc_lo
	s_delay_alu instid0(SALU_CYCLE_1)
	s_xor_b32 s8, exec_lo, s8
	s_cbranch_execz .LBB77_8
; %bb.7:
	v_ashrrev_i32_e32 v2, 31, v1
	s_mov_b32 s6, exec_lo
	s_delay_alu instid0(VALU_DEP_1) | instskip(NEXT) | instid1(VALU_DEP_1)
	v_lshlrev_b64_e32 v[2:3], 2, v[1:2]
	v_add_co_u32 v2, vcc_lo, s4, v2
	s_delay_alu instid0(VALU_DEP_1)
	v_add_co_ci_u32_e64 v3, null, s5, v3, vcc_lo
	global_load_b32 v2, v[2:3], off
	s_wait_loadcnt 0x0
	v_subrev_nc_u32_e32 v2, s16, v2
.LBB77_8:
	s_or_b32 exec_lo, exec_lo, s8
	s_delay_alu instid0(SALU_CYCLE_1)
	s_and_b32 vcc_lo, exec_lo, s7
	s_wait_alu 0xfffe
	s_cbranch_vccz .LBB77_12
.LBB77_9:
	v_cmp_gt_i32_e32 vcc_lo, s2, v1
	s_and_not1_b32 s2, s6, exec_lo
	s_and_b32 s4, vcc_lo, exec_lo
	s_wait_alu 0xfffe
	s_or_b32 s6, s2, s4
	s_wait_alu 0xfffe
	s_and_saveexec_b32 s2, s6
	s_cbranch_execnz .LBB77_13
.LBB77_10:
	s_endpgm
.LBB77_11:
                                        ; implicit-def: $vgpr2
	s_cbranch_execnz .LBB77_9
.LBB77_12:
	v_mov_b32_e32 v1, v2
	s_and_saveexec_b32 s2, s6
	s_cbranch_execz .LBB77_10
.LBB77_13:
	s_load_b256 s[4:11], s[0:1], 0x20
	s_delay_alu instid0(VALU_DEP_1) | instskip(SKIP_1) | instid1(VALU_DEP_2)
	v_ashrrev_i32_e32 v2, 31, v1
	v_and_b32_e32 v0, 15, v0
	v_lshlrev_b64_e32 v[2:3], 2, v[1:2]
	s_wait_kmcnt 0x0
	s_delay_alu instid0(VALU_DEP_1) | instskip(SKIP_1) | instid1(VALU_DEP_2)
	v_add_co_u32 v4, vcc_lo, s4, v2
	s_wait_alu 0xfffd
	v_add_co_ci_u32_e64 v5, null, s5, v3, vcc_lo
	v_add_co_u32 v2, vcc_lo, s6, v2
	s_wait_alu 0xfffd
	v_add_co_ci_u32_e64 v3, null, s7, v3, vcc_lo
	;; [unrolled: 3-line block ×3, first 2 shown]
	s_cmp_eq_u64 s[6:7], 0
	global_load_b32 v4, v[4:5], off
	s_cselect_b32 vcc_lo, -1, 0
	s_load_b64 s[4:5], s[0:1], 0x40
	v_dual_cndmask_b32 v3, v3, v7 :: v_dual_cndmask_b32 v2, v2, v6
	s_cmp_eq_u32 s3, 1
	global_load_b32 v3, v[2:3], off
	s_wait_loadcnt 0x1
	v_subrev_nc_u32_e32 v2, s16, v4
	s_delay_alu instid0(VALU_DEP_1) | instskip(SKIP_2) | instid1(VALU_DEP_2)
	v_add_nc_u32_e32 v2, v2, v0
	s_wait_loadcnt 0x0
	v_subrev_nc_u32_e32 v13, s16, v3
	v_mad_co_i64_i32 v[4:5], null, v2, 9, s[10:11]
	s_delay_alu instid0(VALU_DEP_2)
	v_cmp_lt_i32_e64 s2, v2, v13
	s_cbranch_scc1 .LBB77_19
; %bb.14:
	v_dual_mov_b32 v10, 0 :: v_dual_mov_b32 v11, 0
	v_mov_b32_e32 v12, 0
	s_and_saveexec_b32 s3, s2
	s_cbranch_execz .LBB77_18
; %bb.15:
	v_dual_mov_b32 v10, 0 :: v_dual_mov_b32 v7, v5
	v_dual_mov_b32 v6, v4 :: v_dual_mov_b32 v11, 0
	v_mov_b32_e32 v8, v2
	v_mov_b32_e32 v12, 0
	s_mov_b32 s6, 0
.LBB77_16:                              ; =>This Inner Loop Header: Depth=1
	s_delay_alu instid0(VALU_DEP_2) | instskip(NEXT) | instid1(VALU_DEP_1)
	v_ashrrev_i32_e32 v9, 31, v8
	v_lshlrev_b64_e32 v[14:15], 2, v[8:9]
	s_delay_alu instid0(VALU_DEP_1) | instskip(SKIP_1) | instid1(VALU_DEP_2)
	v_add_co_u32 v14, vcc_lo, s8, v14
	s_wait_alu 0xfffd
	v_add_co_ci_u32_e64 v15, null, s9, v15, vcc_lo
	global_load_b32 v3, v[14:15], off
	global_load_b64 v[14:15], v[6:7], off
	s_wait_loadcnt 0x1
	v_subrev_nc_u32_e32 v3, s16, v3
	s_wait_loadcnt 0x0
	v_bfe_i32 v18, v14, 8, 8
	v_bfe_i32 v19, v14, 16, 8
	;; [unrolled: 1-line block ×4, first 2 shown]
	v_lshl_add_u32 v3, v3, 1, v3
	v_bfe_i32 v21, v15, 8, 8
	v_ashrrev_i32_e32 v15, 24, v15
	v_cvt_f32_i32_e32 v22, v22
	v_cvt_f32_i32_e32 v18, v18
	v_ashrrev_i32_e32 v9, 31, v3
	s_wait_kmcnt 0x0
	v_add_co_u32 v16, vcc_lo, s4, v3
	v_cvt_f32_i32_e32 v20, v20
	v_cvt_f32_i32_e32 v15, v15
	s_wait_alu 0xfffd
	v_add_co_ci_u32_e64 v17, null, s5, v9, vcc_lo
	v_cvt_f32_i32_e32 v19, v19
	v_cvt_f32_i32_e32 v21, v21
	s_clause 0x1
	global_load_i8 v3, v[16:17], off offset:2
	global_load_u16 v9, v[16:17], off
	global_load_i8 v16, v[6:7], off offset:8
	v_bfe_i32 v17, v14, 0, 8
	v_ashrrev_i32_e32 v14, 24, v14
	v_add_co_u32 v6, vcc_lo, 0x90, v6
	s_wait_alu 0xfffd
	v_add_co_ci_u32_e64 v7, null, 0, v7, vcc_lo
	v_cvt_f32_i32_e32 v17, v17
	v_cvt_f32_i32_e32 v14, v14
	s_wait_loadcnt 0x2
	v_cvt_f32_i32_e32 v3, v3
	s_wait_loadcnt 0x1
	v_bfe_i32 v23, v9, 0, 8
	v_bfe_i32 v9, v9, 8, 8
	s_wait_loadcnt 0x0
	v_cvt_f32_i32_e32 v16, v16
	s_delay_alu instid0(VALU_DEP_3) | instskip(NEXT) | instid1(VALU_DEP_3)
	v_bfe_i32 v23, v23, 0, 16
	v_cvt_f32_i32_e32 v9, v9
	s_delay_alu instid0(VALU_DEP_2) | instskip(NEXT) | instid1(VALU_DEP_1)
	v_cvt_f32_i32_e32 v23, v23
	v_dual_fmac_f32 v11, v14, v23 :: v_dual_add_nc_u32 v8, 16, v8
	v_fmac_f32_e32 v12, v17, v23
	v_fmac_f32_e32 v10, v22, v23
	s_delay_alu instid0(VALU_DEP_3) | instskip(NEXT) | instid1(VALU_DEP_4)
	v_cmp_ge_i32_e32 vcc_lo, v8, v13
	v_fmac_f32_e32 v11, v20, v9
	s_delay_alu instid0(VALU_DEP_4) | instskip(NEXT) | instid1(VALU_DEP_4)
	v_fmac_f32_e32 v12, v18, v9
	v_fmac_f32_e32 v10, v15, v9
	s_wait_alu 0xfffe
	s_or_b32 s6, vcc_lo, s6
	v_fmac_f32_e32 v11, v21, v3
	v_fmac_f32_e32 v12, v19, v3
	;; [unrolled: 1-line block ×3, first 2 shown]
	s_wait_alu 0xfffe
	s_and_not1_b32 exec_lo, exec_lo, s6
	s_cbranch_execnz .LBB77_16
; %bb.17:
	s_or_b32 exec_lo, exec_lo, s6
.LBB77_18:
	s_wait_alu 0xfffe
	s_or_b32 exec_lo, exec_lo, s3
	s_cbranch_execz .LBB77_20
	s_branch .LBB77_25
.LBB77_19:
                                        ; implicit-def: $vgpr10
                                        ; implicit-def: $vgpr11
                                        ; implicit-def: $vgpr12
.LBB77_20:
	v_dual_mov_b32 v10, 0 :: v_dual_mov_b32 v11, 0
	v_mov_b32_e32 v12, 0
	s_and_saveexec_b32 s3, s2
	s_cbranch_execz .LBB77_24
; %bb.21:
	v_dual_mov_b32 v10, 0 :: v_dual_mov_b32 v11, 0
	v_mov_b32_e32 v12, 0
	s_mov_b32 s2, 0
.LBB77_22:                              ; =>This Inner Loop Header: Depth=1
	v_ashrrev_i32_e32 v3, 31, v2
	s_delay_alu instid0(VALU_DEP_1) | instskip(NEXT) | instid1(VALU_DEP_1)
	v_lshlrev_b64_e32 v[6:7], 2, v[2:3]
	v_add_co_u32 v6, vcc_lo, s8, v6
	s_wait_alu 0xfffd
	s_delay_alu instid0(VALU_DEP_2)
	v_add_co_ci_u32_e64 v7, null, s9, v7, vcc_lo
	global_load_b32 v3, v[6:7], off
	global_load_b64 v[6:7], v[4:5], off
	s_wait_loadcnt 0x1
	v_subrev_nc_u32_e32 v3, s16, v3
	s_wait_loadcnt 0x0
	v_bfe_i32 v15, v6, 8, 8
	v_bfe_i32 v14, v6, 0, 8
	;; [unrolled: 1-line block ×4, first 2 shown]
	v_lshl_add_u32 v3, v3, 1, v3
	v_cvt_f32_i32_e32 v15, v15
	v_ashrrev_i32_e32 v6, 24, v6
	v_bfe_i32 v18, v7, 8, 8
	v_bfe_i32 v19, v7, 16, 8
	v_ashrrev_i32_e32 v9, 31, v3
	s_wait_kmcnt 0x0
	v_add_co_u32 v8, vcc_lo, s4, v3
	v_ashrrev_i32_e32 v7, 24, v7
	v_cvt_f32_i32_e32 v14, v14
	s_wait_alu 0xfffd
	v_add_co_ci_u32_e64 v9, null, s5, v9, vcc_lo
	v_cvt_f32_i32_e32 v16, v16
	v_cvt_f32_i32_e32 v17, v17
	;; [unrolled: 1-line block ×3, first 2 shown]
	s_clause 0x1
	global_load_i8 v3, v[8:9], off offset:2
	global_load_u16 v8, v[8:9], off
	global_load_i8 v9, v[4:5], off offset:8
	v_cvt_f32_i32_e32 v18, v18
	v_cvt_f32_i32_e32 v19, v19
	;; [unrolled: 1-line block ×3, first 2 shown]
	v_add_co_u32 v4, vcc_lo, 0x90, v4
	s_wait_alu 0xfffd
	v_add_co_ci_u32_e64 v5, null, 0, v5, vcc_lo
	s_wait_loadcnt 0x2
	v_cvt_f32_i32_e32 v3, v3
	s_wait_loadcnt 0x1
	v_bfe_i32 v20, v8, 0, 8
	v_bfe_i32 v8, v8, 8, 8
	s_wait_loadcnt 0x0
	v_cvt_f32_i32_e32 v9, v9
	s_delay_alu instid0(VALU_DEP_3) | instskip(NEXT) | instid1(VALU_DEP_3)
	v_bfe_i32 v20, v20, 0, 16
	v_cvt_f32_i32_e32 v8, v8
	s_delay_alu instid0(VALU_DEP_2) | instskip(NEXT) | instid1(VALU_DEP_1)
	v_cvt_f32_i32_e32 v20, v20
	v_dual_fmac_f32 v11, v15, v20 :: v_dual_add_nc_u32 v2, 16, v2
	v_fmac_f32_e32 v10, v16, v20
	s_delay_alu instid0(VALU_DEP_2) | instskip(NEXT) | instid1(VALU_DEP_3)
	v_cmp_ge_i32_e32 vcc_lo, v2, v13
	v_fmac_f32_e32 v11, v17, v8
	v_fmac_f32_e32 v12, v14, v20
	s_delay_alu instid0(VALU_DEP_4) | instskip(SKIP_2) | instid1(VALU_DEP_2)
	v_fmac_f32_e32 v10, v18, v8
	s_wait_alu 0xfffe
	s_or_b32 s2, vcc_lo, s2
	v_dual_fmac_f32 v11, v7, v3 :: v_dual_fmac_f32 v12, v6, v8
	s_delay_alu instid0(VALU_DEP_2) | instskip(NEXT) | instid1(VALU_DEP_2)
	v_fmac_f32_e32 v10, v9, v3
	v_fmac_f32_e32 v12, v19, v3
	s_wait_alu 0xfffe
	s_and_not1_b32 exec_lo, exec_lo, s2
	s_cbranch_execnz .LBB77_22
; %bb.23:
	s_or_b32 exec_lo, exec_lo, s2
.LBB77_24:
	s_wait_alu 0xfffe
	s_or_b32 exec_lo, exec_lo, s3
.LBB77_25:
	v_mbcnt_lo_u32_b32 v2, -1, 0
	s_mov_b32 s2, -1
	s_delay_alu instid0(VALU_DEP_1) | instskip(SKIP_2) | instid1(VALU_DEP_3)
	v_xor_b32_e32 v3, 8, v2
	v_xor_b32_e32 v6, 4, v2
	;; [unrolled: 1-line block ×3, first 2 shown]
	v_cmp_gt_i32_e32 vcc_lo, 32, v3
	s_wait_alu 0xfffd
	v_cndmask_b32_e32 v3, v2, v3, vcc_lo
	v_cmp_gt_i32_e32 vcc_lo, 32, v6
	s_wait_alu 0xfffd
	v_cndmask_b32_e32 v6, v2, v6, vcc_lo
	v_cmp_gt_i32_e32 vcc_lo, 32, v9
	s_delay_alu instid0(VALU_DEP_2)
	v_lshlrev_b32_e32 v6, 2, v6
	v_lshlrev_b32_e32 v3, 2, v3
	ds_bpermute_b32 v4, v3, v12
	s_wait_dscnt 0x0
	v_add_f32_e32 v4, v12, v4
	ds_bpermute_b32 v5, v3, v11
	ds_bpermute_b32 v3, v3, v10
	;; [unrolled: 1-line block ×3, first 2 shown]
	s_wait_alu 0xfffd
	v_cndmask_b32_e32 v9, v2, v9, vcc_lo
	s_wait_dscnt 0x2
	v_add_f32_e32 v5, v11, v5
	s_wait_dscnt 0x1
	v_add_f32_e32 v3, v10, v3
	;; [unrolled: 2-line block ×3, first 2 shown]
	ds_bpermute_b32 v8, v6, v5
	ds_bpermute_b32 v6, v6, v3
	v_lshlrev_b32_e32 v9, 2, v9
	s_wait_dscnt 0x0
	v_dual_add_f32 v5, v5, v8 :: v_dual_add_f32 v6, v3, v6
	ds_bpermute_b32 v3, v9, v4
	ds_bpermute_b32 v7, v9, v5
	;; [unrolled: 1-line block ×3, first 2 shown]
	v_xor_b32_e32 v9, 1, v2
	s_delay_alu instid0(VALU_DEP_1) | instskip(SKIP_4) | instid1(VALU_DEP_2)
	v_cmp_gt_i32_e32 vcc_lo, 32, v9
	s_wait_alu 0xfffd
	v_cndmask_b32_e32 v2, v2, v9, vcc_lo
	v_cmp_eq_u32_e32 vcc_lo, 15, v0
	s_wait_dscnt 0x2
	v_dual_add_f32 v2, v4, v3 :: v_dual_lshlrev_b32 v9, 2, v2
	s_wait_dscnt 0x0
	v_dual_add_f32 v3, v5, v7 :: v_dual_add_f32 v4, v6, v8
	ds_bpermute_b32 v5, v9, v2
	ds_bpermute_b32 v6, v9, v3
	;; [unrolled: 1-line block ×3, first 2 shown]
	s_and_b32 exec_lo, exec_lo, vcc_lo
	s_cbranch_execz .LBB77_10
; %bb.26:
	s_load_b64 s[0:1], s[0:1], 0x50
	s_wait_dscnt 0x2
	v_add_f32_e32 v0, v2, v5
	s_wait_dscnt 0x1
	v_add_f32_e32 v2, v3, v6
	s_wait_dscnt 0x0
	v_add_f32_e32 v4, v4, v7
	v_lshl_add_u32 v3, v1, 1, v1
	s_cmp_eq_f32 s12, 0
	v_dual_mul_f32 v1, s14, v2 :: v_dual_mul_f32 v0, s14, v0
	s_delay_alu instid0(VALU_DEP_3) | instskip(NEXT) | instid1(VALU_DEP_3)
	v_mul_f32_e32 v2, s14, v4
	v_ashrrev_i32_e32 v4, 31, v3
	s_cbranch_scc0 .LBB77_28
; %bb.27:
	s_delay_alu instid0(VALU_DEP_1) | instskip(SKIP_2) | instid1(VALU_DEP_1)
	v_lshlrev_b64_e32 v[5:6], 2, v[3:4]
	s_mov_b32 s2, 0
	s_wait_kmcnt 0x0
	v_add_co_u32 v5, vcc_lo, s0, v5
	s_wait_alu 0xfffd
	s_delay_alu instid0(VALU_DEP_2)
	v_add_co_ci_u32_e64 v6, null, s1, v6, vcc_lo
	global_store_b96 v[5:6], v[0:2], off
.LBB77_28:
	s_wait_alu 0xfffe
	s_and_not1_b32 vcc_lo, exec_lo, s2
	s_wait_alu 0xfffe
	s_cbranch_vccnz .LBB77_10
; %bb.29:
	v_lshlrev_b64_e32 v[3:4], 2, v[3:4]
	s_wait_kmcnt 0x0
	s_delay_alu instid0(VALU_DEP_1) | instskip(SKIP_1) | instid1(VALU_DEP_2)
	v_add_co_u32 v6, vcc_lo, s0, v3
	s_wait_alu 0xfffd
	v_add_co_ci_u32_e64 v7, null, s1, v4, vcc_lo
	global_load_b96 v[3:5], v[6:7], off
	s_wait_loadcnt 0x0
	v_dual_fmac_f32 v0, s12, v3 :: v_dual_fmac_f32 v1, s12, v4
	v_fmac_f32_e32 v2, s12, v5
	global_store_b96 v[6:7], v[0:2], off
	s_endpgm
	.section	.rodata,"a",@progbits
	.p2align	6, 0x0
	.amdhsa_kernel _ZN9rocsparseL18bsrxmvn_3x3_kernelILj256ELj16EfiiaafEEvT3_20rocsparse_direction_NS_24const_host_device_scalarIT1_EES1_PKS1_PKT2_SA_S7_PKT4_PKT5_S5_PT6_21rocsparse_index_base_b
		.amdhsa_group_segment_fixed_size 0
		.amdhsa_private_segment_fixed_size 0
		.amdhsa_kernarg_size 96
		.amdhsa_user_sgpr_count 2
		.amdhsa_user_sgpr_dispatch_ptr 0
		.amdhsa_user_sgpr_queue_ptr 0
		.amdhsa_user_sgpr_kernarg_segment_ptr 1
		.amdhsa_user_sgpr_dispatch_id 0
		.amdhsa_user_sgpr_private_segment_size 0
		.amdhsa_wavefront_size32 1
		.amdhsa_uses_dynamic_stack 0
		.amdhsa_enable_private_segment 0
		.amdhsa_system_sgpr_workgroup_id_x 1
		.amdhsa_system_sgpr_workgroup_id_y 0
		.amdhsa_system_sgpr_workgroup_id_z 0
		.amdhsa_system_sgpr_workgroup_info 0
		.amdhsa_system_vgpr_workitem_id 0
		.amdhsa_next_free_vgpr 24
		.amdhsa_next_free_sgpr 18
		.amdhsa_reserve_vcc 1
		.amdhsa_float_round_mode_32 0
		.amdhsa_float_round_mode_16_64 0
		.amdhsa_float_denorm_mode_32 3
		.amdhsa_float_denorm_mode_16_64 3
		.amdhsa_fp16_overflow 0
		.amdhsa_workgroup_processor_mode 1
		.amdhsa_memory_ordered 1
		.amdhsa_forward_progress 1
		.amdhsa_inst_pref_size 15
		.amdhsa_round_robin_scheduling 0
		.amdhsa_exception_fp_ieee_invalid_op 0
		.amdhsa_exception_fp_denorm_src 0
		.amdhsa_exception_fp_ieee_div_zero 0
		.amdhsa_exception_fp_ieee_overflow 0
		.amdhsa_exception_fp_ieee_underflow 0
		.amdhsa_exception_fp_ieee_inexact 0
		.amdhsa_exception_int_div_zero 0
	.end_amdhsa_kernel
	.section	.text._ZN9rocsparseL18bsrxmvn_3x3_kernelILj256ELj16EfiiaafEEvT3_20rocsparse_direction_NS_24const_host_device_scalarIT1_EES1_PKS1_PKT2_SA_S7_PKT4_PKT5_S5_PT6_21rocsparse_index_base_b,"axG",@progbits,_ZN9rocsparseL18bsrxmvn_3x3_kernelILj256ELj16EfiiaafEEvT3_20rocsparse_direction_NS_24const_host_device_scalarIT1_EES1_PKS1_PKT2_SA_S7_PKT4_PKT5_S5_PT6_21rocsparse_index_base_b,comdat
.Lfunc_end77:
	.size	_ZN9rocsparseL18bsrxmvn_3x3_kernelILj256ELj16EfiiaafEEvT3_20rocsparse_direction_NS_24const_host_device_scalarIT1_EES1_PKS1_PKT2_SA_S7_PKT4_PKT5_S5_PT6_21rocsparse_index_base_b, .Lfunc_end77-_ZN9rocsparseL18bsrxmvn_3x3_kernelILj256ELj16EfiiaafEEvT3_20rocsparse_direction_NS_24const_host_device_scalarIT1_EES1_PKS1_PKT2_SA_S7_PKT4_PKT5_S5_PT6_21rocsparse_index_base_b
                                        ; -- End function
	.set _ZN9rocsparseL18bsrxmvn_3x3_kernelILj256ELj16EfiiaafEEvT3_20rocsparse_direction_NS_24const_host_device_scalarIT1_EES1_PKS1_PKT2_SA_S7_PKT4_PKT5_S5_PT6_21rocsparse_index_base_b.num_vgpr, 24
	.set _ZN9rocsparseL18bsrxmvn_3x3_kernelILj256ELj16EfiiaafEEvT3_20rocsparse_direction_NS_24const_host_device_scalarIT1_EES1_PKS1_PKT2_SA_S7_PKT4_PKT5_S5_PT6_21rocsparse_index_base_b.num_agpr, 0
	.set _ZN9rocsparseL18bsrxmvn_3x3_kernelILj256ELj16EfiiaafEEvT3_20rocsparse_direction_NS_24const_host_device_scalarIT1_EES1_PKS1_PKT2_SA_S7_PKT4_PKT5_S5_PT6_21rocsparse_index_base_b.numbered_sgpr, 18
	.set _ZN9rocsparseL18bsrxmvn_3x3_kernelILj256ELj16EfiiaafEEvT3_20rocsparse_direction_NS_24const_host_device_scalarIT1_EES1_PKS1_PKT2_SA_S7_PKT4_PKT5_S5_PT6_21rocsparse_index_base_b.num_named_barrier, 0
	.set _ZN9rocsparseL18bsrxmvn_3x3_kernelILj256ELj16EfiiaafEEvT3_20rocsparse_direction_NS_24const_host_device_scalarIT1_EES1_PKS1_PKT2_SA_S7_PKT4_PKT5_S5_PT6_21rocsparse_index_base_b.private_seg_size, 0
	.set _ZN9rocsparseL18bsrxmvn_3x3_kernelILj256ELj16EfiiaafEEvT3_20rocsparse_direction_NS_24const_host_device_scalarIT1_EES1_PKS1_PKT2_SA_S7_PKT4_PKT5_S5_PT6_21rocsparse_index_base_b.uses_vcc, 1
	.set _ZN9rocsparseL18bsrxmvn_3x3_kernelILj256ELj16EfiiaafEEvT3_20rocsparse_direction_NS_24const_host_device_scalarIT1_EES1_PKS1_PKT2_SA_S7_PKT4_PKT5_S5_PT6_21rocsparse_index_base_b.uses_flat_scratch, 0
	.set _ZN9rocsparseL18bsrxmvn_3x3_kernelILj256ELj16EfiiaafEEvT3_20rocsparse_direction_NS_24const_host_device_scalarIT1_EES1_PKS1_PKT2_SA_S7_PKT4_PKT5_S5_PT6_21rocsparse_index_base_b.has_dyn_sized_stack, 0
	.set _ZN9rocsparseL18bsrxmvn_3x3_kernelILj256ELj16EfiiaafEEvT3_20rocsparse_direction_NS_24const_host_device_scalarIT1_EES1_PKS1_PKT2_SA_S7_PKT4_PKT5_S5_PT6_21rocsparse_index_base_b.has_recursion, 0
	.set _ZN9rocsparseL18bsrxmvn_3x3_kernelILj256ELj16EfiiaafEEvT3_20rocsparse_direction_NS_24const_host_device_scalarIT1_EES1_PKS1_PKT2_SA_S7_PKT4_PKT5_S5_PT6_21rocsparse_index_base_b.has_indirect_call, 0
	.section	.AMDGPU.csdata,"",@progbits
; Kernel info:
; codeLenInByte = 1920
; TotalNumSgprs: 20
; NumVgprs: 24
; ScratchSize: 0
; MemoryBound: 0
; FloatMode: 240
; IeeeMode: 1
; LDSByteSize: 0 bytes/workgroup (compile time only)
; SGPRBlocks: 0
; VGPRBlocks: 2
; NumSGPRsForWavesPerEU: 20
; NumVGPRsForWavesPerEU: 24
; Occupancy: 16
; WaveLimiterHint : 1
; COMPUTE_PGM_RSRC2:SCRATCH_EN: 0
; COMPUTE_PGM_RSRC2:USER_SGPR: 2
; COMPUTE_PGM_RSRC2:TRAP_HANDLER: 0
; COMPUTE_PGM_RSRC2:TGID_X_EN: 1
; COMPUTE_PGM_RSRC2:TGID_Y_EN: 0
; COMPUTE_PGM_RSRC2:TGID_Z_EN: 0
; COMPUTE_PGM_RSRC2:TIDIG_COMP_CNT: 0
	.section	.text._ZN9rocsparseL18bsrxmvn_3x3_kernelILj256ELj32EfiiaafEEvT3_20rocsparse_direction_NS_24const_host_device_scalarIT1_EES1_PKS1_PKT2_SA_S7_PKT4_PKT5_S5_PT6_21rocsparse_index_base_b,"axG",@progbits,_ZN9rocsparseL18bsrxmvn_3x3_kernelILj256ELj32EfiiaafEEvT3_20rocsparse_direction_NS_24const_host_device_scalarIT1_EES1_PKS1_PKT2_SA_S7_PKT4_PKT5_S5_PT6_21rocsparse_index_base_b,comdat
	.globl	_ZN9rocsparseL18bsrxmvn_3x3_kernelILj256ELj32EfiiaafEEvT3_20rocsparse_direction_NS_24const_host_device_scalarIT1_EES1_PKS1_PKT2_SA_S7_PKT4_PKT5_S5_PT6_21rocsparse_index_base_b ; -- Begin function _ZN9rocsparseL18bsrxmvn_3x3_kernelILj256ELj32EfiiaafEEvT3_20rocsparse_direction_NS_24const_host_device_scalarIT1_EES1_PKS1_PKT2_SA_S7_PKT4_PKT5_S5_PT6_21rocsparse_index_base_b
	.p2align	8
	.type	_ZN9rocsparseL18bsrxmvn_3x3_kernelILj256ELj32EfiiaafEEvT3_20rocsparse_direction_NS_24const_host_device_scalarIT1_EES1_PKS1_PKT2_SA_S7_PKT4_PKT5_S5_PT6_21rocsparse_index_base_b,@function
_ZN9rocsparseL18bsrxmvn_3x3_kernelILj256ELj32EfiiaafEEvT3_20rocsparse_direction_NS_24const_host_device_scalarIT1_EES1_PKS1_PKT2_SA_S7_PKT4_PKT5_S5_PT6_21rocsparse_index_base_b: ; @_ZN9rocsparseL18bsrxmvn_3x3_kernelILj256ELj32EfiiaafEEvT3_20rocsparse_direction_NS_24const_host_device_scalarIT1_EES1_PKS1_PKT2_SA_S7_PKT4_PKT5_S5_PT6_21rocsparse_index_base_b
; %bb.0:
	s_clause 0x2
	s_load_b64 s[16:17], s[0:1], 0x58
	s_load_b64 s[14:15], s[0:1], 0x8
	s_load_b64 s[12:13], s[0:1], 0x48
	s_wait_kmcnt 0x0
	s_bitcmp1_b32 s17, 0
	s_cselect_b32 s2, -1, 0
	s_delay_alu instid0(SALU_CYCLE_1)
	s_and_b32 vcc_lo, exec_lo, s2
	s_xor_b32 s2, s2, -1
	s_cbranch_vccnz .LBB78_2
; %bb.1:
	s_load_b32 s14, s[14:15], 0x0
.LBB78_2:
	s_and_not1_b32 vcc_lo, exec_lo, s2
	s_cbranch_vccnz .LBB78_4
; %bb.3:
	s_load_b32 s12, s[12:13], 0x0
.LBB78_4:
	s_wait_kmcnt 0x0
	s_cmp_neq_f32 s14, 0
	s_mov_b32 s6, 0
	s_cselect_b32 s2, -1, 0
	s_cmp_neq_f32 s12, 1.0
	s_cselect_b32 s3, -1, 0
	s_delay_alu instid0(SALU_CYCLE_1) | instskip(NEXT) | instid1(SALU_CYCLE_1)
	s_or_b32 s2, s2, s3
	s_and_not1_b32 vcc_lo, exec_lo, s2
	s_cbranch_vccnz .LBB78_10
; %bb.5:
	s_clause 0x1
	s_load_b64 s[4:5], s[0:1], 0x18
	s_load_b64 s[2:3], s[0:1], 0x0
	v_lshrrev_b32_e32 v1, 5, v0
	s_delay_alu instid0(VALU_DEP_1)
	v_lshl_or_b32 v1, ttmp9, 3, v1
	s_wait_kmcnt 0x0
	s_cmp_lg_u64 s[4:5], 0
	s_cbranch_scc0 .LBB78_11
; %bb.6:
	s_load_b32 s6, s[0:1], 0x10
	s_mov_b32 s7, 0
                                        ; implicit-def: $vgpr2
	s_wait_kmcnt 0x0
	v_cmp_gt_i32_e32 vcc_lo, s6, v1
	s_mov_b32 s6, 0
	s_and_saveexec_b32 s8, vcc_lo
	s_delay_alu instid0(SALU_CYCLE_1)
	s_xor_b32 s8, exec_lo, s8
	s_cbranch_execz .LBB78_8
; %bb.7:
	v_ashrrev_i32_e32 v2, 31, v1
	s_mov_b32 s6, exec_lo
	s_delay_alu instid0(VALU_DEP_1) | instskip(NEXT) | instid1(VALU_DEP_1)
	v_lshlrev_b64_e32 v[2:3], 2, v[1:2]
	v_add_co_u32 v2, vcc_lo, s4, v2
	s_delay_alu instid0(VALU_DEP_1)
	v_add_co_ci_u32_e64 v3, null, s5, v3, vcc_lo
	global_load_b32 v2, v[2:3], off
	s_wait_loadcnt 0x0
	v_subrev_nc_u32_e32 v2, s16, v2
.LBB78_8:
	s_or_b32 exec_lo, exec_lo, s8
	s_delay_alu instid0(SALU_CYCLE_1)
	s_and_b32 vcc_lo, exec_lo, s7
	s_wait_alu 0xfffe
	s_cbranch_vccz .LBB78_12
.LBB78_9:
	v_cmp_gt_i32_e32 vcc_lo, s2, v1
	s_and_not1_b32 s2, s6, exec_lo
	s_and_b32 s4, vcc_lo, exec_lo
	s_wait_alu 0xfffe
	s_or_b32 s6, s2, s4
	s_wait_alu 0xfffe
	s_and_saveexec_b32 s2, s6
	s_cbranch_execnz .LBB78_13
.LBB78_10:
	s_endpgm
.LBB78_11:
                                        ; implicit-def: $vgpr2
	s_cbranch_execnz .LBB78_9
.LBB78_12:
	v_mov_b32_e32 v1, v2
	s_and_saveexec_b32 s2, s6
	s_cbranch_execz .LBB78_10
.LBB78_13:
	s_load_b256 s[4:11], s[0:1], 0x20
	s_delay_alu instid0(VALU_DEP_1) | instskip(SKIP_1) | instid1(VALU_DEP_2)
	v_ashrrev_i32_e32 v2, 31, v1
	v_and_b32_e32 v0, 31, v0
	v_lshlrev_b64_e32 v[2:3], 2, v[1:2]
	s_wait_kmcnt 0x0
	s_delay_alu instid0(VALU_DEP_1) | instskip(SKIP_1) | instid1(VALU_DEP_2)
	v_add_co_u32 v4, vcc_lo, s4, v2
	s_wait_alu 0xfffd
	v_add_co_ci_u32_e64 v5, null, s5, v3, vcc_lo
	v_add_co_u32 v2, vcc_lo, s6, v2
	s_wait_alu 0xfffd
	v_add_co_ci_u32_e64 v3, null, s7, v3, vcc_lo
	;; [unrolled: 3-line block ×3, first 2 shown]
	s_cmp_eq_u64 s[6:7], 0
	global_load_b32 v4, v[4:5], off
	s_cselect_b32 vcc_lo, -1, 0
	s_load_b64 s[4:5], s[0:1], 0x40
	v_dual_cndmask_b32 v3, v3, v7 :: v_dual_cndmask_b32 v2, v2, v6
	s_cmp_eq_u32 s3, 1
	global_load_b32 v3, v[2:3], off
	s_wait_loadcnt 0x1
	v_subrev_nc_u32_e32 v2, s16, v4
	s_delay_alu instid0(VALU_DEP_1) | instskip(SKIP_2) | instid1(VALU_DEP_2)
	v_add_nc_u32_e32 v2, v2, v0
	s_wait_loadcnt 0x0
	v_subrev_nc_u32_e32 v13, s16, v3
	v_mad_co_i64_i32 v[4:5], null, v2, 9, s[10:11]
	s_delay_alu instid0(VALU_DEP_2)
	v_cmp_lt_i32_e64 s2, v2, v13
	s_cbranch_scc1 .LBB78_19
; %bb.14:
	v_dual_mov_b32 v10, 0 :: v_dual_mov_b32 v11, 0
	v_mov_b32_e32 v12, 0
	s_and_saveexec_b32 s3, s2
	s_cbranch_execz .LBB78_18
; %bb.15:
	v_dual_mov_b32 v10, 0 :: v_dual_mov_b32 v7, v5
	v_dual_mov_b32 v6, v4 :: v_dual_mov_b32 v11, 0
	v_mov_b32_e32 v8, v2
	v_mov_b32_e32 v12, 0
	s_mov_b32 s6, 0
.LBB78_16:                              ; =>This Inner Loop Header: Depth=1
	s_delay_alu instid0(VALU_DEP_2) | instskip(NEXT) | instid1(VALU_DEP_1)
	v_ashrrev_i32_e32 v9, 31, v8
	v_lshlrev_b64_e32 v[14:15], 2, v[8:9]
	s_delay_alu instid0(VALU_DEP_1) | instskip(SKIP_1) | instid1(VALU_DEP_2)
	v_add_co_u32 v14, vcc_lo, s8, v14
	s_wait_alu 0xfffd
	v_add_co_ci_u32_e64 v15, null, s9, v15, vcc_lo
	global_load_b32 v3, v[14:15], off
	global_load_b64 v[14:15], v[6:7], off
	s_wait_loadcnt 0x1
	v_subrev_nc_u32_e32 v3, s16, v3
	s_wait_loadcnt 0x0
	v_bfe_i32 v18, v14, 8, 8
	v_bfe_i32 v19, v14, 16, 8
	;; [unrolled: 1-line block ×4, first 2 shown]
	v_lshl_add_u32 v3, v3, 1, v3
	v_bfe_i32 v21, v15, 8, 8
	v_ashrrev_i32_e32 v15, 24, v15
	v_cvt_f32_i32_e32 v22, v22
	v_cvt_f32_i32_e32 v18, v18
	v_ashrrev_i32_e32 v9, 31, v3
	s_wait_kmcnt 0x0
	v_add_co_u32 v16, vcc_lo, s4, v3
	v_cvt_f32_i32_e32 v20, v20
	v_cvt_f32_i32_e32 v15, v15
	s_wait_alu 0xfffd
	v_add_co_ci_u32_e64 v17, null, s5, v9, vcc_lo
	v_cvt_f32_i32_e32 v19, v19
	v_cvt_f32_i32_e32 v21, v21
	s_clause 0x1
	global_load_i8 v3, v[16:17], off offset:2
	global_load_u16 v9, v[16:17], off
	global_load_i8 v16, v[6:7], off offset:8
	v_bfe_i32 v17, v14, 0, 8
	v_ashrrev_i32_e32 v14, 24, v14
	v_add_co_u32 v6, vcc_lo, 0x120, v6
	s_wait_alu 0xfffd
	v_add_co_ci_u32_e64 v7, null, 0, v7, vcc_lo
	v_cvt_f32_i32_e32 v17, v17
	v_cvt_f32_i32_e32 v14, v14
	s_wait_loadcnt 0x2
	v_cvt_f32_i32_e32 v3, v3
	s_wait_loadcnt 0x1
	v_bfe_i32 v23, v9, 0, 8
	v_bfe_i32 v9, v9, 8, 8
	s_wait_loadcnt 0x0
	v_cvt_f32_i32_e32 v16, v16
	s_delay_alu instid0(VALU_DEP_3) | instskip(NEXT) | instid1(VALU_DEP_3)
	v_bfe_i32 v23, v23, 0, 16
	v_cvt_f32_i32_e32 v9, v9
	s_delay_alu instid0(VALU_DEP_2) | instskip(NEXT) | instid1(VALU_DEP_1)
	v_cvt_f32_i32_e32 v23, v23
	v_dual_fmac_f32 v11, v14, v23 :: v_dual_add_nc_u32 v8, 32, v8
	v_fmac_f32_e32 v12, v17, v23
	v_fmac_f32_e32 v10, v22, v23
	s_delay_alu instid0(VALU_DEP_3) | instskip(NEXT) | instid1(VALU_DEP_4)
	v_cmp_ge_i32_e32 vcc_lo, v8, v13
	v_fmac_f32_e32 v11, v20, v9
	s_delay_alu instid0(VALU_DEP_4) | instskip(NEXT) | instid1(VALU_DEP_4)
	v_fmac_f32_e32 v12, v18, v9
	v_fmac_f32_e32 v10, v15, v9
	s_wait_alu 0xfffe
	s_or_b32 s6, vcc_lo, s6
	v_fmac_f32_e32 v11, v21, v3
	v_fmac_f32_e32 v12, v19, v3
	;; [unrolled: 1-line block ×3, first 2 shown]
	s_wait_alu 0xfffe
	s_and_not1_b32 exec_lo, exec_lo, s6
	s_cbranch_execnz .LBB78_16
; %bb.17:
	s_or_b32 exec_lo, exec_lo, s6
.LBB78_18:
	s_wait_alu 0xfffe
	s_or_b32 exec_lo, exec_lo, s3
	s_cbranch_execz .LBB78_20
	s_branch .LBB78_25
.LBB78_19:
                                        ; implicit-def: $vgpr10
                                        ; implicit-def: $vgpr11
                                        ; implicit-def: $vgpr12
.LBB78_20:
	v_dual_mov_b32 v10, 0 :: v_dual_mov_b32 v11, 0
	v_mov_b32_e32 v12, 0
	s_and_saveexec_b32 s3, s2
	s_cbranch_execz .LBB78_24
; %bb.21:
	v_dual_mov_b32 v10, 0 :: v_dual_mov_b32 v11, 0
	v_mov_b32_e32 v12, 0
	s_mov_b32 s2, 0
.LBB78_22:                              ; =>This Inner Loop Header: Depth=1
	v_ashrrev_i32_e32 v3, 31, v2
	s_delay_alu instid0(VALU_DEP_1) | instskip(NEXT) | instid1(VALU_DEP_1)
	v_lshlrev_b64_e32 v[6:7], 2, v[2:3]
	v_add_co_u32 v6, vcc_lo, s8, v6
	s_wait_alu 0xfffd
	s_delay_alu instid0(VALU_DEP_2)
	v_add_co_ci_u32_e64 v7, null, s9, v7, vcc_lo
	global_load_b32 v3, v[6:7], off
	global_load_b64 v[6:7], v[4:5], off
	s_wait_loadcnt 0x1
	v_subrev_nc_u32_e32 v3, s16, v3
	s_wait_loadcnt 0x0
	v_bfe_i32 v15, v6, 8, 8
	v_bfe_i32 v14, v6, 0, 8
	v_bfe_i32 v16, v6, 16, 8
	v_bfe_i32 v17, v7, 0, 8
	v_lshl_add_u32 v3, v3, 1, v3
	v_cvt_f32_i32_e32 v15, v15
	v_ashrrev_i32_e32 v6, 24, v6
	v_bfe_i32 v18, v7, 8, 8
	v_bfe_i32 v19, v7, 16, 8
	v_ashrrev_i32_e32 v9, 31, v3
	s_wait_kmcnt 0x0
	v_add_co_u32 v8, vcc_lo, s4, v3
	v_ashrrev_i32_e32 v7, 24, v7
	v_cvt_f32_i32_e32 v14, v14
	s_wait_alu 0xfffd
	v_add_co_ci_u32_e64 v9, null, s5, v9, vcc_lo
	v_cvt_f32_i32_e32 v16, v16
	v_cvt_f32_i32_e32 v17, v17
	;; [unrolled: 1-line block ×3, first 2 shown]
	s_clause 0x1
	global_load_i8 v3, v[8:9], off offset:2
	global_load_u16 v8, v[8:9], off
	global_load_i8 v9, v[4:5], off offset:8
	v_cvt_f32_i32_e32 v18, v18
	v_cvt_f32_i32_e32 v19, v19
	;; [unrolled: 1-line block ×3, first 2 shown]
	v_add_co_u32 v4, vcc_lo, 0x120, v4
	s_wait_alu 0xfffd
	v_add_co_ci_u32_e64 v5, null, 0, v5, vcc_lo
	s_wait_loadcnt 0x2
	v_cvt_f32_i32_e32 v3, v3
	s_wait_loadcnt 0x1
	v_bfe_i32 v20, v8, 0, 8
	v_bfe_i32 v8, v8, 8, 8
	s_wait_loadcnt 0x0
	v_cvt_f32_i32_e32 v9, v9
	s_delay_alu instid0(VALU_DEP_3) | instskip(NEXT) | instid1(VALU_DEP_3)
	v_bfe_i32 v20, v20, 0, 16
	v_cvt_f32_i32_e32 v8, v8
	s_delay_alu instid0(VALU_DEP_2) | instskip(NEXT) | instid1(VALU_DEP_1)
	v_cvt_f32_i32_e32 v20, v20
	v_dual_fmac_f32 v11, v15, v20 :: v_dual_add_nc_u32 v2, 32, v2
	v_fmac_f32_e32 v10, v16, v20
	s_delay_alu instid0(VALU_DEP_2) | instskip(NEXT) | instid1(VALU_DEP_3)
	v_cmp_ge_i32_e32 vcc_lo, v2, v13
	v_fmac_f32_e32 v11, v17, v8
	v_fmac_f32_e32 v12, v14, v20
	s_delay_alu instid0(VALU_DEP_4) | instskip(SKIP_2) | instid1(VALU_DEP_2)
	v_fmac_f32_e32 v10, v18, v8
	s_wait_alu 0xfffe
	s_or_b32 s2, vcc_lo, s2
	v_dual_fmac_f32 v11, v7, v3 :: v_dual_fmac_f32 v12, v6, v8
	s_delay_alu instid0(VALU_DEP_2) | instskip(NEXT) | instid1(VALU_DEP_2)
	v_fmac_f32_e32 v10, v9, v3
	v_fmac_f32_e32 v12, v19, v3
	s_wait_alu 0xfffe
	s_and_not1_b32 exec_lo, exec_lo, s2
	s_cbranch_execnz .LBB78_22
; %bb.23:
	s_or_b32 exec_lo, exec_lo, s2
.LBB78_24:
	s_wait_alu 0xfffe
	s_or_b32 exec_lo, exec_lo, s3
.LBB78_25:
	v_mbcnt_lo_u32_b32 v2, -1, 0
	s_mov_b32 s2, -1
	s_delay_alu instid0(VALU_DEP_1) | instskip(SKIP_2) | instid1(VALU_DEP_3)
	v_xor_b32_e32 v3, 16, v2
	v_xor_b32_e32 v6, 8, v2
	;; [unrolled: 1-line block ×3, first 2 shown]
	v_cmp_gt_i32_e32 vcc_lo, 32, v3
	s_wait_alu 0xfffd
	v_cndmask_b32_e32 v3, v2, v3, vcc_lo
	v_cmp_gt_i32_e32 vcc_lo, 32, v6
	s_wait_alu 0xfffd
	v_cndmask_b32_e32 v6, v2, v6, vcc_lo
	v_cmp_gt_i32_e32 vcc_lo, 32, v9
	s_delay_alu instid0(VALU_DEP_2)
	v_lshlrev_b32_e32 v6, 2, v6
	v_lshlrev_b32_e32 v3, 2, v3
	ds_bpermute_b32 v4, v3, v12
	s_wait_dscnt 0x0
	v_add_f32_e32 v4, v12, v4
	ds_bpermute_b32 v5, v3, v11
	ds_bpermute_b32 v3, v3, v10
	;; [unrolled: 1-line block ×3, first 2 shown]
	s_wait_alu 0xfffd
	v_cndmask_b32_e32 v9, v2, v9, vcc_lo
	s_wait_dscnt 0x0
	v_dual_add_f32 v5, v11, v5 :: v_dual_add_f32 v4, v4, v7
	v_add_f32_e32 v3, v10, v3
	ds_bpermute_b32 v8, v6, v5
	ds_bpermute_b32 v6, v6, v3
	s_wait_dscnt 0x1
	v_add_f32_e32 v5, v5, v8
	s_wait_dscnt 0x0
	v_add_f32_e32 v3, v3, v6
	v_lshlrev_b32_e32 v9, 2, v9
	ds_bpermute_b32 v6, v9, v4
	ds_bpermute_b32 v8, v9, v3
	s_wait_dscnt 0x1
	v_add_f32_e32 v4, v4, v6
	s_wait_dscnt 0x0
	v_add_f32_e32 v6, v3, v8
	ds_bpermute_b32 v7, v9, v5
	v_xor_b32_e32 v9, 2, v2
	s_delay_alu instid0(VALU_DEP_1) | instskip(SKIP_2) | instid1(VALU_DEP_1)
	v_cmp_gt_i32_e32 vcc_lo, 32, v9
	s_wait_alu 0xfffd
	v_cndmask_b32_e32 v9, v2, v9, vcc_lo
	v_lshlrev_b32_e32 v9, 2, v9
	s_wait_dscnt 0x0
	v_add_f32_e32 v5, v5, v7
	ds_bpermute_b32 v3, v9, v4
	ds_bpermute_b32 v8, v9, v6
	;; [unrolled: 1-line block ×3, first 2 shown]
	v_xor_b32_e32 v9, 1, v2
	s_delay_alu instid0(VALU_DEP_1) | instskip(SKIP_4) | instid1(VALU_DEP_2)
	v_cmp_gt_i32_e32 vcc_lo, 32, v9
	s_wait_alu 0xfffd
	v_cndmask_b32_e32 v2, v2, v9, vcc_lo
	v_cmp_eq_u32_e32 vcc_lo, 31, v0
	s_wait_dscnt 0x2
	v_dual_add_f32 v2, v4, v3 :: v_dual_lshlrev_b32 v9, 2, v2
	s_wait_dscnt 0x0
	v_dual_add_f32 v4, v6, v8 :: v_dual_add_f32 v3, v5, v7
	ds_bpermute_b32 v5, v9, v2
	ds_bpermute_b32 v7, v9, v4
	;; [unrolled: 1-line block ×3, first 2 shown]
	s_and_b32 exec_lo, exec_lo, vcc_lo
	s_cbranch_execz .LBB78_10
; %bb.26:
	s_load_b64 s[0:1], s[0:1], 0x50
	s_wait_dscnt 0x2
	v_add_f32_e32 v0, v2, v5
	s_wait_dscnt 0x0
	v_add_f32_e32 v2, v3, v6
	v_add_f32_e32 v4, v4, v7
	v_lshl_add_u32 v3, v1, 1, v1
	s_cmp_eq_f32 s12, 0
	s_delay_alu instid0(VALU_DEP_3) | instskip(NEXT) | instid1(VALU_DEP_3)
	v_dual_mul_f32 v1, s14, v2 :: v_dual_mul_f32 v0, s14, v0
	v_mul_f32_e32 v2, s14, v4
	s_delay_alu instid0(VALU_DEP_3)
	v_ashrrev_i32_e32 v4, 31, v3
	s_cbranch_scc0 .LBB78_28
; %bb.27:
	s_delay_alu instid0(VALU_DEP_1) | instskip(SKIP_2) | instid1(VALU_DEP_1)
	v_lshlrev_b64_e32 v[5:6], 2, v[3:4]
	s_mov_b32 s2, 0
	s_wait_kmcnt 0x0
	v_add_co_u32 v5, vcc_lo, s0, v5
	s_wait_alu 0xfffd
	s_delay_alu instid0(VALU_DEP_2)
	v_add_co_ci_u32_e64 v6, null, s1, v6, vcc_lo
	global_store_b96 v[5:6], v[0:2], off
.LBB78_28:
	s_wait_alu 0xfffe
	s_and_not1_b32 vcc_lo, exec_lo, s2
	s_wait_alu 0xfffe
	s_cbranch_vccnz .LBB78_10
; %bb.29:
	v_lshlrev_b64_e32 v[3:4], 2, v[3:4]
	s_wait_kmcnt 0x0
	s_delay_alu instid0(VALU_DEP_1) | instskip(SKIP_1) | instid1(VALU_DEP_2)
	v_add_co_u32 v6, vcc_lo, s0, v3
	s_wait_alu 0xfffd
	v_add_co_ci_u32_e64 v7, null, s1, v4, vcc_lo
	global_load_b96 v[3:5], v[6:7], off
	s_wait_loadcnt 0x0
	v_dual_fmac_f32 v0, s12, v3 :: v_dual_fmac_f32 v1, s12, v4
	v_fmac_f32_e32 v2, s12, v5
	global_store_b96 v[6:7], v[0:2], off
	s_endpgm
	.section	.rodata,"a",@progbits
	.p2align	6, 0x0
	.amdhsa_kernel _ZN9rocsparseL18bsrxmvn_3x3_kernelILj256ELj32EfiiaafEEvT3_20rocsparse_direction_NS_24const_host_device_scalarIT1_EES1_PKS1_PKT2_SA_S7_PKT4_PKT5_S5_PT6_21rocsparse_index_base_b
		.amdhsa_group_segment_fixed_size 0
		.amdhsa_private_segment_fixed_size 0
		.amdhsa_kernarg_size 96
		.amdhsa_user_sgpr_count 2
		.amdhsa_user_sgpr_dispatch_ptr 0
		.amdhsa_user_sgpr_queue_ptr 0
		.amdhsa_user_sgpr_kernarg_segment_ptr 1
		.amdhsa_user_sgpr_dispatch_id 0
		.amdhsa_user_sgpr_private_segment_size 0
		.amdhsa_wavefront_size32 1
		.amdhsa_uses_dynamic_stack 0
		.amdhsa_enable_private_segment 0
		.amdhsa_system_sgpr_workgroup_id_x 1
		.amdhsa_system_sgpr_workgroup_id_y 0
		.amdhsa_system_sgpr_workgroup_id_z 0
		.amdhsa_system_sgpr_workgroup_info 0
		.amdhsa_system_vgpr_workitem_id 0
		.amdhsa_next_free_vgpr 24
		.amdhsa_next_free_sgpr 18
		.amdhsa_reserve_vcc 1
		.amdhsa_float_round_mode_32 0
		.amdhsa_float_round_mode_16_64 0
		.amdhsa_float_denorm_mode_32 3
		.amdhsa_float_denorm_mode_16_64 3
		.amdhsa_fp16_overflow 0
		.amdhsa_workgroup_processor_mode 1
		.amdhsa_memory_ordered 1
		.amdhsa_forward_progress 1
		.amdhsa_inst_pref_size 16
		.amdhsa_round_robin_scheduling 0
		.amdhsa_exception_fp_ieee_invalid_op 0
		.amdhsa_exception_fp_denorm_src 0
		.amdhsa_exception_fp_ieee_div_zero 0
		.amdhsa_exception_fp_ieee_overflow 0
		.amdhsa_exception_fp_ieee_underflow 0
		.amdhsa_exception_fp_ieee_inexact 0
		.amdhsa_exception_int_div_zero 0
	.end_amdhsa_kernel
	.section	.text._ZN9rocsparseL18bsrxmvn_3x3_kernelILj256ELj32EfiiaafEEvT3_20rocsparse_direction_NS_24const_host_device_scalarIT1_EES1_PKS1_PKT2_SA_S7_PKT4_PKT5_S5_PT6_21rocsparse_index_base_b,"axG",@progbits,_ZN9rocsparseL18bsrxmvn_3x3_kernelILj256ELj32EfiiaafEEvT3_20rocsparse_direction_NS_24const_host_device_scalarIT1_EES1_PKS1_PKT2_SA_S7_PKT4_PKT5_S5_PT6_21rocsparse_index_base_b,comdat
.Lfunc_end78:
	.size	_ZN9rocsparseL18bsrxmvn_3x3_kernelILj256ELj32EfiiaafEEvT3_20rocsparse_direction_NS_24const_host_device_scalarIT1_EES1_PKS1_PKT2_SA_S7_PKT4_PKT5_S5_PT6_21rocsparse_index_base_b, .Lfunc_end78-_ZN9rocsparseL18bsrxmvn_3x3_kernelILj256ELj32EfiiaafEEvT3_20rocsparse_direction_NS_24const_host_device_scalarIT1_EES1_PKS1_PKT2_SA_S7_PKT4_PKT5_S5_PT6_21rocsparse_index_base_b
                                        ; -- End function
	.set _ZN9rocsparseL18bsrxmvn_3x3_kernelILj256ELj32EfiiaafEEvT3_20rocsparse_direction_NS_24const_host_device_scalarIT1_EES1_PKS1_PKT2_SA_S7_PKT4_PKT5_S5_PT6_21rocsparse_index_base_b.num_vgpr, 24
	.set _ZN9rocsparseL18bsrxmvn_3x3_kernelILj256ELj32EfiiaafEEvT3_20rocsparse_direction_NS_24const_host_device_scalarIT1_EES1_PKS1_PKT2_SA_S7_PKT4_PKT5_S5_PT6_21rocsparse_index_base_b.num_agpr, 0
	.set _ZN9rocsparseL18bsrxmvn_3x3_kernelILj256ELj32EfiiaafEEvT3_20rocsparse_direction_NS_24const_host_device_scalarIT1_EES1_PKS1_PKT2_SA_S7_PKT4_PKT5_S5_PT6_21rocsparse_index_base_b.numbered_sgpr, 18
	.set _ZN9rocsparseL18bsrxmvn_3x3_kernelILj256ELj32EfiiaafEEvT3_20rocsparse_direction_NS_24const_host_device_scalarIT1_EES1_PKS1_PKT2_SA_S7_PKT4_PKT5_S5_PT6_21rocsparse_index_base_b.num_named_barrier, 0
	.set _ZN9rocsparseL18bsrxmvn_3x3_kernelILj256ELj32EfiiaafEEvT3_20rocsparse_direction_NS_24const_host_device_scalarIT1_EES1_PKS1_PKT2_SA_S7_PKT4_PKT5_S5_PT6_21rocsparse_index_base_b.private_seg_size, 0
	.set _ZN9rocsparseL18bsrxmvn_3x3_kernelILj256ELj32EfiiaafEEvT3_20rocsparse_direction_NS_24const_host_device_scalarIT1_EES1_PKS1_PKT2_SA_S7_PKT4_PKT5_S5_PT6_21rocsparse_index_base_b.uses_vcc, 1
	.set _ZN9rocsparseL18bsrxmvn_3x3_kernelILj256ELj32EfiiaafEEvT3_20rocsparse_direction_NS_24const_host_device_scalarIT1_EES1_PKS1_PKT2_SA_S7_PKT4_PKT5_S5_PT6_21rocsparse_index_base_b.uses_flat_scratch, 0
	.set _ZN9rocsparseL18bsrxmvn_3x3_kernelILj256ELj32EfiiaafEEvT3_20rocsparse_direction_NS_24const_host_device_scalarIT1_EES1_PKS1_PKT2_SA_S7_PKT4_PKT5_S5_PT6_21rocsparse_index_base_b.has_dyn_sized_stack, 0
	.set _ZN9rocsparseL18bsrxmvn_3x3_kernelILj256ELj32EfiiaafEEvT3_20rocsparse_direction_NS_24const_host_device_scalarIT1_EES1_PKS1_PKT2_SA_S7_PKT4_PKT5_S5_PT6_21rocsparse_index_base_b.has_recursion, 0
	.set _ZN9rocsparseL18bsrxmvn_3x3_kernelILj256ELj32EfiiaafEEvT3_20rocsparse_direction_NS_24const_host_device_scalarIT1_EES1_PKS1_PKT2_SA_S7_PKT4_PKT5_S5_PT6_21rocsparse_index_base_b.has_indirect_call, 0
	.section	.AMDGPU.csdata,"",@progbits
; Kernel info:
; codeLenInByte = 1988
; TotalNumSgprs: 20
; NumVgprs: 24
; ScratchSize: 0
; MemoryBound: 0
; FloatMode: 240
; IeeeMode: 1
; LDSByteSize: 0 bytes/workgroup (compile time only)
; SGPRBlocks: 0
; VGPRBlocks: 2
; NumSGPRsForWavesPerEU: 20
; NumVGPRsForWavesPerEU: 24
; Occupancy: 16
; WaveLimiterHint : 1
; COMPUTE_PGM_RSRC2:SCRATCH_EN: 0
; COMPUTE_PGM_RSRC2:USER_SGPR: 2
; COMPUTE_PGM_RSRC2:TRAP_HANDLER: 0
; COMPUTE_PGM_RSRC2:TGID_X_EN: 1
; COMPUTE_PGM_RSRC2:TGID_Y_EN: 0
; COMPUTE_PGM_RSRC2:TGID_Z_EN: 0
; COMPUTE_PGM_RSRC2:TIDIG_COMP_CNT: 0
	.section	.text._ZN9rocsparseL18bsrxmvn_3x3_kernelILj256ELj64EfiiaafEEvT3_20rocsparse_direction_NS_24const_host_device_scalarIT1_EES1_PKS1_PKT2_SA_S7_PKT4_PKT5_S5_PT6_21rocsparse_index_base_b,"axG",@progbits,_ZN9rocsparseL18bsrxmvn_3x3_kernelILj256ELj64EfiiaafEEvT3_20rocsparse_direction_NS_24const_host_device_scalarIT1_EES1_PKS1_PKT2_SA_S7_PKT4_PKT5_S5_PT6_21rocsparse_index_base_b,comdat
	.globl	_ZN9rocsparseL18bsrxmvn_3x3_kernelILj256ELj64EfiiaafEEvT3_20rocsparse_direction_NS_24const_host_device_scalarIT1_EES1_PKS1_PKT2_SA_S7_PKT4_PKT5_S5_PT6_21rocsparse_index_base_b ; -- Begin function _ZN9rocsparseL18bsrxmvn_3x3_kernelILj256ELj64EfiiaafEEvT3_20rocsparse_direction_NS_24const_host_device_scalarIT1_EES1_PKS1_PKT2_SA_S7_PKT4_PKT5_S5_PT6_21rocsparse_index_base_b
	.p2align	8
	.type	_ZN9rocsparseL18bsrxmvn_3x3_kernelILj256ELj64EfiiaafEEvT3_20rocsparse_direction_NS_24const_host_device_scalarIT1_EES1_PKS1_PKT2_SA_S7_PKT4_PKT5_S5_PT6_21rocsparse_index_base_b,@function
_ZN9rocsparseL18bsrxmvn_3x3_kernelILj256ELj64EfiiaafEEvT3_20rocsparse_direction_NS_24const_host_device_scalarIT1_EES1_PKS1_PKT2_SA_S7_PKT4_PKT5_S5_PT6_21rocsparse_index_base_b: ; @_ZN9rocsparseL18bsrxmvn_3x3_kernelILj256ELj64EfiiaafEEvT3_20rocsparse_direction_NS_24const_host_device_scalarIT1_EES1_PKS1_PKT2_SA_S7_PKT4_PKT5_S5_PT6_21rocsparse_index_base_b
; %bb.0:
	s_clause 0x2
	s_load_b64 s[16:17], s[0:1], 0x58
	s_load_b64 s[14:15], s[0:1], 0x8
	;; [unrolled: 1-line block ×3, first 2 shown]
	s_wait_kmcnt 0x0
	s_bitcmp1_b32 s17, 0
	s_cselect_b32 s2, -1, 0
	s_delay_alu instid0(SALU_CYCLE_1)
	s_and_b32 vcc_lo, exec_lo, s2
	s_xor_b32 s2, s2, -1
	s_cbranch_vccnz .LBB79_2
; %bb.1:
	s_load_b32 s14, s[14:15], 0x0
.LBB79_2:
	s_and_not1_b32 vcc_lo, exec_lo, s2
	s_cbranch_vccnz .LBB79_4
; %bb.3:
	s_load_b32 s12, s[12:13], 0x0
.LBB79_4:
	s_wait_kmcnt 0x0
	s_cmp_neq_f32 s14, 0
	s_mov_b32 s6, 0
	s_cselect_b32 s2, -1, 0
	s_cmp_neq_f32 s12, 1.0
	s_cselect_b32 s3, -1, 0
	s_delay_alu instid0(SALU_CYCLE_1) | instskip(NEXT) | instid1(SALU_CYCLE_1)
	s_or_b32 s2, s2, s3
	s_and_not1_b32 vcc_lo, exec_lo, s2
	s_cbranch_vccnz .LBB79_10
; %bb.5:
	s_clause 0x1
	s_load_b64 s[4:5], s[0:1], 0x18
	s_load_b64 s[2:3], s[0:1], 0x0
	v_lshrrev_b32_e32 v1, 6, v0
	s_delay_alu instid0(VALU_DEP_1)
	v_lshl_or_b32 v1, ttmp9, 2, v1
	s_wait_kmcnt 0x0
	s_cmp_lg_u64 s[4:5], 0
	s_cbranch_scc0 .LBB79_11
; %bb.6:
	s_load_b32 s6, s[0:1], 0x10
	s_mov_b32 s7, 0
                                        ; implicit-def: $vgpr2
	s_wait_kmcnt 0x0
	v_cmp_gt_i32_e32 vcc_lo, s6, v1
	s_mov_b32 s6, 0
	s_and_saveexec_b32 s8, vcc_lo
	s_delay_alu instid0(SALU_CYCLE_1)
	s_xor_b32 s8, exec_lo, s8
	s_cbranch_execz .LBB79_8
; %bb.7:
	v_ashrrev_i32_e32 v2, 31, v1
	s_mov_b32 s6, exec_lo
	s_delay_alu instid0(VALU_DEP_1) | instskip(NEXT) | instid1(VALU_DEP_1)
	v_lshlrev_b64_e32 v[2:3], 2, v[1:2]
	v_add_co_u32 v2, vcc_lo, s4, v2
	s_delay_alu instid0(VALU_DEP_1)
	v_add_co_ci_u32_e64 v3, null, s5, v3, vcc_lo
	global_load_b32 v2, v[2:3], off
	s_wait_loadcnt 0x0
	v_subrev_nc_u32_e32 v2, s16, v2
.LBB79_8:
	s_or_b32 exec_lo, exec_lo, s8
	s_delay_alu instid0(SALU_CYCLE_1)
	s_and_b32 vcc_lo, exec_lo, s7
	s_wait_alu 0xfffe
	s_cbranch_vccz .LBB79_12
.LBB79_9:
	v_cmp_gt_i32_e32 vcc_lo, s2, v1
	s_and_not1_b32 s2, s6, exec_lo
	s_and_b32 s4, vcc_lo, exec_lo
	s_wait_alu 0xfffe
	s_or_b32 s6, s2, s4
	s_wait_alu 0xfffe
	s_and_saveexec_b32 s2, s6
	s_cbranch_execnz .LBB79_13
.LBB79_10:
	s_endpgm
.LBB79_11:
                                        ; implicit-def: $vgpr2
	s_cbranch_execnz .LBB79_9
.LBB79_12:
	v_mov_b32_e32 v1, v2
	s_and_saveexec_b32 s2, s6
	s_cbranch_execz .LBB79_10
.LBB79_13:
	s_load_b256 s[4:11], s[0:1], 0x20
	s_delay_alu instid0(VALU_DEP_1) | instskip(SKIP_1) | instid1(VALU_DEP_2)
	v_ashrrev_i32_e32 v2, 31, v1
	v_and_b32_e32 v0, 63, v0
	v_lshlrev_b64_e32 v[2:3], 2, v[1:2]
	s_wait_kmcnt 0x0
	s_delay_alu instid0(VALU_DEP_1) | instskip(SKIP_1) | instid1(VALU_DEP_2)
	v_add_co_u32 v4, vcc_lo, s4, v2
	s_wait_alu 0xfffd
	v_add_co_ci_u32_e64 v5, null, s5, v3, vcc_lo
	v_add_co_u32 v2, vcc_lo, s6, v2
	s_wait_alu 0xfffd
	v_add_co_ci_u32_e64 v3, null, s7, v3, vcc_lo
	;; [unrolled: 3-line block ×3, first 2 shown]
	s_cmp_eq_u64 s[6:7], 0
	global_load_b32 v4, v[4:5], off
	s_cselect_b32 vcc_lo, -1, 0
	s_load_b64 s[4:5], s[0:1], 0x40
	v_dual_cndmask_b32 v3, v3, v7 :: v_dual_cndmask_b32 v2, v2, v6
	s_cmp_eq_u32 s3, 1
	global_load_b32 v3, v[2:3], off
	s_wait_loadcnt 0x1
	v_subrev_nc_u32_e32 v2, s16, v4
	s_delay_alu instid0(VALU_DEP_1) | instskip(SKIP_2) | instid1(VALU_DEP_2)
	v_add_nc_u32_e32 v2, v2, v0
	s_wait_loadcnt 0x0
	v_subrev_nc_u32_e32 v13, s16, v3
	v_mad_co_i64_i32 v[4:5], null, v2, 9, s[10:11]
	s_delay_alu instid0(VALU_DEP_2)
	v_cmp_lt_i32_e64 s2, v2, v13
	s_cbranch_scc1 .LBB79_19
; %bb.14:
	v_dual_mov_b32 v10, 0 :: v_dual_mov_b32 v11, 0
	v_mov_b32_e32 v12, 0
	s_and_saveexec_b32 s3, s2
	s_cbranch_execz .LBB79_18
; %bb.15:
	v_dual_mov_b32 v10, 0 :: v_dual_mov_b32 v7, v5
	v_dual_mov_b32 v6, v4 :: v_dual_mov_b32 v11, 0
	v_mov_b32_e32 v8, v2
	v_mov_b32_e32 v12, 0
	s_mov_b32 s6, 0
.LBB79_16:                              ; =>This Inner Loop Header: Depth=1
	s_delay_alu instid0(VALU_DEP_2) | instskip(NEXT) | instid1(VALU_DEP_1)
	v_ashrrev_i32_e32 v9, 31, v8
	v_lshlrev_b64_e32 v[14:15], 2, v[8:9]
	s_delay_alu instid0(VALU_DEP_1) | instskip(SKIP_1) | instid1(VALU_DEP_2)
	v_add_co_u32 v14, vcc_lo, s8, v14
	s_wait_alu 0xfffd
	v_add_co_ci_u32_e64 v15, null, s9, v15, vcc_lo
	global_load_b32 v3, v[14:15], off
	global_load_b64 v[14:15], v[6:7], off
	s_wait_loadcnt 0x1
	v_subrev_nc_u32_e32 v3, s16, v3
	s_wait_loadcnt 0x0
	v_bfe_i32 v18, v14, 8, 8
	v_bfe_i32 v19, v14, 16, 8
	;; [unrolled: 1-line block ×4, first 2 shown]
	v_lshl_add_u32 v3, v3, 1, v3
	v_bfe_i32 v21, v15, 8, 8
	v_ashrrev_i32_e32 v15, 24, v15
	v_cvt_f32_i32_e32 v22, v22
	v_cvt_f32_i32_e32 v18, v18
	v_ashrrev_i32_e32 v9, 31, v3
	s_wait_kmcnt 0x0
	v_add_co_u32 v16, vcc_lo, s4, v3
	v_cvt_f32_i32_e32 v20, v20
	v_cvt_f32_i32_e32 v15, v15
	s_wait_alu 0xfffd
	v_add_co_ci_u32_e64 v17, null, s5, v9, vcc_lo
	v_cvt_f32_i32_e32 v19, v19
	v_cvt_f32_i32_e32 v21, v21
	s_clause 0x1
	global_load_i8 v3, v[16:17], off offset:2
	global_load_u16 v9, v[16:17], off
	global_load_i8 v16, v[6:7], off offset:8
	v_bfe_i32 v17, v14, 0, 8
	v_ashrrev_i32_e32 v14, 24, v14
	v_add_co_u32 v6, vcc_lo, 0x240, v6
	s_wait_alu 0xfffd
	v_add_co_ci_u32_e64 v7, null, 0, v7, vcc_lo
	v_cvt_f32_i32_e32 v17, v17
	v_cvt_f32_i32_e32 v14, v14
	s_wait_loadcnt 0x2
	v_cvt_f32_i32_e32 v3, v3
	s_wait_loadcnt 0x1
	v_bfe_i32 v23, v9, 0, 8
	v_bfe_i32 v9, v9, 8, 8
	s_wait_loadcnt 0x0
	v_cvt_f32_i32_e32 v16, v16
	s_delay_alu instid0(VALU_DEP_3) | instskip(NEXT) | instid1(VALU_DEP_3)
	v_bfe_i32 v23, v23, 0, 16
	v_cvt_f32_i32_e32 v9, v9
	s_delay_alu instid0(VALU_DEP_2) | instskip(NEXT) | instid1(VALU_DEP_1)
	v_cvt_f32_i32_e32 v23, v23
	v_dual_fmac_f32 v11, v14, v23 :: v_dual_add_nc_u32 v8, 64, v8
	v_fmac_f32_e32 v12, v17, v23
	v_fmac_f32_e32 v10, v22, v23
	s_delay_alu instid0(VALU_DEP_3) | instskip(NEXT) | instid1(VALU_DEP_4)
	v_cmp_ge_i32_e32 vcc_lo, v8, v13
	v_fmac_f32_e32 v11, v20, v9
	s_delay_alu instid0(VALU_DEP_4) | instskip(NEXT) | instid1(VALU_DEP_4)
	v_fmac_f32_e32 v12, v18, v9
	v_fmac_f32_e32 v10, v15, v9
	s_wait_alu 0xfffe
	s_or_b32 s6, vcc_lo, s6
	v_fmac_f32_e32 v11, v21, v3
	v_fmac_f32_e32 v12, v19, v3
	;; [unrolled: 1-line block ×3, first 2 shown]
	s_wait_alu 0xfffe
	s_and_not1_b32 exec_lo, exec_lo, s6
	s_cbranch_execnz .LBB79_16
; %bb.17:
	s_or_b32 exec_lo, exec_lo, s6
.LBB79_18:
	s_wait_alu 0xfffe
	s_or_b32 exec_lo, exec_lo, s3
	s_cbranch_execz .LBB79_20
	s_branch .LBB79_25
.LBB79_19:
                                        ; implicit-def: $vgpr10
                                        ; implicit-def: $vgpr11
                                        ; implicit-def: $vgpr12
.LBB79_20:
	v_dual_mov_b32 v10, 0 :: v_dual_mov_b32 v11, 0
	v_mov_b32_e32 v12, 0
	s_and_saveexec_b32 s3, s2
	s_cbranch_execz .LBB79_24
; %bb.21:
	v_dual_mov_b32 v10, 0 :: v_dual_mov_b32 v11, 0
	v_mov_b32_e32 v12, 0
	s_mov_b32 s2, 0
.LBB79_22:                              ; =>This Inner Loop Header: Depth=1
	v_ashrrev_i32_e32 v3, 31, v2
	s_delay_alu instid0(VALU_DEP_1) | instskip(NEXT) | instid1(VALU_DEP_1)
	v_lshlrev_b64_e32 v[6:7], 2, v[2:3]
	v_add_co_u32 v6, vcc_lo, s8, v6
	s_wait_alu 0xfffd
	s_delay_alu instid0(VALU_DEP_2)
	v_add_co_ci_u32_e64 v7, null, s9, v7, vcc_lo
	global_load_b32 v3, v[6:7], off
	global_load_b64 v[6:7], v[4:5], off
	s_wait_loadcnt 0x1
	v_subrev_nc_u32_e32 v3, s16, v3
	s_wait_loadcnt 0x0
	v_bfe_i32 v15, v6, 8, 8
	v_bfe_i32 v14, v6, 0, 8
	v_bfe_i32 v16, v6, 16, 8
	v_bfe_i32 v17, v7, 0, 8
	v_lshl_add_u32 v3, v3, 1, v3
	v_cvt_f32_i32_e32 v15, v15
	v_ashrrev_i32_e32 v6, 24, v6
	v_bfe_i32 v18, v7, 8, 8
	v_bfe_i32 v19, v7, 16, 8
	v_ashrrev_i32_e32 v9, 31, v3
	s_wait_kmcnt 0x0
	v_add_co_u32 v8, vcc_lo, s4, v3
	v_ashrrev_i32_e32 v7, 24, v7
	v_cvt_f32_i32_e32 v14, v14
	s_wait_alu 0xfffd
	v_add_co_ci_u32_e64 v9, null, s5, v9, vcc_lo
	v_cvt_f32_i32_e32 v16, v16
	v_cvt_f32_i32_e32 v17, v17
	;; [unrolled: 1-line block ×3, first 2 shown]
	s_clause 0x1
	global_load_i8 v3, v[8:9], off offset:2
	global_load_u16 v8, v[8:9], off
	global_load_i8 v9, v[4:5], off offset:8
	v_cvt_f32_i32_e32 v18, v18
	v_cvt_f32_i32_e32 v19, v19
	;; [unrolled: 1-line block ×3, first 2 shown]
	v_add_co_u32 v4, vcc_lo, 0x240, v4
	s_wait_alu 0xfffd
	v_add_co_ci_u32_e64 v5, null, 0, v5, vcc_lo
	s_wait_loadcnt 0x2
	v_cvt_f32_i32_e32 v3, v3
	s_wait_loadcnt 0x1
	v_bfe_i32 v20, v8, 0, 8
	v_bfe_i32 v8, v8, 8, 8
	s_wait_loadcnt 0x0
	v_cvt_f32_i32_e32 v9, v9
	s_delay_alu instid0(VALU_DEP_3) | instskip(NEXT) | instid1(VALU_DEP_3)
	v_bfe_i32 v20, v20, 0, 16
	v_cvt_f32_i32_e32 v8, v8
	s_delay_alu instid0(VALU_DEP_2) | instskip(NEXT) | instid1(VALU_DEP_1)
	v_cvt_f32_i32_e32 v20, v20
	v_dual_fmac_f32 v11, v15, v20 :: v_dual_add_nc_u32 v2, 64, v2
	v_fmac_f32_e32 v10, v16, v20
	s_delay_alu instid0(VALU_DEP_2) | instskip(NEXT) | instid1(VALU_DEP_3)
	v_cmp_ge_i32_e32 vcc_lo, v2, v13
	v_fmac_f32_e32 v11, v17, v8
	v_fmac_f32_e32 v12, v14, v20
	s_delay_alu instid0(VALU_DEP_4) | instskip(SKIP_2) | instid1(VALU_DEP_2)
	v_fmac_f32_e32 v10, v18, v8
	s_wait_alu 0xfffe
	s_or_b32 s2, vcc_lo, s2
	v_dual_fmac_f32 v11, v7, v3 :: v_dual_fmac_f32 v12, v6, v8
	s_delay_alu instid0(VALU_DEP_2) | instskip(NEXT) | instid1(VALU_DEP_2)
	v_fmac_f32_e32 v10, v9, v3
	v_fmac_f32_e32 v12, v19, v3
	s_wait_alu 0xfffe
	s_and_not1_b32 exec_lo, exec_lo, s2
	s_cbranch_execnz .LBB79_22
; %bb.23:
	s_or_b32 exec_lo, exec_lo, s2
.LBB79_24:
	s_wait_alu 0xfffe
	s_or_b32 exec_lo, exec_lo, s3
.LBB79_25:
	v_mbcnt_lo_u32_b32 v2, -1, 0
	s_mov_b32 s2, -1
	s_delay_alu instid0(VALU_DEP_1) | instskip(SKIP_2) | instid1(VALU_DEP_3)
	v_or_b32_e32 v3, 32, v2
	v_xor_b32_e32 v6, 16, v2
	v_xor_b32_e32 v9, 8, v2
	v_cmp_gt_i32_e32 vcc_lo, 32, v3
	s_wait_alu 0xfffd
	v_cndmask_b32_e32 v3, v2, v3, vcc_lo
	v_cmp_gt_i32_e32 vcc_lo, 32, v6
	s_wait_alu 0xfffd
	v_cndmask_b32_e32 v6, v2, v6, vcc_lo
	v_cmp_gt_i32_e32 vcc_lo, 32, v9
	s_delay_alu instid0(VALU_DEP_2)
	v_lshlrev_b32_e32 v6, 2, v6
	v_lshlrev_b32_e32 v3, 2, v3
	ds_bpermute_b32 v4, v3, v12
	s_wait_dscnt 0x0
	v_add_f32_e32 v4, v12, v4
	ds_bpermute_b32 v5, v3, v11
	ds_bpermute_b32 v3, v3, v10
	;; [unrolled: 1-line block ×3, first 2 shown]
	s_wait_alu 0xfffd
	v_cndmask_b32_e32 v9, v2, v9, vcc_lo
	s_wait_dscnt 0x0
	v_dual_add_f32 v5, v11, v5 :: v_dual_add_f32 v4, v4, v7
	v_add_f32_e32 v3, v10, v3
	ds_bpermute_b32 v8, v6, v5
	v_lshlrev_b32_e32 v9, 2, v9
	ds_bpermute_b32 v6, v6, v3
	s_wait_dscnt 0x1
	v_add_f32_e32 v5, v5, v8
	s_wait_dscnt 0x0
	v_add_f32_e32 v3, v3, v6
	ds_bpermute_b32 v6, v9, v4
	ds_bpermute_b32 v7, v9, v5
	;; [unrolled: 1-line block ×3, first 2 shown]
	v_xor_b32_e32 v9, 4, v2
	s_delay_alu instid0(VALU_DEP_1)
	v_cmp_gt_i32_e32 vcc_lo, 32, v9
	s_wait_dscnt 0x1
	v_dual_add_f32 v4, v4, v6 :: v_dual_add_f32 v5, v5, v7
	s_wait_dscnt 0x0
	v_add_f32_e32 v3, v3, v8
	s_wait_alu 0xfffd
	v_cndmask_b32_e32 v9, v2, v9, vcc_lo
	s_delay_alu instid0(VALU_DEP_1) | instskip(SKIP_4) | instid1(VALU_DEP_1)
	v_lshlrev_b32_e32 v9, 2, v9
	ds_bpermute_b32 v6, v9, v4
	ds_bpermute_b32 v7, v9, v5
	;; [unrolled: 1-line block ×3, first 2 shown]
	v_xor_b32_e32 v9, 2, v2
	v_cmp_gt_i32_e32 vcc_lo, 32, v9
	s_wait_alu 0xfffd
	v_cndmask_b32_e32 v9, v2, v9, vcc_lo
	s_wait_dscnt 0x2
	s_delay_alu instid0(VALU_DEP_1)
	v_dual_add_f32 v4, v4, v6 :: v_dual_lshlrev_b32 v9, 2, v9
	s_wait_dscnt 0x0
	v_dual_add_f32 v5, v5, v7 :: v_dual_add_f32 v6, v3, v8
	ds_bpermute_b32 v3, v9, v4
	ds_bpermute_b32 v7, v9, v5
	;; [unrolled: 1-line block ×3, first 2 shown]
	v_xor_b32_e32 v9, 1, v2
	s_delay_alu instid0(VALU_DEP_1) | instskip(SKIP_4) | instid1(VALU_DEP_2)
	v_cmp_gt_i32_e32 vcc_lo, 32, v9
	s_wait_alu 0xfffd
	v_cndmask_b32_e32 v2, v2, v9, vcc_lo
	v_cmp_eq_u32_e32 vcc_lo, 63, v0
	s_wait_dscnt 0x2
	v_dual_add_f32 v2, v4, v3 :: v_dual_lshlrev_b32 v9, 2, v2
	s_wait_dscnt 0x0
	v_dual_add_f32 v3, v5, v7 :: v_dual_add_f32 v4, v6, v8
	ds_bpermute_b32 v5, v9, v2
	ds_bpermute_b32 v6, v9, v3
	;; [unrolled: 1-line block ×3, first 2 shown]
	s_and_b32 exec_lo, exec_lo, vcc_lo
	s_cbranch_execz .LBB79_10
; %bb.26:
	s_load_b64 s[0:1], s[0:1], 0x50
	s_wait_dscnt 0x2
	v_add_f32_e32 v0, v2, v5
	s_wait_dscnt 0x1
	v_add_f32_e32 v2, v3, v6
	;; [unrolled: 2-line block ×3, first 2 shown]
	v_lshl_add_u32 v3, v1, 1, v1
	s_cmp_eq_f32 s12, 0
	v_dual_mul_f32 v1, s14, v2 :: v_dual_mul_f32 v0, s14, v0
	s_delay_alu instid0(VALU_DEP_3) | instskip(NEXT) | instid1(VALU_DEP_3)
	v_mul_f32_e32 v2, s14, v4
	v_ashrrev_i32_e32 v4, 31, v3
	s_cbranch_scc0 .LBB79_28
; %bb.27:
	s_delay_alu instid0(VALU_DEP_1) | instskip(SKIP_2) | instid1(VALU_DEP_1)
	v_lshlrev_b64_e32 v[5:6], 2, v[3:4]
	s_mov_b32 s2, 0
	s_wait_kmcnt 0x0
	v_add_co_u32 v5, vcc_lo, s0, v5
	s_wait_alu 0xfffd
	s_delay_alu instid0(VALU_DEP_2)
	v_add_co_ci_u32_e64 v6, null, s1, v6, vcc_lo
	global_store_b96 v[5:6], v[0:2], off
.LBB79_28:
	s_wait_alu 0xfffe
	s_and_not1_b32 vcc_lo, exec_lo, s2
	s_wait_alu 0xfffe
	s_cbranch_vccnz .LBB79_10
; %bb.29:
	v_lshlrev_b64_e32 v[3:4], 2, v[3:4]
	s_wait_kmcnt 0x0
	s_delay_alu instid0(VALU_DEP_1) | instskip(SKIP_1) | instid1(VALU_DEP_2)
	v_add_co_u32 v6, vcc_lo, s0, v3
	s_wait_alu 0xfffd
	v_add_co_ci_u32_e64 v7, null, s1, v4, vcc_lo
	global_load_b96 v[3:5], v[6:7], off
	s_wait_loadcnt 0x0
	v_dual_fmac_f32 v0, s12, v3 :: v_dual_fmac_f32 v1, s12, v4
	v_fmac_f32_e32 v2, s12, v5
	global_store_b96 v[6:7], v[0:2], off
	s_endpgm
	.section	.rodata,"a",@progbits
	.p2align	6, 0x0
	.amdhsa_kernel _ZN9rocsparseL18bsrxmvn_3x3_kernelILj256ELj64EfiiaafEEvT3_20rocsparse_direction_NS_24const_host_device_scalarIT1_EES1_PKS1_PKT2_SA_S7_PKT4_PKT5_S5_PT6_21rocsparse_index_base_b
		.amdhsa_group_segment_fixed_size 0
		.amdhsa_private_segment_fixed_size 0
		.amdhsa_kernarg_size 96
		.amdhsa_user_sgpr_count 2
		.amdhsa_user_sgpr_dispatch_ptr 0
		.amdhsa_user_sgpr_queue_ptr 0
		.amdhsa_user_sgpr_kernarg_segment_ptr 1
		.amdhsa_user_sgpr_dispatch_id 0
		.amdhsa_user_sgpr_private_segment_size 0
		.amdhsa_wavefront_size32 1
		.amdhsa_uses_dynamic_stack 0
		.amdhsa_enable_private_segment 0
		.amdhsa_system_sgpr_workgroup_id_x 1
		.amdhsa_system_sgpr_workgroup_id_y 0
		.amdhsa_system_sgpr_workgroup_id_z 0
		.amdhsa_system_sgpr_workgroup_info 0
		.amdhsa_system_vgpr_workitem_id 0
		.amdhsa_next_free_vgpr 24
		.amdhsa_next_free_sgpr 18
		.amdhsa_reserve_vcc 1
		.amdhsa_float_round_mode_32 0
		.amdhsa_float_round_mode_16_64 0
		.amdhsa_float_denorm_mode_32 3
		.amdhsa_float_denorm_mode_16_64 3
		.amdhsa_fp16_overflow 0
		.amdhsa_workgroup_processor_mode 1
		.amdhsa_memory_ordered 1
		.amdhsa_forward_progress 1
		.amdhsa_inst_pref_size 17
		.amdhsa_round_robin_scheduling 0
		.amdhsa_exception_fp_ieee_invalid_op 0
		.amdhsa_exception_fp_denorm_src 0
		.amdhsa_exception_fp_ieee_div_zero 0
		.amdhsa_exception_fp_ieee_overflow 0
		.amdhsa_exception_fp_ieee_underflow 0
		.amdhsa_exception_fp_ieee_inexact 0
		.amdhsa_exception_int_div_zero 0
	.end_amdhsa_kernel
	.section	.text._ZN9rocsparseL18bsrxmvn_3x3_kernelILj256ELj64EfiiaafEEvT3_20rocsparse_direction_NS_24const_host_device_scalarIT1_EES1_PKS1_PKT2_SA_S7_PKT4_PKT5_S5_PT6_21rocsparse_index_base_b,"axG",@progbits,_ZN9rocsparseL18bsrxmvn_3x3_kernelILj256ELj64EfiiaafEEvT3_20rocsparse_direction_NS_24const_host_device_scalarIT1_EES1_PKS1_PKT2_SA_S7_PKT4_PKT5_S5_PT6_21rocsparse_index_base_b,comdat
.Lfunc_end79:
	.size	_ZN9rocsparseL18bsrxmvn_3x3_kernelILj256ELj64EfiiaafEEvT3_20rocsparse_direction_NS_24const_host_device_scalarIT1_EES1_PKS1_PKT2_SA_S7_PKT4_PKT5_S5_PT6_21rocsparse_index_base_b, .Lfunc_end79-_ZN9rocsparseL18bsrxmvn_3x3_kernelILj256ELj64EfiiaafEEvT3_20rocsparse_direction_NS_24const_host_device_scalarIT1_EES1_PKS1_PKT2_SA_S7_PKT4_PKT5_S5_PT6_21rocsparse_index_base_b
                                        ; -- End function
	.set _ZN9rocsparseL18bsrxmvn_3x3_kernelILj256ELj64EfiiaafEEvT3_20rocsparse_direction_NS_24const_host_device_scalarIT1_EES1_PKS1_PKT2_SA_S7_PKT4_PKT5_S5_PT6_21rocsparse_index_base_b.num_vgpr, 24
	.set _ZN9rocsparseL18bsrxmvn_3x3_kernelILj256ELj64EfiiaafEEvT3_20rocsparse_direction_NS_24const_host_device_scalarIT1_EES1_PKS1_PKT2_SA_S7_PKT4_PKT5_S5_PT6_21rocsparse_index_base_b.num_agpr, 0
	.set _ZN9rocsparseL18bsrxmvn_3x3_kernelILj256ELj64EfiiaafEEvT3_20rocsparse_direction_NS_24const_host_device_scalarIT1_EES1_PKS1_PKT2_SA_S7_PKT4_PKT5_S5_PT6_21rocsparse_index_base_b.numbered_sgpr, 18
	.set _ZN9rocsparseL18bsrxmvn_3x3_kernelILj256ELj64EfiiaafEEvT3_20rocsparse_direction_NS_24const_host_device_scalarIT1_EES1_PKS1_PKT2_SA_S7_PKT4_PKT5_S5_PT6_21rocsparse_index_base_b.num_named_barrier, 0
	.set _ZN9rocsparseL18bsrxmvn_3x3_kernelILj256ELj64EfiiaafEEvT3_20rocsparse_direction_NS_24const_host_device_scalarIT1_EES1_PKS1_PKT2_SA_S7_PKT4_PKT5_S5_PT6_21rocsparse_index_base_b.private_seg_size, 0
	.set _ZN9rocsparseL18bsrxmvn_3x3_kernelILj256ELj64EfiiaafEEvT3_20rocsparse_direction_NS_24const_host_device_scalarIT1_EES1_PKS1_PKT2_SA_S7_PKT4_PKT5_S5_PT6_21rocsparse_index_base_b.uses_vcc, 1
	.set _ZN9rocsparseL18bsrxmvn_3x3_kernelILj256ELj64EfiiaafEEvT3_20rocsparse_direction_NS_24const_host_device_scalarIT1_EES1_PKS1_PKT2_SA_S7_PKT4_PKT5_S5_PT6_21rocsparse_index_base_b.uses_flat_scratch, 0
	.set _ZN9rocsparseL18bsrxmvn_3x3_kernelILj256ELj64EfiiaafEEvT3_20rocsparse_direction_NS_24const_host_device_scalarIT1_EES1_PKS1_PKT2_SA_S7_PKT4_PKT5_S5_PT6_21rocsparse_index_base_b.has_dyn_sized_stack, 0
	.set _ZN9rocsparseL18bsrxmvn_3x3_kernelILj256ELj64EfiiaafEEvT3_20rocsparse_direction_NS_24const_host_device_scalarIT1_EES1_PKS1_PKT2_SA_S7_PKT4_PKT5_S5_PT6_21rocsparse_index_base_b.has_recursion, 0
	.set _ZN9rocsparseL18bsrxmvn_3x3_kernelILj256ELj64EfiiaafEEvT3_20rocsparse_direction_NS_24const_host_device_scalarIT1_EES1_PKS1_PKT2_SA_S7_PKT4_PKT5_S5_PT6_21rocsparse_index_base_b.has_indirect_call, 0
	.section	.AMDGPU.csdata,"",@progbits
; Kernel info:
; codeLenInByte = 2056
; TotalNumSgprs: 20
; NumVgprs: 24
; ScratchSize: 0
; MemoryBound: 0
; FloatMode: 240
; IeeeMode: 1
; LDSByteSize: 0 bytes/workgroup (compile time only)
; SGPRBlocks: 0
; VGPRBlocks: 2
; NumSGPRsForWavesPerEU: 20
; NumVGPRsForWavesPerEU: 24
; Occupancy: 16
; WaveLimiterHint : 1
; COMPUTE_PGM_RSRC2:SCRATCH_EN: 0
; COMPUTE_PGM_RSRC2:USER_SGPR: 2
; COMPUTE_PGM_RSRC2:TRAP_HANDLER: 0
; COMPUTE_PGM_RSRC2:TGID_X_EN: 1
; COMPUTE_PGM_RSRC2:TGID_Y_EN: 0
; COMPUTE_PGM_RSRC2:TGID_Z_EN: 0
; COMPUTE_PGM_RSRC2:TIDIG_COMP_CNT: 0
	.section	.text._ZN9rocsparseL18bsrxmvn_3x3_kernelILj256ELj4EfliaafEEvT3_20rocsparse_direction_NS_24const_host_device_scalarIT1_EES1_PKS1_PKT2_SA_S7_PKT4_PKT5_S5_PT6_21rocsparse_index_base_b,"axG",@progbits,_ZN9rocsparseL18bsrxmvn_3x3_kernelILj256ELj4EfliaafEEvT3_20rocsparse_direction_NS_24const_host_device_scalarIT1_EES1_PKS1_PKT2_SA_S7_PKT4_PKT5_S5_PT6_21rocsparse_index_base_b,comdat
	.globl	_ZN9rocsparseL18bsrxmvn_3x3_kernelILj256ELj4EfliaafEEvT3_20rocsparse_direction_NS_24const_host_device_scalarIT1_EES1_PKS1_PKT2_SA_S7_PKT4_PKT5_S5_PT6_21rocsparse_index_base_b ; -- Begin function _ZN9rocsparseL18bsrxmvn_3x3_kernelILj256ELj4EfliaafEEvT3_20rocsparse_direction_NS_24const_host_device_scalarIT1_EES1_PKS1_PKT2_SA_S7_PKT4_PKT5_S5_PT6_21rocsparse_index_base_b
	.p2align	8
	.type	_ZN9rocsparseL18bsrxmvn_3x3_kernelILj256ELj4EfliaafEEvT3_20rocsparse_direction_NS_24const_host_device_scalarIT1_EES1_PKS1_PKT2_SA_S7_PKT4_PKT5_S5_PT6_21rocsparse_index_base_b,@function
_ZN9rocsparseL18bsrxmvn_3x3_kernelILj256ELj4EfliaafEEvT3_20rocsparse_direction_NS_24const_host_device_scalarIT1_EES1_PKS1_PKT2_SA_S7_PKT4_PKT5_S5_PT6_21rocsparse_index_base_b: ; @_ZN9rocsparseL18bsrxmvn_3x3_kernelILj256ELj4EfliaafEEvT3_20rocsparse_direction_NS_24const_host_device_scalarIT1_EES1_PKS1_PKT2_SA_S7_PKT4_PKT5_S5_PT6_21rocsparse_index_base_b
; %bb.0:
	s_clause 0x2
	s_load_b64 s[16:17], s[0:1], 0x58
	s_load_b64 s[14:15], s[0:1], 0x8
	;; [unrolled: 1-line block ×3, first 2 shown]
	s_wait_kmcnt 0x0
	s_bitcmp1_b32 s17, 0
	s_cselect_b32 s2, -1, 0
	s_delay_alu instid0(SALU_CYCLE_1)
	s_and_b32 vcc_lo, exec_lo, s2
	s_xor_b32 s2, s2, -1
	s_cbranch_vccnz .LBB80_2
; %bb.1:
	s_load_b32 s14, s[14:15], 0x0
.LBB80_2:
	s_and_not1_b32 vcc_lo, exec_lo, s2
	s_cbranch_vccnz .LBB80_4
; %bb.3:
	s_load_b32 s12, s[12:13], 0x0
.LBB80_4:
	s_wait_kmcnt 0x0
	s_cmp_neq_f32 s14, 0
	s_mov_b32 s6, 0
	s_cselect_b32 s2, -1, 0
	s_cmp_neq_f32 s12, 1.0
	s_cselect_b32 s3, -1, 0
	s_delay_alu instid0(SALU_CYCLE_1) | instskip(NEXT) | instid1(SALU_CYCLE_1)
	s_or_b32 s2, s2, s3
	s_and_not1_b32 vcc_lo, exec_lo, s2
	s_cbranch_vccnz .LBB80_10
; %bb.5:
	s_clause 0x1
	s_load_b64 s[4:5], s[0:1], 0x18
	s_load_b64 s[2:3], s[0:1], 0x0
	v_lshrrev_b32_e32 v1, 2, v0
	s_delay_alu instid0(VALU_DEP_1)
	v_lshl_or_b32 v1, ttmp9, 6, v1
	s_wait_kmcnt 0x0
	s_cmp_lg_u64 s[4:5], 0
	s_cbranch_scc0 .LBB80_11
; %bb.6:
	s_load_b32 s6, s[0:1], 0x10
	s_mov_b32 s7, 0
                                        ; implicit-def: $vgpr2
	s_wait_kmcnt 0x0
	v_cmp_gt_i32_e32 vcc_lo, s6, v1
	s_mov_b32 s6, 0
	s_and_saveexec_b32 s8, vcc_lo
	s_delay_alu instid0(SALU_CYCLE_1)
	s_xor_b32 s8, exec_lo, s8
	s_cbranch_execz .LBB80_8
; %bb.7:
	v_ashrrev_i32_e32 v2, 31, v1
	s_mov_b32 s6, exec_lo
	s_delay_alu instid0(VALU_DEP_1) | instskip(NEXT) | instid1(VALU_DEP_1)
	v_lshlrev_b64_e32 v[2:3], 2, v[1:2]
	v_add_co_u32 v2, vcc_lo, s4, v2
	s_delay_alu instid0(VALU_DEP_1)
	v_add_co_ci_u32_e64 v3, null, s5, v3, vcc_lo
	global_load_b32 v2, v[2:3], off
	s_wait_loadcnt 0x0
	v_subrev_nc_u32_e32 v2, s16, v2
.LBB80_8:
	s_or_b32 exec_lo, exec_lo, s8
	s_delay_alu instid0(SALU_CYCLE_1)
	s_and_b32 vcc_lo, exec_lo, s7
	s_wait_alu 0xfffe
	s_cbranch_vccz .LBB80_12
.LBB80_9:
	v_cmp_gt_i32_e32 vcc_lo, s2, v1
	s_and_not1_b32 s2, s6, exec_lo
	s_and_b32 s4, vcc_lo, exec_lo
	s_wait_alu 0xfffe
	s_or_b32 s6, s2, s4
	s_wait_alu 0xfffe
	s_and_saveexec_b32 s2, s6
	s_cbranch_execnz .LBB80_13
.LBB80_10:
	s_endpgm
.LBB80_11:
                                        ; implicit-def: $vgpr2
	s_cbranch_execnz .LBB80_9
.LBB80_12:
	v_mov_b32_e32 v1, v2
	s_and_saveexec_b32 s2, s6
	s_cbranch_execz .LBB80_10
.LBB80_13:
	s_load_b256 s[4:11], s[0:1], 0x20
	s_delay_alu instid0(VALU_DEP_1) | instskip(SKIP_2) | instid1(VALU_DEP_3)
	v_ashrrev_i32_e32 v2, 31, v1
	v_and_b32_e32 v0, 3, v0
	v_mov_b32_e32 v14, 0
	v_lshlrev_b64_e32 v[2:3], 3, v[1:2]
	s_wait_kmcnt 0x0
	s_delay_alu instid0(VALU_DEP_1) | instskip(SKIP_1) | instid1(VALU_DEP_2)
	v_add_co_u32 v4, vcc_lo, s4, v2
	s_wait_alu 0xfffd
	v_add_co_ci_u32_e64 v5, null, s5, v3, vcc_lo
	v_add_co_u32 v2, vcc_lo, s6, v2
	s_wait_alu 0xfffd
	v_add_co_ci_u32_e64 v3, null, s7, v3, vcc_lo
	global_load_b64 v[6:7], v[4:5], off
	v_add_co_u32 v4, vcc_lo, v4, 8
	s_wait_alu 0xfffd
	v_add_co_ci_u32_e64 v5, null, 0, v5, vcc_lo
	s_cmp_eq_u64 s[6:7], 0
	s_load_b64 s[4:5], s[0:1], 0x40
	s_cselect_b32 vcc_lo, -1, 0
	s_cmp_eq_u32 s3, 1
	s_wait_alu 0xfffe
	v_dual_cndmask_b32 v3, v3, v5 :: v_dual_cndmask_b32 v2, v2, v4
	global_load_b64 v[8:9], v[2:3], off
	s_wait_loadcnt 0x1
	v_sub_co_u32 v2, vcc_lo, v6, s16
	s_wait_alu 0xfffd
	v_subrev_co_ci_u32_e64 v3, null, 0, v7, vcc_lo
	s_delay_alu instid0(VALU_DEP_2) | instskip(SKIP_1) | instid1(VALU_DEP_2)
	v_add_co_u32 v2, vcc_lo, v2, v0
	s_wait_alu 0xfffd
	v_add_co_ci_u32_e64 v3, null, 0, v3, vcc_lo
	s_delay_alu instid0(VALU_DEP_2) | instskip(NEXT) | instid1(VALU_DEP_1)
	v_mad_co_u64_u32 v[4:5], null, v2, 9, s[10:11]
	v_mad_co_u64_u32 v[5:6], null, v3, 9, v[5:6]
	s_wait_loadcnt 0x0
	v_sub_co_u32 v6, vcc_lo, v8, s16
	s_wait_alu 0xfffd
	v_subrev_co_ci_u32_e64 v7, null, 0, v9, vcc_lo
	s_delay_alu instid0(VALU_DEP_1)
	v_cmp_lt_i64_e64 s2, v[2:3], v[6:7]
	s_cbranch_scc1 .LBB80_19
; %bb.14:
	v_dual_mov_b32 v15, 0 :: v_dual_mov_b32 v16, 0
	s_and_saveexec_b32 s6, s2
	s_cbranch_execz .LBB80_18
; %bb.15:
	v_lshlrev_b64_e32 v[10:11], 2, v[2:3]
	v_dual_mov_b32 v14, 0 :: v_dual_mov_b32 v9, v5
	v_dual_mov_b32 v8, v4 :: v_dual_mov_b32 v13, v3
	;; [unrolled: 1-line block ×3, first 2 shown]
	s_delay_alu instid0(VALU_DEP_4)
	v_add_co_u32 v10, vcc_lo, s8, v10
	s_wait_alu 0xfffd
	v_add_co_ci_u32_e64 v11, null, s9, v11, vcc_lo
	v_mov_b32_e32 v16, 0
	s_mov_b32 s7, 0
.LBB80_16:                              ; =>This Inner Loop Header: Depth=1
	global_load_b32 v19, v[10:11], off
	global_load_b64 v[17:18], v[8:9], off
	s_wait_loadcnt 0x1
	v_subrev_nc_u32_e32 v19, s16, v19
	s_wait_loadcnt 0x0
	v_bfe_i32 v22, v17, 0, 8
	v_bfe_i32 v23, v17, 8, 8
	;; [unrolled: 1-line block ×3, first 2 shown]
	v_ashrrev_i32_e32 v17, 24, v17
	v_lshl_add_u32 v19, v19, 1, v19
	v_bfe_i32 v25, v18, 0, 8
	v_bfe_i32 v27, v18, 16, 8
	v_bfe_i32 v26, v18, 8, 8
	v_cvt_f32_i32_e32 v17, v17
	v_ashrrev_i32_e32 v20, 31, v19
	s_wait_kmcnt 0x0
	v_add_co_u32 v19, vcc_lo, s4, v19
	v_ashrrev_i32_e32 v18, 24, v18
	v_cvt_f32_i32_e32 v22, v22
	s_wait_alu 0xfffd
	v_add_co_ci_u32_e64 v20, null, s5, v20, vcc_lo
	v_cvt_f32_i32_e32 v23, v23
	v_cvt_f32_i32_e32 v25, v25
	v_cvt_f32_i32_e32 v27, v27
	s_clause 0x1
	global_load_i8 v21, v[19:20], off offset:2
	global_load_u16 v19, v[19:20], off
	global_load_i8 v20, v[8:9], off offset:8
	v_add_co_u32 v12, vcc_lo, v12, 4
	v_cvt_f32_i32_e32 v18, v18
	s_wait_alu 0xfffd
	v_add_co_ci_u32_e64 v13, null, 0, v13, vcc_lo
	v_cvt_f32_i32_e32 v24, v24
	v_add_co_u32 v8, vcc_lo, v8, 36
	s_delay_alu instid0(VALU_DEP_3)
	v_cmp_ge_i64_e64 s3, v[12:13], v[6:7]
	s_wait_alu 0xfffd
	v_add_co_ci_u32_e64 v9, null, 0, v9, vcc_lo
	v_add_co_u32 v10, vcc_lo, v10, 16
	s_wait_alu 0xfffd
	v_add_co_ci_u32_e64 v11, null, 0, v11, vcc_lo
	s_wait_alu 0xfffe
	s_or_b32 s7, s3, s7
	s_wait_loadcnt 0x2
	v_cvt_f32_i32_e32 v21, v21
	s_wait_loadcnt 0x1
	v_bfe_i32 v28, v19, 0, 8
	v_bfe_i32 v19, v19, 8, 8
	s_wait_loadcnt 0x0
	v_cvt_f32_i32_e32 v20, v20
	s_delay_alu instid0(VALU_DEP_3) | instskip(NEXT) | instid1(VALU_DEP_3)
	v_bfe_i32 v28, v28, 0, 16
	v_cvt_f32_i32_e32 v19, v19
	s_delay_alu instid0(VALU_DEP_2) | instskip(NEXT) | instid1(VALU_DEP_1)
	v_cvt_f32_i32_e32 v28, v28
	v_fmac_f32_e32 v15, v17, v28
	v_fmac_f32_e32 v16, v22, v28
	v_cvt_f32_i32_e32 v17, v26
	s_delay_alu instid0(VALU_DEP_3) | instskip(NEXT) | instid1(VALU_DEP_1)
	v_dual_fmac_f32 v15, v25, v19 :: v_dual_fmac_f32 v14, v27, v28
	v_dual_fmac_f32 v16, v23, v19 :: v_dual_fmac_f32 v15, v17, v21
	s_delay_alu instid0(VALU_DEP_2) | instskip(NEXT) | instid1(VALU_DEP_2)
	v_fmac_f32_e32 v14, v18, v19
	v_fmac_f32_e32 v16, v24, v21
	s_delay_alu instid0(VALU_DEP_2)
	v_fmac_f32_e32 v14, v20, v21
	s_wait_alu 0xfffe
	s_and_not1_b32 exec_lo, exec_lo, s7
	s_cbranch_execnz .LBB80_16
; %bb.17:
	s_or_b32 exec_lo, exec_lo, s7
.LBB80_18:
	s_wait_alu 0xfffe
	s_or_b32 exec_lo, exec_lo, s6
	s_cbranch_execz .LBB80_20
	s_branch .LBB80_25
.LBB80_19:
                                        ; implicit-def: $vgpr14
                                        ; implicit-def: $vgpr15
                                        ; implicit-def: $vgpr16
.LBB80_20:
	v_dual_mov_b32 v14, 0 :: v_dual_mov_b32 v15, 0
	v_mov_b32_e32 v16, 0
	s_and_saveexec_b32 s3, s2
	s_cbranch_execz .LBB80_24
; %bb.21:
	v_lshlrev_b64_e32 v[8:9], 2, v[2:3]
	v_dual_mov_b32 v14, 0 :: v_dual_mov_b32 v15, 0
	v_mov_b32_e32 v16, 0
	s_mov_b32 s6, 0
	s_delay_alu instid0(VALU_DEP_3)
	v_add_co_u32 v8, vcc_lo, s8, v8
	s_wait_alu 0xfffd
	v_add_co_ci_u32_e64 v9, null, s9, v9, vcc_lo
.LBB80_22:                              ; =>This Inner Loop Header: Depth=1
	global_load_b32 v12, v[8:9], off
	global_load_b64 v[10:11], v[4:5], off
	s_wait_loadcnt 0x1
	v_subrev_nc_u32_e32 v12, s16, v12
	s_wait_loadcnt 0x0
	v_bfe_i32 v20, v10, 16, 8
	v_bfe_i32 v19, v10, 8, 8
	;; [unrolled: 1-line block ×4, first 2 shown]
	v_lshl_add_u32 v12, v12, 1, v12
	v_cvt_f32_i32_e32 v20, v20
	v_bfe_i32 v21, v11, 0, 8
	v_cvt_f32_i32_e32 v19, v19
	v_cvt_f32_i32_e32 v22, v22
	v_ashrrev_i32_e32 v13, 31, v12
	s_wait_kmcnt 0x0
	v_add_co_u32 v12, vcc_lo, s4, v12
	v_ashrrev_i32_e32 v10, 24, v10
	v_bfe_i32 v23, v11, 16, 8
	s_wait_alu 0xfffd
	v_add_co_ci_u32_e64 v13, null, s5, v13, vcc_lo
	v_ashrrev_i32_e32 v11, 24, v11
	v_cvt_f32_i32_e32 v18, v18
	v_cvt_f32_i32_e32 v21, v21
	s_clause 0x1
	global_load_i8 v17, v[12:13], off offset:2
	global_load_u16 v12, v[12:13], off
	global_load_i8 v13, v[4:5], off offset:8
	v_add_co_u32 v2, vcc_lo, v2, 4
	v_cvt_f32_i32_e32 v10, v10
	v_cvt_f32_i32_e32 v23, v23
	;; [unrolled: 1-line block ×3, first 2 shown]
	s_wait_alu 0xfffd
	v_add_co_ci_u32_e64 v3, null, 0, v3, vcc_lo
	v_add_co_u32 v4, vcc_lo, v4, 36
	s_wait_alu 0xfffd
	v_add_co_ci_u32_e64 v5, null, 0, v5, vcc_lo
	s_delay_alu instid0(VALU_DEP_3) | instskip(SKIP_4) | instid1(VALU_DEP_3)
	v_cmp_ge_i64_e64 s2, v[2:3], v[6:7]
	v_add_co_u32 v8, vcc_lo, v8, 16
	s_wait_alu 0xfffd
	v_add_co_ci_u32_e64 v9, null, 0, v9, vcc_lo
	s_wait_alu 0xfffe
	s_or_b32 s6, s2, s6
	s_wait_loadcnt 0x2
	v_cvt_f32_i32_e32 v17, v17
	s_wait_loadcnt 0x1
	v_bfe_i32 v24, v12, 0, 8
	v_bfe_i32 v12, v12, 8, 8
	s_wait_loadcnt 0x0
	v_cvt_f32_i32_e32 v13, v13
	s_delay_alu instid0(VALU_DEP_3) | instskip(NEXT) | instid1(VALU_DEP_3)
	v_bfe_i32 v24, v24, 0, 16
	v_cvt_f32_i32_e32 v12, v12
	s_delay_alu instid0(VALU_DEP_2) | instskip(NEXT) | instid1(VALU_DEP_1)
	v_cvt_f32_i32_e32 v24, v24
	v_fmac_f32_e32 v14, v20, v24
	s_delay_alu instid0(VALU_DEP_1) | instskip(NEXT) | instid1(VALU_DEP_1)
	v_fmac_f32_e32 v14, v22, v12
	v_dual_fmac_f32 v15, v19, v24 :: v_dual_fmac_f32 v14, v13, v17
	s_delay_alu instid0(VALU_DEP_1) | instskip(NEXT) | instid1(VALU_DEP_1)
	v_fmac_f32_e32 v15, v21, v12
	v_dual_fmac_f32 v16, v18, v24 :: v_dual_fmac_f32 v15, v11, v17
	s_delay_alu instid0(VALU_DEP_1) | instskip(NEXT) | instid1(VALU_DEP_1)
	v_fmac_f32_e32 v16, v10, v12
	v_fmac_f32_e32 v16, v23, v17
	s_wait_alu 0xfffe
	s_and_not1_b32 exec_lo, exec_lo, s6
	s_cbranch_execnz .LBB80_22
; %bb.23:
	s_or_b32 exec_lo, exec_lo, s6
.LBB80_24:
	s_wait_alu 0xfffe
	s_or_b32 exec_lo, exec_lo, s3
.LBB80_25:
	v_mbcnt_lo_u32_b32 v2, -1, 0
	s_mov_b32 s2, -1
	s_delay_alu instid0(VALU_DEP_1) | instskip(NEXT) | instid1(VALU_DEP_1)
	v_xor_b32_e32 v3, 2, v2
	v_cmp_gt_i32_e32 vcc_lo, 32, v3
	s_wait_alu 0xfffd
	v_cndmask_b32_e32 v3, v2, v3, vcc_lo
	s_delay_alu instid0(VALU_DEP_1) | instskip(SKIP_4) | instid1(VALU_DEP_1)
	v_lshlrev_b32_e32 v3, 2, v3
	ds_bpermute_b32 v4, v3, v16
	ds_bpermute_b32 v5, v3, v15
	;; [unrolled: 1-line block ×3, first 2 shown]
	v_xor_b32_e32 v3, 1, v2
	v_cmp_gt_i32_e32 vcc_lo, 32, v3
	s_wait_alu 0xfffd
	v_cndmask_b32_e32 v2, v2, v3, vcc_lo
	v_cmp_eq_u32_e32 vcc_lo, 3, v0
	s_wait_dscnt 0x1
	v_add_f32_e32 v3, v15, v5
	s_delay_alu instid0(VALU_DEP_3)
	v_dual_add_f32 v2, v16, v4 :: v_dual_lshlrev_b32 v7, 2, v2
	s_wait_dscnt 0x0
	v_add_f32_e32 v4, v14, v6
	ds_bpermute_b32 v6, v7, v3
	ds_bpermute_b32 v5, v7, v2
	;; [unrolled: 1-line block ×3, first 2 shown]
	s_and_b32 exec_lo, exec_lo, vcc_lo
	s_cbranch_execz .LBB80_10
; %bb.26:
	s_load_b64 s[0:1], s[0:1], 0x50
	s_wait_dscnt 0x1
	v_add_f32_e32 v0, v2, v5
	v_add_f32_e32 v2, v3, v6
	s_wait_dscnt 0x0
	v_add_f32_e32 v4, v4, v7
	v_lshl_add_u32 v3, v1, 1, v1
	s_cmp_eq_f32 s12, 0
	v_dual_mul_f32 v1, s14, v2 :: v_dual_mul_f32 v0, s14, v0
	s_delay_alu instid0(VALU_DEP_3) | instskip(NEXT) | instid1(VALU_DEP_3)
	v_mul_f32_e32 v2, s14, v4
	v_ashrrev_i32_e32 v4, 31, v3
	s_cbranch_scc0 .LBB80_28
; %bb.27:
	s_delay_alu instid0(VALU_DEP_1) | instskip(SKIP_2) | instid1(VALU_DEP_1)
	v_lshlrev_b64_e32 v[5:6], 2, v[3:4]
	s_mov_b32 s2, 0
	s_wait_kmcnt 0x0
	v_add_co_u32 v5, vcc_lo, s0, v5
	s_wait_alu 0xfffd
	s_delay_alu instid0(VALU_DEP_2)
	v_add_co_ci_u32_e64 v6, null, s1, v6, vcc_lo
	global_store_b96 v[5:6], v[0:2], off
.LBB80_28:
	s_wait_alu 0xfffe
	s_and_not1_b32 vcc_lo, exec_lo, s2
	s_wait_alu 0xfffe
	s_cbranch_vccnz .LBB80_10
; %bb.29:
	v_lshlrev_b64_e32 v[3:4], 2, v[3:4]
	s_wait_kmcnt 0x0
	s_delay_alu instid0(VALU_DEP_1) | instskip(SKIP_1) | instid1(VALU_DEP_2)
	v_add_co_u32 v6, vcc_lo, s0, v3
	s_wait_alu 0xfffd
	v_add_co_ci_u32_e64 v7, null, s1, v4, vcc_lo
	global_load_b96 v[3:5], v[6:7], off
	s_wait_loadcnt 0x0
	v_dual_fmac_f32 v0, s12, v3 :: v_dual_fmac_f32 v1, s12, v4
	v_fmac_f32_e32 v2, s12, v5
	global_store_b96 v[6:7], v[0:2], off
	s_endpgm
	.section	.rodata,"a",@progbits
	.p2align	6, 0x0
	.amdhsa_kernel _ZN9rocsparseL18bsrxmvn_3x3_kernelILj256ELj4EfliaafEEvT3_20rocsparse_direction_NS_24const_host_device_scalarIT1_EES1_PKS1_PKT2_SA_S7_PKT4_PKT5_S5_PT6_21rocsparse_index_base_b
		.amdhsa_group_segment_fixed_size 0
		.amdhsa_private_segment_fixed_size 0
		.amdhsa_kernarg_size 96
		.amdhsa_user_sgpr_count 2
		.amdhsa_user_sgpr_dispatch_ptr 0
		.amdhsa_user_sgpr_queue_ptr 0
		.amdhsa_user_sgpr_kernarg_segment_ptr 1
		.amdhsa_user_sgpr_dispatch_id 0
		.amdhsa_user_sgpr_private_segment_size 0
		.amdhsa_wavefront_size32 1
		.amdhsa_uses_dynamic_stack 0
		.amdhsa_enable_private_segment 0
		.amdhsa_system_sgpr_workgroup_id_x 1
		.amdhsa_system_sgpr_workgroup_id_y 0
		.amdhsa_system_sgpr_workgroup_id_z 0
		.amdhsa_system_sgpr_workgroup_info 0
		.amdhsa_system_vgpr_workitem_id 0
		.amdhsa_next_free_vgpr 29
		.amdhsa_next_free_sgpr 18
		.amdhsa_reserve_vcc 1
		.amdhsa_float_round_mode_32 0
		.amdhsa_float_round_mode_16_64 0
		.amdhsa_float_denorm_mode_32 3
		.amdhsa_float_denorm_mode_16_64 3
		.amdhsa_fp16_overflow 0
		.amdhsa_workgroup_processor_mode 1
		.amdhsa_memory_ordered 1
		.amdhsa_forward_progress 1
		.amdhsa_inst_pref_size 15
		.amdhsa_round_robin_scheduling 0
		.amdhsa_exception_fp_ieee_invalid_op 0
		.amdhsa_exception_fp_denorm_src 0
		.amdhsa_exception_fp_ieee_div_zero 0
		.amdhsa_exception_fp_ieee_overflow 0
		.amdhsa_exception_fp_ieee_underflow 0
		.amdhsa_exception_fp_ieee_inexact 0
		.amdhsa_exception_int_div_zero 0
	.end_amdhsa_kernel
	.section	.text._ZN9rocsparseL18bsrxmvn_3x3_kernelILj256ELj4EfliaafEEvT3_20rocsparse_direction_NS_24const_host_device_scalarIT1_EES1_PKS1_PKT2_SA_S7_PKT4_PKT5_S5_PT6_21rocsparse_index_base_b,"axG",@progbits,_ZN9rocsparseL18bsrxmvn_3x3_kernelILj256ELj4EfliaafEEvT3_20rocsparse_direction_NS_24const_host_device_scalarIT1_EES1_PKS1_PKT2_SA_S7_PKT4_PKT5_S5_PT6_21rocsparse_index_base_b,comdat
.Lfunc_end80:
	.size	_ZN9rocsparseL18bsrxmvn_3x3_kernelILj256ELj4EfliaafEEvT3_20rocsparse_direction_NS_24const_host_device_scalarIT1_EES1_PKS1_PKT2_SA_S7_PKT4_PKT5_S5_PT6_21rocsparse_index_base_b, .Lfunc_end80-_ZN9rocsparseL18bsrxmvn_3x3_kernelILj256ELj4EfliaafEEvT3_20rocsparse_direction_NS_24const_host_device_scalarIT1_EES1_PKS1_PKT2_SA_S7_PKT4_PKT5_S5_PT6_21rocsparse_index_base_b
                                        ; -- End function
	.set _ZN9rocsparseL18bsrxmvn_3x3_kernelILj256ELj4EfliaafEEvT3_20rocsparse_direction_NS_24const_host_device_scalarIT1_EES1_PKS1_PKT2_SA_S7_PKT4_PKT5_S5_PT6_21rocsparse_index_base_b.num_vgpr, 29
	.set _ZN9rocsparseL18bsrxmvn_3x3_kernelILj256ELj4EfliaafEEvT3_20rocsparse_direction_NS_24const_host_device_scalarIT1_EES1_PKS1_PKT2_SA_S7_PKT4_PKT5_S5_PT6_21rocsparse_index_base_b.num_agpr, 0
	.set _ZN9rocsparseL18bsrxmvn_3x3_kernelILj256ELj4EfliaafEEvT3_20rocsparse_direction_NS_24const_host_device_scalarIT1_EES1_PKS1_PKT2_SA_S7_PKT4_PKT5_S5_PT6_21rocsparse_index_base_b.numbered_sgpr, 18
	.set _ZN9rocsparseL18bsrxmvn_3x3_kernelILj256ELj4EfliaafEEvT3_20rocsparse_direction_NS_24const_host_device_scalarIT1_EES1_PKS1_PKT2_SA_S7_PKT4_PKT5_S5_PT6_21rocsparse_index_base_b.num_named_barrier, 0
	.set _ZN9rocsparseL18bsrxmvn_3x3_kernelILj256ELj4EfliaafEEvT3_20rocsparse_direction_NS_24const_host_device_scalarIT1_EES1_PKS1_PKT2_SA_S7_PKT4_PKT5_S5_PT6_21rocsparse_index_base_b.private_seg_size, 0
	.set _ZN9rocsparseL18bsrxmvn_3x3_kernelILj256ELj4EfliaafEEvT3_20rocsparse_direction_NS_24const_host_device_scalarIT1_EES1_PKS1_PKT2_SA_S7_PKT4_PKT5_S5_PT6_21rocsparse_index_base_b.uses_vcc, 1
	.set _ZN9rocsparseL18bsrxmvn_3x3_kernelILj256ELj4EfliaafEEvT3_20rocsparse_direction_NS_24const_host_device_scalarIT1_EES1_PKS1_PKT2_SA_S7_PKT4_PKT5_S5_PT6_21rocsparse_index_base_b.uses_flat_scratch, 0
	.set _ZN9rocsparseL18bsrxmvn_3x3_kernelILj256ELj4EfliaafEEvT3_20rocsparse_direction_NS_24const_host_device_scalarIT1_EES1_PKS1_PKT2_SA_S7_PKT4_PKT5_S5_PT6_21rocsparse_index_base_b.has_dyn_sized_stack, 0
	.set _ZN9rocsparseL18bsrxmvn_3x3_kernelILj256ELj4EfliaafEEvT3_20rocsparse_direction_NS_24const_host_device_scalarIT1_EES1_PKS1_PKT2_SA_S7_PKT4_PKT5_S5_PT6_21rocsparse_index_base_b.has_recursion, 0
	.set _ZN9rocsparseL18bsrxmvn_3x3_kernelILj256ELj4EfliaafEEvT3_20rocsparse_direction_NS_24const_host_device_scalarIT1_EES1_PKS1_PKT2_SA_S7_PKT4_PKT5_S5_PT6_21rocsparse_index_base_b.has_indirect_call, 0
	.section	.AMDGPU.csdata,"",@progbits
; Kernel info:
; codeLenInByte = 1920
; TotalNumSgprs: 20
; NumVgprs: 29
; ScratchSize: 0
; MemoryBound: 0
; FloatMode: 240
; IeeeMode: 1
; LDSByteSize: 0 bytes/workgroup (compile time only)
; SGPRBlocks: 0
; VGPRBlocks: 3
; NumSGPRsForWavesPerEU: 20
; NumVGPRsForWavesPerEU: 29
; Occupancy: 16
; WaveLimiterHint : 1
; COMPUTE_PGM_RSRC2:SCRATCH_EN: 0
; COMPUTE_PGM_RSRC2:USER_SGPR: 2
; COMPUTE_PGM_RSRC2:TRAP_HANDLER: 0
; COMPUTE_PGM_RSRC2:TGID_X_EN: 1
; COMPUTE_PGM_RSRC2:TGID_Y_EN: 0
; COMPUTE_PGM_RSRC2:TGID_Z_EN: 0
; COMPUTE_PGM_RSRC2:TIDIG_COMP_CNT: 0
	.section	.text._ZN9rocsparseL18bsrxmvn_3x3_kernelILj256ELj8EfliaafEEvT3_20rocsparse_direction_NS_24const_host_device_scalarIT1_EES1_PKS1_PKT2_SA_S7_PKT4_PKT5_S5_PT6_21rocsparse_index_base_b,"axG",@progbits,_ZN9rocsparseL18bsrxmvn_3x3_kernelILj256ELj8EfliaafEEvT3_20rocsparse_direction_NS_24const_host_device_scalarIT1_EES1_PKS1_PKT2_SA_S7_PKT4_PKT5_S5_PT6_21rocsparse_index_base_b,comdat
	.globl	_ZN9rocsparseL18bsrxmvn_3x3_kernelILj256ELj8EfliaafEEvT3_20rocsparse_direction_NS_24const_host_device_scalarIT1_EES1_PKS1_PKT2_SA_S7_PKT4_PKT5_S5_PT6_21rocsparse_index_base_b ; -- Begin function _ZN9rocsparseL18bsrxmvn_3x3_kernelILj256ELj8EfliaafEEvT3_20rocsparse_direction_NS_24const_host_device_scalarIT1_EES1_PKS1_PKT2_SA_S7_PKT4_PKT5_S5_PT6_21rocsparse_index_base_b
	.p2align	8
	.type	_ZN9rocsparseL18bsrxmvn_3x3_kernelILj256ELj8EfliaafEEvT3_20rocsparse_direction_NS_24const_host_device_scalarIT1_EES1_PKS1_PKT2_SA_S7_PKT4_PKT5_S5_PT6_21rocsparse_index_base_b,@function
_ZN9rocsparseL18bsrxmvn_3x3_kernelILj256ELj8EfliaafEEvT3_20rocsparse_direction_NS_24const_host_device_scalarIT1_EES1_PKS1_PKT2_SA_S7_PKT4_PKT5_S5_PT6_21rocsparse_index_base_b: ; @_ZN9rocsparseL18bsrxmvn_3x3_kernelILj256ELj8EfliaafEEvT3_20rocsparse_direction_NS_24const_host_device_scalarIT1_EES1_PKS1_PKT2_SA_S7_PKT4_PKT5_S5_PT6_21rocsparse_index_base_b
; %bb.0:
	s_clause 0x2
	s_load_b64 s[16:17], s[0:1], 0x58
	s_load_b64 s[14:15], s[0:1], 0x8
	;; [unrolled: 1-line block ×3, first 2 shown]
	s_wait_kmcnt 0x0
	s_bitcmp1_b32 s17, 0
	s_cselect_b32 s2, -1, 0
	s_delay_alu instid0(SALU_CYCLE_1)
	s_and_b32 vcc_lo, exec_lo, s2
	s_xor_b32 s2, s2, -1
	s_cbranch_vccnz .LBB81_2
; %bb.1:
	s_load_b32 s14, s[14:15], 0x0
.LBB81_2:
	s_and_not1_b32 vcc_lo, exec_lo, s2
	s_cbranch_vccnz .LBB81_4
; %bb.3:
	s_load_b32 s12, s[12:13], 0x0
.LBB81_4:
	s_wait_kmcnt 0x0
	s_cmp_neq_f32 s14, 0
	s_mov_b32 s6, 0
	s_cselect_b32 s2, -1, 0
	s_cmp_neq_f32 s12, 1.0
	s_cselect_b32 s3, -1, 0
	s_delay_alu instid0(SALU_CYCLE_1) | instskip(NEXT) | instid1(SALU_CYCLE_1)
	s_or_b32 s2, s2, s3
	s_and_not1_b32 vcc_lo, exec_lo, s2
	s_cbranch_vccnz .LBB81_10
; %bb.5:
	s_clause 0x1
	s_load_b64 s[4:5], s[0:1], 0x18
	s_load_b64 s[2:3], s[0:1], 0x0
	v_lshrrev_b32_e32 v1, 3, v0
	s_delay_alu instid0(VALU_DEP_1)
	v_lshl_or_b32 v1, ttmp9, 5, v1
	s_wait_kmcnt 0x0
	s_cmp_lg_u64 s[4:5], 0
	s_cbranch_scc0 .LBB81_11
; %bb.6:
	s_load_b32 s6, s[0:1], 0x10
	s_mov_b32 s7, 0
                                        ; implicit-def: $vgpr2
	s_wait_kmcnt 0x0
	v_cmp_gt_i32_e32 vcc_lo, s6, v1
	s_mov_b32 s6, 0
	s_and_saveexec_b32 s8, vcc_lo
	s_delay_alu instid0(SALU_CYCLE_1)
	s_xor_b32 s8, exec_lo, s8
	s_cbranch_execz .LBB81_8
; %bb.7:
	v_ashrrev_i32_e32 v2, 31, v1
	s_mov_b32 s6, exec_lo
	s_delay_alu instid0(VALU_DEP_1) | instskip(NEXT) | instid1(VALU_DEP_1)
	v_lshlrev_b64_e32 v[2:3], 2, v[1:2]
	v_add_co_u32 v2, vcc_lo, s4, v2
	s_delay_alu instid0(VALU_DEP_1)
	v_add_co_ci_u32_e64 v3, null, s5, v3, vcc_lo
	global_load_b32 v2, v[2:3], off
	s_wait_loadcnt 0x0
	v_subrev_nc_u32_e32 v2, s16, v2
.LBB81_8:
	s_or_b32 exec_lo, exec_lo, s8
	s_delay_alu instid0(SALU_CYCLE_1)
	s_and_b32 vcc_lo, exec_lo, s7
	s_wait_alu 0xfffe
	s_cbranch_vccz .LBB81_12
.LBB81_9:
	v_cmp_gt_i32_e32 vcc_lo, s2, v1
	s_and_not1_b32 s2, s6, exec_lo
	s_and_b32 s4, vcc_lo, exec_lo
	s_wait_alu 0xfffe
	s_or_b32 s6, s2, s4
	s_wait_alu 0xfffe
	s_and_saveexec_b32 s2, s6
	s_cbranch_execnz .LBB81_13
.LBB81_10:
	s_endpgm
.LBB81_11:
                                        ; implicit-def: $vgpr2
	s_cbranch_execnz .LBB81_9
.LBB81_12:
	v_mov_b32_e32 v1, v2
	s_and_saveexec_b32 s2, s6
	s_cbranch_execz .LBB81_10
.LBB81_13:
	s_load_b256 s[4:11], s[0:1], 0x20
	s_delay_alu instid0(VALU_DEP_1) | instskip(SKIP_2) | instid1(VALU_DEP_3)
	v_ashrrev_i32_e32 v2, 31, v1
	v_and_b32_e32 v0, 7, v0
	v_mov_b32_e32 v14, 0
	v_lshlrev_b64_e32 v[2:3], 3, v[1:2]
	s_wait_kmcnt 0x0
	s_delay_alu instid0(VALU_DEP_1) | instskip(SKIP_1) | instid1(VALU_DEP_2)
	v_add_co_u32 v4, vcc_lo, s4, v2
	s_wait_alu 0xfffd
	v_add_co_ci_u32_e64 v5, null, s5, v3, vcc_lo
	v_add_co_u32 v2, vcc_lo, s6, v2
	s_wait_alu 0xfffd
	v_add_co_ci_u32_e64 v3, null, s7, v3, vcc_lo
	global_load_b64 v[6:7], v[4:5], off
	v_add_co_u32 v4, vcc_lo, v4, 8
	s_wait_alu 0xfffd
	v_add_co_ci_u32_e64 v5, null, 0, v5, vcc_lo
	s_cmp_eq_u64 s[6:7], 0
	s_load_b64 s[4:5], s[0:1], 0x40
	s_cselect_b32 vcc_lo, -1, 0
	s_cmp_eq_u32 s3, 1
	s_wait_alu 0xfffe
	v_dual_cndmask_b32 v3, v3, v5 :: v_dual_cndmask_b32 v2, v2, v4
	global_load_b64 v[8:9], v[2:3], off
	s_wait_loadcnt 0x1
	v_sub_co_u32 v2, vcc_lo, v6, s16
	s_wait_alu 0xfffd
	v_subrev_co_ci_u32_e64 v3, null, 0, v7, vcc_lo
	s_delay_alu instid0(VALU_DEP_2) | instskip(SKIP_1) | instid1(VALU_DEP_2)
	v_add_co_u32 v2, vcc_lo, v2, v0
	s_wait_alu 0xfffd
	v_add_co_ci_u32_e64 v3, null, 0, v3, vcc_lo
	s_delay_alu instid0(VALU_DEP_2) | instskip(NEXT) | instid1(VALU_DEP_1)
	v_mad_co_u64_u32 v[4:5], null, v2, 9, s[10:11]
	v_mad_co_u64_u32 v[5:6], null, v3, 9, v[5:6]
	s_wait_loadcnt 0x0
	v_sub_co_u32 v6, vcc_lo, v8, s16
	s_wait_alu 0xfffd
	v_subrev_co_ci_u32_e64 v7, null, 0, v9, vcc_lo
	s_delay_alu instid0(VALU_DEP_1)
	v_cmp_lt_i64_e64 s2, v[2:3], v[6:7]
	s_cbranch_scc1 .LBB81_19
; %bb.14:
	v_dual_mov_b32 v15, 0 :: v_dual_mov_b32 v16, 0
	s_and_saveexec_b32 s6, s2
	s_cbranch_execz .LBB81_18
; %bb.15:
	v_lshlrev_b64_e32 v[10:11], 2, v[2:3]
	v_dual_mov_b32 v14, 0 :: v_dual_mov_b32 v9, v5
	v_dual_mov_b32 v8, v4 :: v_dual_mov_b32 v13, v3
	;; [unrolled: 1-line block ×3, first 2 shown]
	s_delay_alu instid0(VALU_DEP_4)
	v_add_co_u32 v10, vcc_lo, s8, v10
	s_wait_alu 0xfffd
	v_add_co_ci_u32_e64 v11, null, s9, v11, vcc_lo
	v_mov_b32_e32 v16, 0
	s_mov_b32 s7, 0
.LBB81_16:                              ; =>This Inner Loop Header: Depth=1
	global_load_b32 v19, v[10:11], off
	global_load_b64 v[17:18], v[8:9], off
	s_wait_loadcnt 0x1
	v_subrev_nc_u32_e32 v19, s16, v19
	s_wait_loadcnt 0x0
	v_bfe_i32 v22, v17, 0, 8
	v_bfe_i32 v23, v17, 8, 8
	;; [unrolled: 1-line block ×3, first 2 shown]
	v_ashrrev_i32_e32 v17, 24, v17
	v_lshl_add_u32 v19, v19, 1, v19
	v_bfe_i32 v25, v18, 0, 8
	v_bfe_i32 v27, v18, 16, 8
	;; [unrolled: 1-line block ×3, first 2 shown]
	v_cvt_f32_i32_e32 v17, v17
	v_ashrrev_i32_e32 v20, 31, v19
	s_wait_kmcnt 0x0
	v_add_co_u32 v19, vcc_lo, s4, v19
	v_ashrrev_i32_e32 v18, 24, v18
	v_cvt_f32_i32_e32 v22, v22
	s_wait_alu 0xfffd
	v_add_co_ci_u32_e64 v20, null, s5, v20, vcc_lo
	v_cvt_f32_i32_e32 v23, v23
	v_cvt_f32_i32_e32 v25, v25
	;; [unrolled: 1-line block ×3, first 2 shown]
	s_clause 0x1
	global_load_i8 v21, v[19:20], off offset:2
	global_load_u16 v19, v[19:20], off
	global_load_i8 v20, v[8:9], off offset:8
	v_add_co_u32 v12, vcc_lo, v12, 8
	v_cvt_f32_i32_e32 v18, v18
	s_wait_alu 0xfffd
	v_add_co_ci_u32_e64 v13, null, 0, v13, vcc_lo
	v_cvt_f32_i32_e32 v24, v24
	v_add_co_u32 v8, vcc_lo, 0x48, v8
	s_delay_alu instid0(VALU_DEP_3)
	v_cmp_ge_i64_e64 s3, v[12:13], v[6:7]
	s_wait_alu 0xfffd
	v_add_co_ci_u32_e64 v9, null, 0, v9, vcc_lo
	v_add_co_u32 v10, vcc_lo, v10, 32
	s_wait_alu 0xfffd
	v_add_co_ci_u32_e64 v11, null, 0, v11, vcc_lo
	s_wait_alu 0xfffe
	s_or_b32 s7, s3, s7
	s_wait_loadcnt 0x2
	v_cvt_f32_i32_e32 v21, v21
	s_wait_loadcnt 0x1
	v_bfe_i32 v28, v19, 0, 8
	v_bfe_i32 v19, v19, 8, 8
	s_wait_loadcnt 0x0
	v_cvt_f32_i32_e32 v20, v20
	s_delay_alu instid0(VALU_DEP_3) | instskip(NEXT) | instid1(VALU_DEP_3)
	v_bfe_i32 v28, v28, 0, 16
	v_cvt_f32_i32_e32 v19, v19
	s_delay_alu instid0(VALU_DEP_2) | instskip(NEXT) | instid1(VALU_DEP_1)
	v_cvt_f32_i32_e32 v28, v28
	v_fmac_f32_e32 v15, v17, v28
	v_fmac_f32_e32 v16, v22, v28
	v_cvt_f32_i32_e32 v17, v26
	s_delay_alu instid0(VALU_DEP_3) | instskip(NEXT) | instid1(VALU_DEP_1)
	v_dual_fmac_f32 v15, v25, v19 :: v_dual_fmac_f32 v14, v27, v28
	v_dual_fmac_f32 v16, v23, v19 :: v_dual_fmac_f32 v15, v17, v21
	s_delay_alu instid0(VALU_DEP_2) | instskip(NEXT) | instid1(VALU_DEP_2)
	v_fmac_f32_e32 v14, v18, v19
	v_fmac_f32_e32 v16, v24, v21
	s_delay_alu instid0(VALU_DEP_2)
	v_fmac_f32_e32 v14, v20, v21
	s_wait_alu 0xfffe
	s_and_not1_b32 exec_lo, exec_lo, s7
	s_cbranch_execnz .LBB81_16
; %bb.17:
	s_or_b32 exec_lo, exec_lo, s7
.LBB81_18:
	s_wait_alu 0xfffe
	s_or_b32 exec_lo, exec_lo, s6
	s_cbranch_execz .LBB81_20
	s_branch .LBB81_25
.LBB81_19:
                                        ; implicit-def: $vgpr14
                                        ; implicit-def: $vgpr15
                                        ; implicit-def: $vgpr16
.LBB81_20:
	v_dual_mov_b32 v14, 0 :: v_dual_mov_b32 v15, 0
	v_mov_b32_e32 v16, 0
	s_and_saveexec_b32 s3, s2
	s_cbranch_execz .LBB81_24
; %bb.21:
	v_lshlrev_b64_e32 v[8:9], 2, v[2:3]
	v_dual_mov_b32 v14, 0 :: v_dual_mov_b32 v15, 0
	v_mov_b32_e32 v16, 0
	s_mov_b32 s6, 0
	s_delay_alu instid0(VALU_DEP_3)
	v_add_co_u32 v8, vcc_lo, s8, v8
	s_wait_alu 0xfffd
	v_add_co_ci_u32_e64 v9, null, s9, v9, vcc_lo
.LBB81_22:                              ; =>This Inner Loop Header: Depth=1
	global_load_b32 v12, v[8:9], off
	global_load_b64 v[10:11], v[4:5], off
	s_wait_loadcnt 0x1
	v_subrev_nc_u32_e32 v12, s16, v12
	s_wait_loadcnt 0x0
	v_bfe_i32 v20, v10, 16, 8
	v_bfe_i32 v19, v10, 8, 8
	;; [unrolled: 1-line block ×4, first 2 shown]
	v_lshl_add_u32 v12, v12, 1, v12
	v_cvt_f32_i32_e32 v20, v20
	v_bfe_i32 v21, v11, 0, 8
	v_cvt_f32_i32_e32 v19, v19
	v_cvt_f32_i32_e32 v22, v22
	v_ashrrev_i32_e32 v13, 31, v12
	s_wait_kmcnt 0x0
	v_add_co_u32 v12, vcc_lo, s4, v12
	v_ashrrev_i32_e32 v10, 24, v10
	v_bfe_i32 v23, v11, 16, 8
	s_wait_alu 0xfffd
	v_add_co_ci_u32_e64 v13, null, s5, v13, vcc_lo
	v_ashrrev_i32_e32 v11, 24, v11
	v_cvt_f32_i32_e32 v18, v18
	v_cvt_f32_i32_e32 v21, v21
	s_clause 0x1
	global_load_i8 v17, v[12:13], off offset:2
	global_load_u16 v12, v[12:13], off
	global_load_i8 v13, v[4:5], off offset:8
	v_add_co_u32 v2, vcc_lo, v2, 8
	v_cvt_f32_i32_e32 v10, v10
	v_cvt_f32_i32_e32 v23, v23
	;; [unrolled: 1-line block ×3, first 2 shown]
	s_wait_alu 0xfffd
	v_add_co_ci_u32_e64 v3, null, 0, v3, vcc_lo
	v_add_co_u32 v4, vcc_lo, 0x48, v4
	s_wait_alu 0xfffd
	v_add_co_ci_u32_e64 v5, null, 0, v5, vcc_lo
	s_delay_alu instid0(VALU_DEP_3) | instskip(SKIP_4) | instid1(VALU_DEP_3)
	v_cmp_ge_i64_e64 s2, v[2:3], v[6:7]
	v_add_co_u32 v8, vcc_lo, v8, 32
	s_wait_alu 0xfffd
	v_add_co_ci_u32_e64 v9, null, 0, v9, vcc_lo
	s_wait_alu 0xfffe
	s_or_b32 s6, s2, s6
	s_wait_loadcnt 0x2
	v_cvt_f32_i32_e32 v17, v17
	s_wait_loadcnt 0x1
	v_bfe_i32 v24, v12, 0, 8
	v_bfe_i32 v12, v12, 8, 8
	s_wait_loadcnt 0x0
	v_cvt_f32_i32_e32 v13, v13
	s_delay_alu instid0(VALU_DEP_3) | instskip(NEXT) | instid1(VALU_DEP_3)
	v_bfe_i32 v24, v24, 0, 16
	v_cvt_f32_i32_e32 v12, v12
	s_delay_alu instid0(VALU_DEP_2) | instskip(NEXT) | instid1(VALU_DEP_1)
	v_cvt_f32_i32_e32 v24, v24
	v_fmac_f32_e32 v14, v20, v24
	s_delay_alu instid0(VALU_DEP_1) | instskip(NEXT) | instid1(VALU_DEP_1)
	v_fmac_f32_e32 v14, v22, v12
	v_dual_fmac_f32 v15, v19, v24 :: v_dual_fmac_f32 v14, v13, v17
	s_delay_alu instid0(VALU_DEP_1) | instskip(NEXT) | instid1(VALU_DEP_1)
	v_fmac_f32_e32 v15, v21, v12
	v_dual_fmac_f32 v16, v18, v24 :: v_dual_fmac_f32 v15, v11, v17
	s_delay_alu instid0(VALU_DEP_1) | instskip(NEXT) | instid1(VALU_DEP_1)
	v_fmac_f32_e32 v16, v10, v12
	v_fmac_f32_e32 v16, v23, v17
	s_wait_alu 0xfffe
	s_and_not1_b32 exec_lo, exec_lo, s6
	s_cbranch_execnz .LBB81_22
; %bb.23:
	s_or_b32 exec_lo, exec_lo, s6
.LBB81_24:
	s_wait_alu 0xfffe
	s_or_b32 exec_lo, exec_lo, s3
.LBB81_25:
	v_mbcnt_lo_u32_b32 v2, -1, 0
	s_mov_b32 s2, -1
	s_delay_alu instid0(VALU_DEP_1) | instskip(SKIP_2) | instid1(VALU_DEP_3)
	v_xor_b32_e32 v3, 4, v2
	v_xor_b32_e32 v6, 2, v2
	;; [unrolled: 1-line block ×3, first 2 shown]
	v_cmp_gt_i32_e32 vcc_lo, 32, v3
	s_wait_alu 0xfffd
	v_cndmask_b32_e32 v3, v2, v3, vcc_lo
	v_cmp_gt_i32_e32 vcc_lo, 32, v6
	s_wait_alu 0xfffd
	v_cndmask_b32_e32 v6, v2, v6, vcc_lo
	v_cmp_gt_i32_e32 vcc_lo, 32, v9
	s_delay_alu instid0(VALU_DEP_2)
	v_lshlrev_b32_e32 v6, 2, v6
	v_lshlrev_b32_e32 v3, 2, v3
	ds_bpermute_b32 v4, v3, v16
	s_wait_dscnt 0x0
	v_add_f32_e32 v4, v16, v4
	ds_bpermute_b32 v5, v3, v15
	ds_bpermute_b32 v3, v3, v14
	s_wait_dscnt 0x1
	v_add_f32_e32 v5, v15, v5
	s_wait_dscnt 0x0
	v_add_f32_e32 v7, v14, v3
	ds_bpermute_b32 v3, v6, v4
	ds_bpermute_b32 v8, v6, v5
	;; [unrolled: 1-line block ×3, first 2 shown]
	s_wait_alu 0xfffd
	v_cndmask_b32_e32 v2, v2, v9, vcc_lo
	v_cmp_eq_u32_e32 vcc_lo, 7, v0
	s_wait_dscnt 0x2
	s_delay_alu instid0(VALU_DEP_2)
	v_dual_add_f32 v2, v4, v3 :: v_dual_lshlrev_b32 v9, 2, v2
	s_wait_dscnt 0x0
	v_dual_add_f32 v3, v5, v8 :: v_dual_add_f32 v4, v7, v6
	ds_bpermute_b32 v5, v9, v2
	ds_bpermute_b32 v6, v9, v3
	;; [unrolled: 1-line block ×3, first 2 shown]
	s_and_b32 exec_lo, exec_lo, vcc_lo
	s_cbranch_execz .LBB81_10
; %bb.26:
	s_load_b64 s[0:1], s[0:1], 0x50
	s_wait_dscnt 0x2
	v_add_f32_e32 v0, v2, v5
	s_wait_dscnt 0x1
	v_add_f32_e32 v2, v3, v6
	;; [unrolled: 2-line block ×3, first 2 shown]
	v_lshl_add_u32 v3, v1, 1, v1
	s_cmp_eq_f32 s12, 0
	v_dual_mul_f32 v1, s14, v2 :: v_dual_mul_f32 v0, s14, v0
	s_delay_alu instid0(VALU_DEP_3) | instskip(NEXT) | instid1(VALU_DEP_3)
	v_mul_f32_e32 v2, s14, v4
	v_ashrrev_i32_e32 v4, 31, v3
	s_cbranch_scc0 .LBB81_28
; %bb.27:
	s_delay_alu instid0(VALU_DEP_1) | instskip(SKIP_2) | instid1(VALU_DEP_1)
	v_lshlrev_b64_e32 v[5:6], 2, v[3:4]
	s_mov_b32 s2, 0
	s_wait_kmcnt 0x0
	v_add_co_u32 v5, vcc_lo, s0, v5
	s_wait_alu 0xfffd
	s_delay_alu instid0(VALU_DEP_2)
	v_add_co_ci_u32_e64 v6, null, s1, v6, vcc_lo
	global_store_b96 v[5:6], v[0:2], off
.LBB81_28:
	s_wait_alu 0xfffe
	s_and_not1_b32 vcc_lo, exec_lo, s2
	s_wait_alu 0xfffe
	s_cbranch_vccnz .LBB81_10
; %bb.29:
	v_lshlrev_b64_e32 v[3:4], 2, v[3:4]
	s_wait_kmcnt 0x0
	s_delay_alu instid0(VALU_DEP_1) | instskip(SKIP_1) | instid1(VALU_DEP_2)
	v_add_co_u32 v6, vcc_lo, s0, v3
	s_wait_alu 0xfffd
	v_add_co_ci_u32_e64 v7, null, s1, v4, vcc_lo
	global_load_b96 v[3:5], v[6:7], off
	s_wait_loadcnt 0x0
	v_dual_fmac_f32 v0, s12, v3 :: v_dual_fmac_f32 v1, s12, v4
	v_fmac_f32_e32 v2, s12, v5
	global_store_b96 v[6:7], v[0:2], off
	s_endpgm
	.section	.rodata,"a",@progbits
	.p2align	6, 0x0
	.amdhsa_kernel _ZN9rocsparseL18bsrxmvn_3x3_kernelILj256ELj8EfliaafEEvT3_20rocsparse_direction_NS_24const_host_device_scalarIT1_EES1_PKS1_PKT2_SA_S7_PKT4_PKT5_S5_PT6_21rocsparse_index_base_b
		.amdhsa_group_segment_fixed_size 0
		.amdhsa_private_segment_fixed_size 0
		.amdhsa_kernarg_size 96
		.amdhsa_user_sgpr_count 2
		.amdhsa_user_sgpr_dispatch_ptr 0
		.amdhsa_user_sgpr_queue_ptr 0
		.amdhsa_user_sgpr_kernarg_segment_ptr 1
		.amdhsa_user_sgpr_dispatch_id 0
		.amdhsa_user_sgpr_private_segment_size 0
		.amdhsa_wavefront_size32 1
		.amdhsa_uses_dynamic_stack 0
		.amdhsa_enable_private_segment 0
		.amdhsa_system_sgpr_workgroup_id_x 1
		.amdhsa_system_sgpr_workgroup_id_y 0
		.amdhsa_system_sgpr_workgroup_id_z 0
		.amdhsa_system_sgpr_workgroup_info 0
		.amdhsa_system_vgpr_workitem_id 0
		.amdhsa_next_free_vgpr 29
		.amdhsa_next_free_sgpr 18
		.amdhsa_reserve_vcc 1
		.amdhsa_float_round_mode_32 0
		.amdhsa_float_round_mode_16_64 0
		.amdhsa_float_denorm_mode_32 3
		.amdhsa_float_denorm_mode_16_64 3
		.amdhsa_fp16_overflow 0
		.amdhsa_workgroup_processor_mode 1
		.amdhsa_memory_ordered 1
		.amdhsa_forward_progress 1
		.amdhsa_inst_pref_size 16
		.amdhsa_round_robin_scheduling 0
		.amdhsa_exception_fp_ieee_invalid_op 0
		.amdhsa_exception_fp_denorm_src 0
		.amdhsa_exception_fp_ieee_div_zero 0
		.amdhsa_exception_fp_ieee_overflow 0
		.amdhsa_exception_fp_ieee_underflow 0
		.amdhsa_exception_fp_ieee_inexact 0
		.amdhsa_exception_int_div_zero 0
	.end_amdhsa_kernel
	.section	.text._ZN9rocsparseL18bsrxmvn_3x3_kernelILj256ELj8EfliaafEEvT3_20rocsparse_direction_NS_24const_host_device_scalarIT1_EES1_PKS1_PKT2_SA_S7_PKT4_PKT5_S5_PT6_21rocsparse_index_base_b,"axG",@progbits,_ZN9rocsparseL18bsrxmvn_3x3_kernelILj256ELj8EfliaafEEvT3_20rocsparse_direction_NS_24const_host_device_scalarIT1_EES1_PKS1_PKT2_SA_S7_PKT4_PKT5_S5_PT6_21rocsparse_index_base_b,comdat
.Lfunc_end81:
	.size	_ZN9rocsparseL18bsrxmvn_3x3_kernelILj256ELj8EfliaafEEvT3_20rocsparse_direction_NS_24const_host_device_scalarIT1_EES1_PKS1_PKT2_SA_S7_PKT4_PKT5_S5_PT6_21rocsparse_index_base_b, .Lfunc_end81-_ZN9rocsparseL18bsrxmvn_3x3_kernelILj256ELj8EfliaafEEvT3_20rocsparse_direction_NS_24const_host_device_scalarIT1_EES1_PKS1_PKT2_SA_S7_PKT4_PKT5_S5_PT6_21rocsparse_index_base_b
                                        ; -- End function
	.set _ZN9rocsparseL18bsrxmvn_3x3_kernelILj256ELj8EfliaafEEvT3_20rocsparse_direction_NS_24const_host_device_scalarIT1_EES1_PKS1_PKT2_SA_S7_PKT4_PKT5_S5_PT6_21rocsparse_index_base_b.num_vgpr, 29
	.set _ZN9rocsparseL18bsrxmvn_3x3_kernelILj256ELj8EfliaafEEvT3_20rocsparse_direction_NS_24const_host_device_scalarIT1_EES1_PKS1_PKT2_SA_S7_PKT4_PKT5_S5_PT6_21rocsparse_index_base_b.num_agpr, 0
	.set _ZN9rocsparseL18bsrxmvn_3x3_kernelILj256ELj8EfliaafEEvT3_20rocsparse_direction_NS_24const_host_device_scalarIT1_EES1_PKS1_PKT2_SA_S7_PKT4_PKT5_S5_PT6_21rocsparse_index_base_b.numbered_sgpr, 18
	.set _ZN9rocsparseL18bsrxmvn_3x3_kernelILj256ELj8EfliaafEEvT3_20rocsparse_direction_NS_24const_host_device_scalarIT1_EES1_PKS1_PKT2_SA_S7_PKT4_PKT5_S5_PT6_21rocsparse_index_base_b.num_named_barrier, 0
	.set _ZN9rocsparseL18bsrxmvn_3x3_kernelILj256ELj8EfliaafEEvT3_20rocsparse_direction_NS_24const_host_device_scalarIT1_EES1_PKS1_PKT2_SA_S7_PKT4_PKT5_S5_PT6_21rocsparse_index_base_b.private_seg_size, 0
	.set _ZN9rocsparseL18bsrxmvn_3x3_kernelILj256ELj8EfliaafEEvT3_20rocsparse_direction_NS_24const_host_device_scalarIT1_EES1_PKS1_PKT2_SA_S7_PKT4_PKT5_S5_PT6_21rocsparse_index_base_b.uses_vcc, 1
	.set _ZN9rocsparseL18bsrxmvn_3x3_kernelILj256ELj8EfliaafEEvT3_20rocsparse_direction_NS_24const_host_device_scalarIT1_EES1_PKS1_PKT2_SA_S7_PKT4_PKT5_S5_PT6_21rocsparse_index_base_b.uses_flat_scratch, 0
	.set _ZN9rocsparseL18bsrxmvn_3x3_kernelILj256ELj8EfliaafEEvT3_20rocsparse_direction_NS_24const_host_device_scalarIT1_EES1_PKS1_PKT2_SA_S7_PKT4_PKT5_S5_PT6_21rocsparse_index_base_b.has_dyn_sized_stack, 0
	.set _ZN9rocsparseL18bsrxmvn_3x3_kernelILj256ELj8EfliaafEEvT3_20rocsparse_direction_NS_24const_host_device_scalarIT1_EES1_PKS1_PKT2_SA_S7_PKT4_PKT5_S5_PT6_21rocsparse_index_base_b.has_recursion, 0
	.set _ZN9rocsparseL18bsrxmvn_3x3_kernelILj256ELj8EfliaafEEvT3_20rocsparse_direction_NS_24const_host_device_scalarIT1_EES1_PKS1_PKT2_SA_S7_PKT4_PKT5_S5_PT6_21rocsparse_index_base_b.has_indirect_call, 0
	.section	.AMDGPU.csdata,"",@progbits
; Kernel info:
; codeLenInByte = 2000
; TotalNumSgprs: 20
; NumVgprs: 29
; ScratchSize: 0
; MemoryBound: 0
; FloatMode: 240
; IeeeMode: 1
; LDSByteSize: 0 bytes/workgroup (compile time only)
; SGPRBlocks: 0
; VGPRBlocks: 3
; NumSGPRsForWavesPerEU: 20
; NumVGPRsForWavesPerEU: 29
; Occupancy: 16
; WaveLimiterHint : 1
; COMPUTE_PGM_RSRC2:SCRATCH_EN: 0
; COMPUTE_PGM_RSRC2:USER_SGPR: 2
; COMPUTE_PGM_RSRC2:TRAP_HANDLER: 0
; COMPUTE_PGM_RSRC2:TGID_X_EN: 1
; COMPUTE_PGM_RSRC2:TGID_Y_EN: 0
; COMPUTE_PGM_RSRC2:TGID_Z_EN: 0
; COMPUTE_PGM_RSRC2:TIDIG_COMP_CNT: 0
	.section	.text._ZN9rocsparseL18bsrxmvn_3x3_kernelILj256ELj16EfliaafEEvT3_20rocsparse_direction_NS_24const_host_device_scalarIT1_EES1_PKS1_PKT2_SA_S7_PKT4_PKT5_S5_PT6_21rocsparse_index_base_b,"axG",@progbits,_ZN9rocsparseL18bsrxmvn_3x3_kernelILj256ELj16EfliaafEEvT3_20rocsparse_direction_NS_24const_host_device_scalarIT1_EES1_PKS1_PKT2_SA_S7_PKT4_PKT5_S5_PT6_21rocsparse_index_base_b,comdat
	.globl	_ZN9rocsparseL18bsrxmvn_3x3_kernelILj256ELj16EfliaafEEvT3_20rocsparse_direction_NS_24const_host_device_scalarIT1_EES1_PKS1_PKT2_SA_S7_PKT4_PKT5_S5_PT6_21rocsparse_index_base_b ; -- Begin function _ZN9rocsparseL18bsrxmvn_3x3_kernelILj256ELj16EfliaafEEvT3_20rocsparse_direction_NS_24const_host_device_scalarIT1_EES1_PKS1_PKT2_SA_S7_PKT4_PKT5_S5_PT6_21rocsparse_index_base_b
	.p2align	8
	.type	_ZN9rocsparseL18bsrxmvn_3x3_kernelILj256ELj16EfliaafEEvT3_20rocsparse_direction_NS_24const_host_device_scalarIT1_EES1_PKS1_PKT2_SA_S7_PKT4_PKT5_S5_PT6_21rocsparse_index_base_b,@function
_ZN9rocsparseL18bsrxmvn_3x3_kernelILj256ELj16EfliaafEEvT3_20rocsparse_direction_NS_24const_host_device_scalarIT1_EES1_PKS1_PKT2_SA_S7_PKT4_PKT5_S5_PT6_21rocsparse_index_base_b: ; @_ZN9rocsparseL18bsrxmvn_3x3_kernelILj256ELj16EfliaafEEvT3_20rocsparse_direction_NS_24const_host_device_scalarIT1_EES1_PKS1_PKT2_SA_S7_PKT4_PKT5_S5_PT6_21rocsparse_index_base_b
; %bb.0:
	s_clause 0x2
	s_load_b64 s[16:17], s[0:1], 0x58
	s_load_b64 s[14:15], s[0:1], 0x8
	;; [unrolled: 1-line block ×3, first 2 shown]
	s_wait_kmcnt 0x0
	s_bitcmp1_b32 s17, 0
	s_cselect_b32 s2, -1, 0
	s_delay_alu instid0(SALU_CYCLE_1)
	s_and_b32 vcc_lo, exec_lo, s2
	s_xor_b32 s2, s2, -1
	s_cbranch_vccnz .LBB82_2
; %bb.1:
	s_load_b32 s14, s[14:15], 0x0
.LBB82_2:
	s_and_not1_b32 vcc_lo, exec_lo, s2
	s_cbranch_vccnz .LBB82_4
; %bb.3:
	s_load_b32 s12, s[12:13], 0x0
.LBB82_4:
	s_wait_kmcnt 0x0
	s_cmp_neq_f32 s14, 0
	s_mov_b32 s6, 0
	s_cselect_b32 s2, -1, 0
	s_cmp_neq_f32 s12, 1.0
	s_cselect_b32 s3, -1, 0
	s_delay_alu instid0(SALU_CYCLE_1) | instskip(NEXT) | instid1(SALU_CYCLE_1)
	s_or_b32 s2, s2, s3
	s_and_not1_b32 vcc_lo, exec_lo, s2
	s_cbranch_vccnz .LBB82_10
; %bb.5:
	s_clause 0x1
	s_load_b64 s[4:5], s[0:1], 0x18
	s_load_b64 s[2:3], s[0:1], 0x0
	v_lshrrev_b32_e32 v1, 4, v0
	s_delay_alu instid0(VALU_DEP_1)
	v_lshl_or_b32 v1, ttmp9, 4, v1
	s_wait_kmcnt 0x0
	s_cmp_lg_u64 s[4:5], 0
	s_cbranch_scc0 .LBB82_11
; %bb.6:
	s_load_b32 s6, s[0:1], 0x10
	s_mov_b32 s7, 0
                                        ; implicit-def: $vgpr2
	s_wait_kmcnt 0x0
	v_cmp_gt_i32_e32 vcc_lo, s6, v1
	s_mov_b32 s6, 0
	s_and_saveexec_b32 s8, vcc_lo
	s_delay_alu instid0(SALU_CYCLE_1)
	s_xor_b32 s8, exec_lo, s8
	s_cbranch_execz .LBB82_8
; %bb.7:
	v_ashrrev_i32_e32 v2, 31, v1
	s_mov_b32 s6, exec_lo
	s_delay_alu instid0(VALU_DEP_1) | instskip(NEXT) | instid1(VALU_DEP_1)
	v_lshlrev_b64_e32 v[2:3], 2, v[1:2]
	v_add_co_u32 v2, vcc_lo, s4, v2
	s_delay_alu instid0(VALU_DEP_1)
	v_add_co_ci_u32_e64 v3, null, s5, v3, vcc_lo
	global_load_b32 v2, v[2:3], off
	s_wait_loadcnt 0x0
	v_subrev_nc_u32_e32 v2, s16, v2
.LBB82_8:
	s_or_b32 exec_lo, exec_lo, s8
	s_delay_alu instid0(SALU_CYCLE_1)
	s_and_b32 vcc_lo, exec_lo, s7
	s_wait_alu 0xfffe
	s_cbranch_vccz .LBB82_12
.LBB82_9:
	v_cmp_gt_i32_e32 vcc_lo, s2, v1
	s_and_not1_b32 s2, s6, exec_lo
	s_and_b32 s4, vcc_lo, exec_lo
	s_wait_alu 0xfffe
	s_or_b32 s6, s2, s4
	s_wait_alu 0xfffe
	s_and_saveexec_b32 s2, s6
	s_cbranch_execnz .LBB82_13
.LBB82_10:
	s_endpgm
.LBB82_11:
                                        ; implicit-def: $vgpr2
	s_cbranch_execnz .LBB82_9
.LBB82_12:
	v_mov_b32_e32 v1, v2
	s_and_saveexec_b32 s2, s6
	s_cbranch_execz .LBB82_10
.LBB82_13:
	s_load_b256 s[4:11], s[0:1], 0x20
	s_delay_alu instid0(VALU_DEP_1) | instskip(SKIP_2) | instid1(VALU_DEP_3)
	v_ashrrev_i32_e32 v2, 31, v1
	v_and_b32_e32 v0, 15, v0
	v_mov_b32_e32 v14, 0
	v_lshlrev_b64_e32 v[2:3], 3, v[1:2]
	s_wait_kmcnt 0x0
	s_delay_alu instid0(VALU_DEP_1) | instskip(SKIP_1) | instid1(VALU_DEP_2)
	v_add_co_u32 v4, vcc_lo, s4, v2
	s_wait_alu 0xfffd
	v_add_co_ci_u32_e64 v5, null, s5, v3, vcc_lo
	v_add_co_u32 v2, vcc_lo, s6, v2
	s_wait_alu 0xfffd
	v_add_co_ci_u32_e64 v3, null, s7, v3, vcc_lo
	global_load_b64 v[6:7], v[4:5], off
	v_add_co_u32 v4, vcc_lo, v4, 8
	s_wait_alu 0xfffd
	v_add_co_ci_u32_e64 v5, null, 0, v5, vcc_lo
	s_cmp_eq_u64 s[6:7], 0
	s_load_b64 s[4:5], s[0:1], 0x40
	s_cselect_b32 vcc_lo, -1, 0
	s_cmp_eq_u32 s3, 1
	s_wait_alu 0xfffe
	v_dual_cndmask_b32 v3, v3, v5 :: v_dual_cndmask_b32 v2, v2, v4
	global_load_b64 v[8:9], v[2:3], off
	s_wait_loadcnt 0x1
	v_sub_co_u32 v2, vcc_lo, v6, s16
	s_wait_alu 0xfffd
	v_subrev_co_ci_u32_e64 v3, null, 0, v7, vcc_lo
	s_delay_alu instid0(VALU_DEP_2) | instskip(SKIP_1) | instid1(VALU_DEP_2)
	v_add_co_u32 v2, vcc_lo, v2, v0
	s_wait_alu 0xfffd
	v_add_co_ci_u32_e64 v3, null, 0, v3, vcc_lo
	s_delay_alu instid0(VALU_DEP_2) | instskip(NEXT) | instid1(VALU_DEP_1)
	v_mad_co_u64_u32 v[4:5], null, v2, 9, s[10:11]
	v_mad_co_u64_u32 v[5:6], null, v3, 9, v[5:6]
	s_wait_loadcnt 0x0
	v_sub_co_u32 v6, vcc_lo, v8, s16
	s_wait_alu 0xfffd
	v_subrev_co_ci_u32_e64 v7, null, 0, v9, vcc_lo
	s_delay_alu instid0(VALU_DEP_1)
	v_cmp_lt_i64_e64 s2, v[2:3], v[6:7]
	s_cbranch_scc1 .LBB82_19
; %bb.14:
	v_dual_mov_b32 v15, 0 :: v_dual_mov_b32 v16, 0
	s_and_saveexec_b32 s6, s2
	s_cbranch_execz .LBB82_18
; %bb.15:
	v_lshlrev_b64_e32 v[10:11], 2, v[2:3]
	v_dual_mov_b32 v14, 0 :: v_dual_mov_b32 v9, v5
	v_dual_mov_b32 v8, v4 :: v_dual_mov_b32 v13, v3
	;; [unrolled: 1-line block ×3, first 2 shown]
	s_delay_alu instid0(VALU_DEP_4)
	v_add_co_u32 v10, vcc_lo, s8, v10
	s_wait_alu 0xfffd
	v_add_co_ci_u32_e64 v11, null, s9, v11, vcc_lo
	v_mov_b32_e32 v16, 0
	s_mov_b32 s7, 0
.LBB82_16:                              ; =>This Inner Loop Header: Depth=1
	global_load_b32 v19, v[10:11], off
	global_load_b64 v[17:18], v[8:9], off
	s_wait_loadcnt 0x1
	v_subrev_nc_u32_e32 v19, s16, v19
	s_wait_loadcnt 0x0
	v_bfe_i32 v22, v17, 0, 8
	v_bfe_i32 v23, v17, 8, 8
	;; [unrolled: 1-line block ×3, first 2 shown]
	v_ashrrev_i32_e32 v17, 24, v17
	v_lshl_add_u32 v19, v19, 1, v19
	v_bfe_i32 v25, v18, 0, 8
	v_bfe_i32 v27, v18, 16, 8
	;; [unrolled: 1-line block ×3, first 2 shown]
	v_cvt_f32_i32_e32 v17, v17
	v_ashrrev_i32_e32 v20, 31, v19
	s_wait_kmcnt 0x0
	v_add_co_u32 v19, vcc_lo, s4, v19
	v_ashrrev_i32_e32 v18, 24, v18
	v_cvt_f32_i32_e32 v22, v22
	s_wait_alu 0xfffd
	v_add_co_ci_u32_e64 v20, null, s5, v20, vcc_lo
	v_cvt_f32_i32_e32 v23, v23
	v_cvt_f32_i32_e32 v25, v25
	;; [unrolled: 1-line block ×3, first 2 shown]
	s_clause 0x1
	global_load_i8 v21, v[19:20], off offset:2
	global_load_u16 v19, v[19:20], off
	global_load_i8 v20, v[8:9], off offset:8
	v_add_co_u32 v12, vcc_lo, v12, 16
	v_cvt_f32_i32_e32 v18, v18
	s_wait_alu 0xfffd
	v_add_co_ci_u32_e64 v13, null, 0, v13, vcc_lo
	v_cvt_f32_i32_e32 v24, v24
	v_add_co_u32 v8, vcc_lo, 0x90, v8
	s_delay_alu instid0(VALU_DEP_3)
	v_cmp_ge_i64_e64 s3, v[12:13], v[6:7]
	s_wait_alu 0xfffd
	v_add_co_ci_u32_e64 v9, null, 0, v9, vcc_lo
	v_add_co_u32 v10, vcc_lo, v10, 64
	s_wait_alu 0xfffd
	v_add_co_ci_u32_e64 v11, null, 0, v11, vcc_lo
	s_wait_alu 0xfffe
	s_or_b32 s7, s3, s7
	s_wait_loadcnt 0x2
	v_cvt_f32_i32_e32 v21, v21
	s_wait_loadcnt 0x1
	v_bfe_i32 v28, v19, 0, 8
	v_bfe_i32 v19, v19, 8, 8
	s_wait_loadcnt 0x0
	v_cvt_f32_i32_e32 v20, v20
	s_delay_alu instid0(VALU_DEP_3) | instskip(NEXT) | instid1(VALU_DEP_3)
	v_bfe_i32 v28, v28, 0, 16
	v_cvt_f32_i32_e32 v19, v19
	s_delay_alu instid0(VALU_DEP_2) | instskip(NEXT) | instid1(VALU_DEP_1)
	v_cvt_f32_i32_e32 v28, v28
	v_fmac_f32_e32 v15, v17, v28
	v_fmac_f32_e32 v16, v22, v28
	v_cvt_f32_i32_e32 v17, v26
	s_delay_alu instid0(VALU_DEP_3) | instskip(NEXT) | instid1(VALU_DEP_1)
	v_dual_fmac_f32 v15, v25, v19 :: v_dual_fmac_f32 v14, v27, v28
	v_dual_fmac_f32 v16, v23, v19 :: v_dual_fmac_f32 v15, v17, v21
	s_delay_alu instid0(VALU_DEP_2) | instskip(NEXT) | instid1(VALU_DEP_2)
	v_fmac_f32_e32 v14, v18, v19
	v_fmac_f32_e32 v16, v24, v21
	s_delay_alu instid0(VALU_DEP_2)
	v_fmac_f32_e32 v14, v20, v21
	s_wait_alu 0xfffe
	s_and_not1_b32 exec_lo, exec_lo, s7
	s_cbranch_execnz .LBB82_16
; %bb.17:
	s_or_b32 exec_lo, exec_lo, s7
.LBB82_18:
	s_wait_alu 0xfffe
	s_or_b32 exec_lo, exec_lo, s6
	s_cbranch_execz .LBB82_20
	s_branch .LBB82_25
.LBB82_19:
                                        ; implicit-def: $vgpr14
                                        ; implicit-def: $vgpr15
                                        ; implicit-def: $vgpr16
.LBB82_20:
	v_dual_mov_b32 v14, 0 :: v_dual_mov_b32 v15, 0
	v_mov_b32_e32 v16, 0
	s_and_saveexec_b32 s3, s2
	s_cbranch_execz .LBB82_24
; %bb.21:
	v_lshlrev_b64_e32 v[8:9], 2, v[2:3]
	v_dual_mov_b32 v14, 0 :: v_dual_mov_b32 v15, 0
	v_mov_b32_e32 v16, 0
	s_mov_b32 s6, 0
	s_delay_alu instid0(VALU_DEP_3)
	v_add_co_u32 v8, vcc_lo, s8, v8
	s_wait_alu 0xfffd
	v_add_co_ci_u32_e64 v9, null, s9, v9, vcc_lo
.LBB82_22:                              ; =>This Inner Loop Header: Depth=1
	global_load_b32 v12, v[8:9], off
	global_load_b64 v[10:11], v[4:5], off
	s_wait_loadcnt 0x1
	v_subrev_nc_u32_e32 v12, s16, v12
	s_wait_loadcnt 0x0
	v_bfe_i32 v20, v10, 16, 8
	v_bfe_i32 v19, v10, 8, 8
	;; [unrolled: 1-line block ×4, first 2 shown]
	v_lshl_add_u32 v12, v12, 1, v12
	v_cvt_f32_i32_e32 v20, v20
	v_bfe_i32 v21, v11, 0, 8
	v_cvt_f32_i32_e32 v19, v19
	v_cvt_f32_i32_e32 v22, v22
	v_ashrrev_i32_e32 v13, 31, v12
	s_wait_kmcnt 0x0
	v_add_co_u32 v12, vcc_lo, s4, v12
	v_ashrrev_i32_e32 v10, 24, v10
	v_bfe_i32 v23, v11, 16, 8
	s_wait_alu 0xfffd
	v_add_co_ci_u32_e64 v13, null, s5, v13, vcc_lo
	v_ashrrev_i32_e32 v11, 24, v11
	v_cvt_f32_i32_e32 v18, v18
	v_cvt_f32_i32_e32 v21, v21
	s_clause 0x1
	global_load_i8 v17, v[12:13], off offset:2
	global_load_u16 v12, v[12:13], off
	global_load_i8 v13, v[4:5], off offset:8
	v_add_co_u32 v2, vcc_lo, v2, 16
	v_cvt_f32_i32_e32 v10, v10
	v_cvt_f32_i32_e32 v23, v23
	;; [unrolled: 1-line block ×3, first 2 shown]
	s_wait_alu 0xfffd
	v_add_co_ci_u32_e64 v3, null, 0, v3, vcc_lo
	v_add_co_u32 v4, vcc_lo, 0x90, v4
	s_wait_alu 0xfffd
	v_add_co_ci_u32_e64 v5, null, 0, v5, vcc_lo
	s_delay_alu instid0(VALU_DEP_3) | instskip(SKIP_4) | instid1(VALU_DEP_3)
	v_cmp_ge_i64_e64 s2, v[2:3], v[6:7]
	v_add_co_u32 v8, vcc_lo, v8, 64
	s_wait_alu 0xfffd
	v_add_co_ci_u32_e64 v9, null, 0, v9, vcc_lo
	s_wait_alu 0xfffe
	s_or_b32 s6, s2, s6
	s_wait_loadcnt 0x2
	v_cvt_f32_i32_e32 v17, v17
	s_wait_loadcnt 0x1
	v_bfe_i32 v24, v12, 0, 8
	v_bfe_i32 v12, v12, 8, 8
	s_wait_loadcnt 0x0
	v_cvt_f32_i32_e32 v13, v13
	s_delay_alu instid0(VALU_DEP_3) | instskip(NEXT) | instid1(VALU_DEP_3)
	v_bfe_i32 v24, v24, 0, 16
	v_cvt_f32_i32_e32 v12, v12
	s_delay_alu instid0(VALU_DEP_2) | instskip(NEXT) | instid1(VALU_DEP_1)
	v_cvt_f32_i32_e32 v24, v24
	v_fmac_f32_e32 v14, v20, v24
	s_delay_alu instid0(VALU_DEP_1) | instskip(NEXT) | instid1(VALU_DEP_1)
	v_fmac_f32_e32 v14, v22, v12
	v_dual_fmac_f32 v15, v19, v24 :: v_dual_fmac_f32 v14, v13, v17
	s_delay_alu instid0(VALU_DEP_1) | instskip(NEXT) | instid1(VALU_DEP_1)
	v_fmac_f32_e32 v15, v21, v12
	v_dual_fmac_f32 v16, v18, v24 :: v_dual_fmac_f32 v15, v11, v17
	s_delay_alu instid0(VALU_DEP_1) | instskip(NEXT) | instid1(VALU_DEP_1)
	v_fmac_f32_e32 v16, v10, v12
	v_fmac_f32_e32 v16, v23, v17
	s_wait_alu 0xfffe
	s_and_not1_b32 exec_lo, exec_lo, s6
	s_cbranch_execnz .LBB82_22
; %bb.23:
	s_or_b32 exec_lo, exec_lo, s6
.LBB82_24:
	s_wait_alu 0xfffe
	s_or_b32 exec_lo, exec_lo, s3
.LBB82_25:
	v_mbcnt_lo_u32_b32 v2, -1, 0
	s_mov_b32 s2, -1
	s_delay_alu instid0(VALU_DEP_1) | instskip(SKIP_2) | instid1(VALU_DEP_3)
	v_xor_b32_e32 v3, 8, v2
	v_xor_b32_e32 v6, 4, v2
	;; [unrolled: 1-line block ×3, first 2 shown]
	v_cmp_gt_i32_e32 vcc_lo, 32, v3
	s_wait_alu 0xfffd
	v_cndmask_b32_e32 v3, v2, v3, vcc_lo
	v_cmp_gt_i32_e32 vcc_lo, 32, v6
	s_wait_alu 0xfffd
	v_cndmask_b32_e32 v6, v2, v6, vcc_lo
	v_cmp_gt_i32_e32 vcc_lo, 32, v9
	s_delay_alu instid0(VALU_DEP_2)
	v_lshlrev_b32_e32 v6, 2, v6
	v_lshlrev_b32_e32 v3, 2, v3
	ds_bpermute_b32 v4, v3, v16
	s_wait_dscnt 0x0
	v_add_f32_e32 v4, v16, v4
	ds_bpermute_b32 v5, v3, v15
	ds_bpermute_b32 v3, v3, v14
	;; [unrolled: 1-line block ×3, first 2 shown]
	s_wait_alu 0xfffd
	v_cndmask_b32_e32 v9, v2, v9, vcc_lo
	s_wait_dscnt 0x2
	v_add_f32_e32 v5, v15, v5
	s_wait_dscnt 0x1
	v_add_f32_e32 v3, v14, v3
	;; [unrolled: 2-line block ×3, first 2 shown]
	ds_bpermute_b32 v8, v6, v5
	ds_bpermute_b32 v6, v6, v3
	v_lshlrev_b32_e32 v9, 2, v9
	s_wait_dscnt 0x0
	v_dual_add_f32 v5, v5, v8 :: v_dual_add_f32 v6, v3, v6
	ds_bpermute_b32 v3, v9, v4
	ds_bpermute_b32 v7, v9, v5
	ds_bpermute_b32 v8, v9, v6
	v_xor_b32_e32 v9, 1, v2
	s_delay_alu instid0(VALU_DEP_1) | instskip(SKIP_4) | instid1(VALU_DEP_2)
	v_cmp_gt_i32_e32 vcc_lo, 32, v9
	s_wait_alu 0xfffd
	v_cndmask_b32_e32 v2, v2, v9, vcc_lo
	v_cmp_eq_u32_e32 vcc_lo, 15, v0
	s_wait_dscnt 0x2
	v_dual_add_f32 v2, v4, v3 :: v_dual_lshlrev_b32 v9, 2, v2
	s_wait_dscnt 0x0
	v_dual_add_f32 v3, v5, v7 :: v_dual_add_f32 v4, v6, v8
	ds_bpermute_b32 v5, v9, v2
	ds_bpermute_b32 v6, v9, v3
	;; [unrolled: 1-line block ×3, first 2 shown]
	s_and_b32 exec_lo, exec_lo, vcc_lo
	s_cbranch_execz .LBB82_10
; %bb.26:
	s_load_b64 s[0:1], s[0:1], 0x50
	s_wait_dscnt 0x2
	v_add_f32_e32 v0, v2, v5
	s_wait_dscnt 0x1
	v_add_f32_e32 v2, v3, v6
	;; [unrolled: 2-line block ×3, first 2 shown]
	v_lshl_add_u32 v3, v1, 1, v1
	s_cmp_eq_f32 s12, 0
	v_dual_mul_f32 v1, s14, v2 :: v_dual_mul_f32 v0, s14, v0
	s_delay_alu instid0(VALU_DEP_3) | instskip(NEXT) | instid1(VALU_DEP_3)
	v_mul_f32_e32 v2, s14, v4
	v_ashrrev_i32_e32 v4, 31, v3
	s_cbranch_scc0 .LBB82_28
; %bb.27:
	s_delay_alu instid0(VALU_DEP_1) | instskip(SKIP_2) | instid1(VALU_DEP_1)
	v_lshlrev_b64_e32 v[5:6], 2, v[3:4]
	s_mov_b32 s2, 0
	s_wait_kmcnt 0x0
	v_add_co_u32 v5, vcc_lo, s0, v5
	s_wait_alu 0xfffd
	s_delay_alu instid0(VALU_DEP_2)
	v_add_co_ci_u32_e64 v6, null, s1, v6, vcc_lo
	global_store_b96 v[5:6], v[0:2], off
.LBB82_28:
	s_wait_alu 0xfffe
	s_and_not1_b32 vcc_lo, exec_lo, s2
	s_wait_alu 0xfffe
	s_cbranch_vccnz .LBB82_10
; %bb.29:
	v_lshlrev_b64_e32 v[3:4], 2, v[3:4]
	s_wait_kmcnt 0x0
	s_delay_alu instid0(VALU_DEP_1) | instskip(SKIP_1) | instid1(VALU_DEP_2)
	v_add_co_u32 v6, vcc_lo, s0, v3
	s_wait_alu 0xfffd
	v_add_co_ci_u32_e64 v7, null, s1, v4, vcc_lo
	global_load_b96 v[3:5], v[6:7], off
	s_wait_loadcnt 0x0
	v_dual_fmac_f32 v0, s12, v3 :: v_dual_fmac_f32 v1, s12, v4
	v_fmac_f32_e32 v2, s12, v5
	global_store_b96 v[6:7], v[0:2], off
	s_endpgm
	.section	.rodata,"a",@progbits
	.p2align	6, 0x0
	.amdhsa_kernel _ZN9rocsparseL18bsrxmvn_3x3_kernelILj256ELj16EfliaafEEvT3_20rocsparse_direction_NS_24const_host_device_scalarIT1_EES1_PKS1_PKT2_SA_S7_PKT4_PKT5_S5_PT6_21rocsparse_index_base_b
		.amdhsa_group_segment_fixed_size 0
		.amdhsa_private_segment_fixed_size 0
		.amdhsa_kernarg_size 96
		.amdhsa_user_sgpr_count 2
		.amdhsa_user_sgpr_dispatch_ptr 0
		.amdhsa_user_sgpr_queue_ptr 0
		.amdhsa_user_sgpr_kernarg_segment_ptr 1
		.amdhsa_user_sgpr_dispatch_id 0
		.amdhsa_user_sgpr_private_segment_size 0
		.amdhsa_wavefront_size32 1
		.amdhsa_uses_dynamic_stack 0
		.amdhsa_enable_private_segment 0
		.amdhsa_system_sgpr_workgroup_id_x 1
		.amdhsa_system_sgpr_workgroup_id_y 0
		.amdhsa_system_sgpr_workgroup_id_z 0
		.amdhsa_system_sgpr_workgroup_info 0
		.amdhsa_system_vgpr_workitem_id 0
		.amdhsa_next_free_vgpr 29
		.amdhsa_next_free_sgpr 18
		.amdhsa_reserve_vcc 1
		.amdhsa_float_round_mode_32 0
		.amdhsa_float_round_mode_16_64 0
		.amdhsa_float_denorm_mode_32 3
		.amdhsa_float_denorm_mode_16_64 3
		.amdhsa_fp16_overflow 0
		.amdhsa_workgroup_processor_mode 1
		.amdhsa_memory_ordered 1
		.amdhsa_forward_progress 1
		.amdhsa_inst_pref_size 17
		.amdhsa_round_robin_scheduling 0
		.amdhsa_exception_fp_ieee_invalid_op 0
		.amdhsa_exception_fp_denorm_src 0
		.amdhsa_exception_fp_ieee_div_zero 0
		.amdhsa_exception_fp_ieee_overflow 0
		.amdhsa_exception_fp_ieee_underflow 0
		.amdhsa_exception_fp_ieee_inexact 0
		.amdhsa_exception_int_div_zero 0
	.end_amdhsa_kernel
	.section	.text._ZN9rocsparseL18bsrxmvn_3x3_kernelILj256ELj16EfliaafEEvT3_20rocsparse_direction_NS_24const_host_device_scalarIT1_EES1_PKS1_PKT2_SA_S7_PKT4_PKT5_S5_PT6_21rocsparse_index_base_b,"axG",@progbits,_ZN9rocsparseL18bsrxmvn_3x3_kernelILj256ELj16EfliaafEEvT3_20rocsparse_direction_NS_24const_host_device_scalarIT1_EES1_PKS1_PKT2_SA_S7_PKT4_PKT5_S5_PT6_21rocsparse_index_base_b,comdat
.Lfunc_end82:
	.size	_ZN9rocsparseL18bsrxmvn_3x3_kernelILj256ELj16EfliaafEEvT3_20rocsparse_direction_NS_24const_host_device_scalarIT1_EES1_PKS1_PKT2_SA_S7_PKT4_PKT5_S5_PT6_21rocsparse_index_base_b, .Lfunc_end82-_ZN9rocsparseL18bsrxmvn_3x3_kernelILj256ELj16EfliaafEEvT3_20rocsparse_direction_NS_24const_host_device_scalarIT1_EES1_PKS1_PKT2_SA_S7_PKT4_PKT5_S5_PT6_21rocsparse_index_base_b
                                        ; -- End function
	.set _ZN9rocsparseL18bsrxmvn_3x3_kernelILj256ELj16EfliaafEEvT3_20rocsparse_direction_NS_24const_host_device_scalarIT1_EES1_PKS1_PKT2_SA_S7_PKT4_PKT5_S5_PT6_21rocsparse_index_base_b.num_vgpr, 29
	.set _ZN9rocsparseL18bsrxmvn_3x3_kernelILj256ELj16EfliaafEEvT3_20rocsparse_direction_NS_24const_host_device_scalarIT1_EES1_PKS1_PKT2_SA_S7_PKT4_PKT5_S5_PT6_21rocsparse_index_base_b.num_agpr, 0
	.set _ZN9rocsparseL18bsrxmvn_3x3_kernelILj256ELj16EfliaafEEvT3_20rocsparse_direction_NS_24const_host_device_scalarIT1_EES1_PKS1_PKT2_SA_S7_PKT4_PKT5_S5_PT6_21rocsparse_index_base_b.numbered_sgpr, 18
	.set _ZN9rocsparseL18bsrxmvn_3x3_kernelILj256ELj16EfliaafEEvT3_20rocsparse_direction_NS_24const_host_device_scalarIT1_EES1_PKS1_PKT2_SA_S7_PKT4_PKT5_S5_PT6_21rocsparse_index_base_b.num_named_barrier, 0
	.set _ZN9rocsparseL18bsrxmvn_3x3_kernelILj256ELj16EfliaafEEvT3_20rocsparse_direction_NS_24const_host_device_scalarIT1_EES1_PKS1_PKT2_SA_S7_PKT4_PKT5_S5_PT6_21rocsparse_index_base_b.private_seg_size, 0
	.set _ZN9rocsparseL18bsrxmvn_3x3_kernelILj256ELj16EfliaafEEvT3_20rocsparse_direction_NS_24const_host_device_scalarIT1_EES1_PKS1_PKT2_SA_S7_PKT4_PKT5_S5_PT6_21rocsparse_index_base_b.uses_vcc, 1
	.set _ZN9rocsparseL18bsrxmvn_3x3_kernelILj256ELj16EfliaafEEvT3_20rocsparse_direction_NS_24const_host_device_scalarIT1_EES1_PKS1_PKT2_SA_S7_PKT4_PKT5_S5_PT6_21rocsparse_index_base_b.uses_flat_scratch, 0
	.set _ZN9rocsparseL18bsrxmvn_3x3_kernelILj256ELj16EfliaafEEvT3_20rocsparse_direction_NS_24const_host_device_scalarIT1_EES1_PKS1_PKT2_SA_S7_PKT4_PKT5_S5_PT6_21rocsparse_index_base_b.has_dyn_sized_stack, 0
	.set _ZN9rocsparseL18bsrxmvn_3x3_kernelILj256ELj16EfliaafEEvT3_20rocsparse_direction_NS_24const_host_device_scalarIT1_EES1_PKS1_PKT2_SA_S7_PKT4_PKT5_S5_PT6_21rocsparse_index_base_b.has_recursion, 0
	.set _ZN9rocsparseL18bsrxmvn_3x3_kernelILj256ELj16EfliaafEEvT3_20rocsparse_direction_NS_24const_host_device_scalarIT1_EES1_PKS1_PKT2_SA_S7_PKT4_PKT5_S5_PT6_21rocsparse_index_base_b.has_indirect_call, 0
	.section	.AMDGPU.csdata,"",@progbits
; Kernel info:
; codeLenInByte = 2064
; TotalNumSgprs: 20
; NumVgprs: 29
; ScratchSize: 0
; MemoryBound: 0
; FloatMode: 240
; IeeeMode: 1
; LDSByteSize: 0 bytes/workgroup (compile time only)
; SGPRBlocks: 0
; VGPRBlocks: 3
; NumSGPRsForWavesPerEU: 20
; NumVGPRsForWavesPerEU: 29
; Occupancy: 16
; WaveLimiterHint : 1
; COMPUTE_PGM_RSRC2:SCRATCH_EN: 0
; COMPUTE_PGM_RSRC2:USER_SGPR: 2
; COMPUTE_PGM_RSRC2:TRAP_HANDLER: 0
; COMPUTE_PGM_RSRC2:TGID_X_EN: 1
; COMPUTE_PGM_RSRC2:TGID_Y_EN: 0
; COMPUTE_PGM_RSRC2:TGID_Z_EN: 0
; COMPUTE_PGM_RSRC2:TIDIG_COMP_CNT: 0
	.section	.text._ZN9rocsparseL18bsrxmvn_3x3_kernelILj256ELj32EfliaafEEvT3_20rocsparse_direction_NS_24const_host_device_scalarIT1_EES1_PKS1_PKT2_SA_S7_PKT4_PKT5_S5_PT6_21rocsparse_index_base_b,"axG",@progbits,_ZN9rocsparseL18bsrxmvn_3x3_kernelILj256ELj32EfliaafEEvT3_20rocsparse_direction_NS_24const_host_device_scalarIT1_EES1_PKS1_PKT2_SA_S7_PKT4_PKT5_S5_PT6_21rocsparse_index_base_b,comdat
	.globl	_ZN9rocsparseL18bsrxmvn_3x3_kernelILj256ELj32EfliaafEEvT3_20rocsparse_direction_NS_24const_host_device_scalarIT1_EES1_PKS1_PKT2_SA_S7_PKT4_PKT5_S5_PT6_21rocsparse_index_base_b ; -- Begin function _ZN9rocsparseL18bsrxmvn_3x3_kernelILj256ELj32EfliaafEEvT3_20rocsparse_direction_NS_24const_host_device_scalarIT1_EES1_PKS1_PKT2_SA_S7_PKT4_PKT5_S5_PT6_21rocsparse_index_base_b
	.p2align	8
	.type	_ZN9rocsparseL18bsrxmvn_3x3_kernelILj256ELj32EfliaafEEvT3_20rocsparse_direction_NS_24const_host_device_scalarIT1_EES1_PKS1_PKT2_SA_S7_PKT4_PKT5_S5_PT6_21rocsparse_index_base_b,@function
_ZN9rocsparseL18bsrxmvn_3x3_kernelILj256ELj32EfliaafEEvT3_20rocsparse_direction_NS_24const_host_device_scalarIT1_EES1_PKS1_PKT2_SA_S7_PKT4_PKT5_S5_PT6_21rocsparse_index_base_b: ; @_ZN9rocsparseL18bsrxmvn_3x3_kernelILj256ELj32EfliaafEEvT3_20rocsparse_direction_NS_24const_host_device_scalarIT1_EES1_PKS1_PKT2_SA_S7_PKT4_PKT5_S5_PT6_21rocsparse_index_base_b
; %bb.0:
	s_clause 0x2
	s_load_b64 s[16:17], s[0:1], 0x58
	s_load_b64 s[14:15], s[0:1], 0x8
	s_load_b64 s[12:13], s[0:1], 0x48
	s_wait_kmcnt 0x0
	s_bitcmp1_b32 s17, 0
	s_cselect_b32 s2, -1, 0
	s_delay_alu instid0(SALU_CYCLE_1)
	s_and_b32 vcc_lo, exec_lo, s2
	s_xor_b32 s2, s2, -1
	s_cbranch_vccnz .LBB83_2
; %bb.1:
	s_load_b32 s14, s[14:15], 0x0
.LBB83_2:
	s_and_not1_b32 vcc_lo, exec_lo, s2
	s_cbranch_vccnz .LBB83_4
; %bb.3:
	s_load_b32 s12, s[12:13], 0x0
.LBB83_4:
	s_wait_kmcnt 0x0
	s_cmp_neq_f32 s14, 0
	s_mov_b32 s6, 0
	s_cselect_b32 s2, -1, 0
	s_cmp_neq_f32 s12, 1.0
	s_cselect_b32 s3, -1, 0
	s_delay_alu instid0(SALU_CYCLE_1) | instskip(NEXT) | instid1(SALU_CYCLE_1)
	s_or_b32 s2, s2, s3
	s_and_not1_b32 vcc_lo, exec_lo, s2
	s_cbranch_vccnz .LBB83_10
; %bb.5:
	s_clause 0x1
	s_load_b64 s[4:5], s[0:1], 0x18
	s_load_b64 s[2:3], s[0:1], 0x0
	v_lshrrev_b32_e32 v1, 5, v0
	s_delay_alu instid0(VALU_DEP_1)
	v_lshl_or_b32 v1, ttmp9, 3, v1
	s_wait_kmcnt 0x0
	s_cmp_lg_u64 s[4:5], 0
	s_cbranch_scc0 .LBB83_11
; %bb.6:
	s_load_b32 s6, s[0:1], 0x10
	s_mov_b32 s7, 0
                                        ; implicit-def: $vgpr2
	s_wait_kmcnt 0x0
	v_cmp_gt_i32_e32 vcc_lo, s6, v1
	s_mov_b32 s6, 0
	s_and_saveexec_b32 s8, vcc_lo
	s_delay_alu instid0(SALU_CYCLE_1)
	s_xor_b32 s8, exec_lo, s8
	s_cbranch_execz .LBB83_8
; %bb.7:
	v_ashrrev_i32_e32 v2, 31, v1
	s_mov_b32 s6, exec_lo
	s_delay_alu instid0(VALU_DEP_1) | instskip(NEXT) | instid1(VALU_DEP_1)
	v_lshlrev_b64_e32 v[2:3], 2, v[1:2]
	v_add_co_u32 v2, vcc_lo, s4, v2
	s_delay_alu instid0(VALU_DEP_1)
	v_add_co_ci_u32_e64 v3, null, s5, v3, vcc_lo
	global_load_b32 v2, v[2:3], off
	s_wait_loadcnt 0x0
	v_subrev_nc_u32_e32 v2, s16, v2
.LBB83_8:
	s_or_b32 exec_lo, exec_lo, s8
	s_delay_alu instid0(SALU_CYCLE_1)
	s_and_b32 vcc_lo, exec_lo, s7
	s_wait_alu 0xfffe
	s_cbranch_vccz .LBB83_12
.LBB83_9:
	v_cmp_gt_i32_e32 vcc_lo, s2, v1
	s_and_not1_b32 s2, s6, exec_lo
	s_and_b32 s4, vcc_lo, exec_lo
	s_wait_alu 0xfffe
	s_or_b32 s6, s2, s4
	s_wait_alu 0xfffe
	s_and_saveexec_b32 s2, s6
	s_cbranch_execnz .LBB83_13
.LBB83_10:
	s_endpgm
.LBB83_11:
                                        ; implicit-def: $vgpr2
	s_cbranch_execnz .LBB83_9
.LBB83_12:
	v_mov_b32_e32 v1, v2
	s_and_saveexec_b32 s2, s6
	s_cbranch_execz .LBB83_10
.LBB83_13:
	s_load_b256 s[4:11], s[0:1], 0x20
	s_delay_alu instid0(VALU_DEP_1) | instskip(SKIP_2) | instid1(VALU_DEP_3)
	v_ashrrev_i32_e32 v2, 31, v1
	v_and_b32_e32 v0, 31, v0
	v_mov_b32_e32 v14, 0
	v_lshlrev_b64_e32 v[2:3], 3, v[1:2]
	s_wait_kmcnt 0x0
	s_delay_alu instid0(VALU_DEP_1) | instskip(SKIP_1) | instid1(VALU_DEP_2)
	v_add_co_u32 v4, vcc_lo, s4, v2
	s_wait_alu 0xfffd
	v_add_co_ci_u32_e64 v5, null, s5, v3, vcc_lo
	v_add_co_u32 v2, vcc_lo, s6, v2
	s_wait_alu 0xfffd
	v_add_co_ci_u32_e64 v3, null, s7, v3, vcc_lo
	global_load_b64 v[6:7], v[4:5], off
	v_add_co_u32 v4, vcc_lo, v4, 8
	s_wait_alu 0xfffd
	v_add_co_ci_u32_e64 v5, null, 0, v5, vcc_lo
	s_cmp_eq_u64 s[6:7], 0
	s_load_b64 s[4:5], s[0:1], 0x40
	s_cselect_b32 vcc_lo, -1, 0
	s_cmp_eq_u32 s3, 1
	s_wait_alu 0xfffe
	v_dual_cndmask_b32 v3, v3, v5 :: v_dual_cndmask_b32 v2, v2, v4
	global_load_b64 v[8:9], v[2:3], off
	s_wait_loadcnt 0x1
	v_sub_co_u32 v2, vcc_lo, v6, s16
	s_wait_alu 0xfffd
	v_subrev_co_ci_u32_e64 v3, null, 0, v7, vcc_lo
	s_delay_alu instid0(VALU_DEP_2) | instskip(SKIP_1) | instid1(VALU_DEP_2)
	v_add_co_u32 v2, vcc_lo, v2, v0
	s_wait_alu 0xfffd
	v_add_co_ci_u32_e64 v3, null, 0, v3, vcc_lo
	s_delay_alu instid0(VALU_DEP_2) | instskip(NEXT) | instid1(VALU_DEP_1)
	v_mad_co_u64_u32 v[4:5], null, v2, 9, s[10:11]
	v_mad_co_u64_u32 v[5:6], null, v3, 9, v[5:6]
	s_wait_loadcnt 0x0
	v_sub_co_u32 v6, vcc_lo, v8, s16
	s_wait_alu 0xfffd
	v_subrev_co_ci_u32_e64 v7, null, 0, v9, vcc_lo
	s_delay_alu instid0(VALU_DEP_1)
	v_cmp_lt_i64_e64 s2, v[2:3], v[6:7]
	s_cbranch_scc1 .LBB83_19
; %bb.14:
	v_dual_mov_b32 v15, 0 :: v_dual_mov_b32 v16, 0
	s_and_saveexec_b32 s6, s2
	s_cbranch_execz .LBB83_18
; %bb.15:
	v_lshlrev_b64_e32 v[10:11], 2, v[2:3]
	v_dual_mov_b32 v14, 0 :: v_dual_mov_b32 v9, v5
	v_dual_mov_b32 v8, v4 :: v_dual_mov_b32 v13, v3
	v_dual_mov_b32 v12, v2 :: v_dual_mov_b32 v15, 0
	s_delay_alu instid0(VALU_DEP_4)
	v_add_co_u32 v10, vcc_lo, s8, v10
	s_wait_alu 0xfffd
	v_add_co_ci_u32_e64 v11, null, s9, v11, vcc_lo
	v_mov_b32_e32 v16, 0
	s_mov_b32 s7, 0
.LBB83_16:                              ; =>This Inner Loop Header: Depth=1
	global_load_b32 v19, v[10:11], off
	global_load_b64 v[17:18], v[8:9], off
	s_wait_loadcnt 0x1
	v_subrev_nc_u32_e32 v19, s16, v19
	s_wait_loadcnt 0x0
	v_bfe_i32 v22, v17, 0, 8
	v_bfe_i32 v23, v17, 8, 8
	;; [unrolled: 1-line block ×3, first 2 shown]
	v_ashrrev_i32_e32 v17, 24, v17
	v_lshl_add_u32 v19, v19, 1, v19
	v_bfe_i32 v25, v18, 0, 8
	v_bfe_i32 v27, v18, 16, 8
	;; [unrolled: 1-line block ×3, first 2 shown]
	v_cvt_f32_i32_e32 v17, v17
	v_ashrrev_i32_e32 v20, 31, v19
	s_wait_kmcnt 0x0
	v_add_co_u32 v19, vcc_lo, s4, v19
	v_ashrrev_i32_e32 v18, 24, v18
	v_cvt_f32_i32_e32 v22, v22
	s_wait_alu 0xfffd
	v_add_co_ci_u32_e64 v20, null, s5, v20, vcc_lo
	v_cvt_f32_i32_e32 v23, v23
	v_cvt_f32_i32_e32 v25, v25
	;; [unrolled: 1-line block ×3, first 2 shown]
	s_clause 0x1
	global_load_i8 v21, v[19:20], off offset:2
	global_load_u16 v19, v[19:20], off
	global_load_i8 v20, v[8:9], off offset:8
	v_add_co_u32 v12, vcc_lo, v12, 32
	v_cvt_f32_i32_e32 v18, v18
	s_wait_alu 0xfffd
	v_add_co_ci_u32_e64 v13, null, 0, v13, vcc_lo
	v_cvt_f32_i32_e32 v24, v24
	v_add_co_u32 v8, vcc_lo, 0x120, v8
	s_delay_alu instid0(VALU_DEP_3)
	v_cmp_ge_i64_e64 s3, v[12:13], v[6:7]
	s_wait_alu 0xfffd
	v_add_co_ci_u32_e64 v9, null, 0, v9, vcc_lo
	v_add_co_u32 v10, vcc_lo, 0x80, v10
	s_wait_alu 0xfffd
	v_add_co_ci_u32_e64 v11, null, 0, v11, vcc_lo
	s_wait_alu 0xfffe
	s_or_b32 s7, s3, s7
	s_wait_loadcnt 0x2
	v_cvt_f32_i32_e32 v21, v21
	s_wait_loadcnt 0x1
	v_bfe_i32 v28, v19, 0, 8
	v_bfe_i32 v19, v19, 8, 8
	s_wait_loadcnt 0x0
	v_cvt_f32_i32_e32 v20, v20
	s_delay_alu instid0(VALU_DEP_3) | instskip(NEXT) | instid1(VALU_DEP_3)
	v_bfe_i32 v28, v28, 0, 16
	v_cvt_f32_i32_e32 v19, v19
	s_delay_alu instid0(VALU_DEP_2) | instskip(NEXT) | instid1(VALU_DEP_1)
	v_cvt_f32_i32_e32 v28, v28
	v_fmac_f32_e32 v15, v17, v28
	v_fmac_f32_e32 v16, v22, v28
	v_cvt_f32_i32_e32 v17, v26
	s_delay_alu instid0(VALU_DEP_3) | instskip(NEXT) | instid1(VALU_DEP_1)
	v_dual_fmac_f32 v15, v25, v19 :: v_dual_fmac_f32 v14, v27, v28
	v_dual_fmac_f32 v16, v23, v19 :: v_dual_fmac_f32 v15, v17, v21
	s_delay_alu instid0(VALU_DEP_2) | instskip(NEXT) | instid1(VALU_DEP_2)
	v_fmac_f32_e32 v14, v18, v19
	v_fmac_f32_e32 v16, v24, v21
	s_delay_alu instid0(VALU_DEP_2)
	v_fmac_f32_e32 v14, v20, v21
	s_wait_alu 0xfffe
	s_and_not1_b32 exec_lo, exec_lo, s7
	s_cbranch_execnz .LBB83_16
; %bb.17:
	s_or_b32 exec_lo, exec_lo, s7
.LBB83_18:
	s_wait_alu 0xfffe
	s_or_b32 exec_lo, exec_lo, s6
	s_cbranch_execz .LBB83_20
	s_branch .LBB83_25
.LBB83_19:
                                        ; implicit-def: $vgpr14
                                        ; implicit-def: $vgpr15
                                        ; implicit-def: $vgpr16
.LBB83_20:
	v_dual_mov_b32 v14, 0 :: v_dual_mov_b32 v15, 0
	v_mov_b32_e32 v16, 0
	s_and_saveexec_b32 s3, s2
	s_cbranch_execz .LBB83_24
; %bb.21:
	v_lshlrev_b64_e32 v[8:9], 2, v[2:3]
	v_dual_mov_b32 v14, 0 :: v_dual_mov_b32 v15, 0
	v_mov_b32_e32 v16, 0
	s_mov_b32 s6, 0
	s_delay_alu instid0(VALU_DEP_3)
	v_add_co_u32 v8, vcc_lo, s8, v8
	s_wait_alu 0xfffd
	v_add_co_ci_u32_e64 v9, null, s9, v9, vcc_lo
.LBB83_22:                              ; =>This Inner Loop Header: Depth=1
	global_load_b32 v12, v[8:9], off
	global_load_b64 v[10:11], v[4:5], off
	s_wait_loadcnt 0x1
	v_subrev_nc_u32_e32 v12, s16, v12
	s_wait_loadcnt 0x0
	v_bfe_i32 v20, v10, 16, 8
	v_bfe_i32 v19, v10, 8, 8
	;; [unrolled: 1-line block ×4, first 2 shown]
	v_lshl_add_u32 v12, v12, 1, v12
	v_cvt_f32_i32_e32 v20, v20
	v_bfe_i32 v21, v11, 0, 8
	v_cvt_f32_i32_e32 v19, v19
	v_cvt_f32_i32_e32 v22, v22
	v_ashrrev_i32_e32 v13, 31, v12
	s_wait_kmcnt 0x0
	v_add_co_u32 v12, vcc_lo, s4, v12
	v_ashrrev_i32_e32 v10, 24, v10
	v_bfe_i32 v23, v11, 16, 8
	s_wait_alu 0xfffd
	v_add_co_ci_u32_e64 v13, null, s5, v13, vcc_lo
	v_ashrrev_i32_e32 v11, 24, v11
	v_cvt_f32_i32_e32 v18, v18
	v_cvt_f32_i32_e32 v21, v21
	s_clause 0x1
	global_load_i8 v17, v[12:13], off offset:2
	global_load_u16 v12, v[12:13], off
	global_load_i8 v13, v[4:5], off offset:8
	v_add_co_u32 v2, vcc_lo, v2, 32
	v_cvt_f32_i32_e32 v10, v10
	v_cvt_f32_i32_e32 v23, v23
	;; [unrolled: 1-line block ×3, first 2 shown]
	s_wait_alu 0xfffd
	v_add_co_ci_u32_e64 v3, null, 0, v3, vcc_lo
	v_add_co_u32 v4, vcc_lo, 0x120, v4
	s_wait_alu 0xfffd
	v_add_co_ci_u32_e64 v5, null, 0, v5, vcc_lo
	s_delay_alu instid0(VALU_DEP_3) | instskip(SKIP_4) | instid1(VALU_DEP_3)
	v_cmp_ge_i64_e64 s2, v[2:3], v[6:7]
	v_add_co_u32 v8, vcc_lo, 0x80, v8
	s_wait_alu 0xfffd
	v_add_co_ci_u32_e64 v9, null, 0, v9, vcc_lo
	s_wait_alu 0xfffe
	s_or_b32 s6, s2, s6
	s_wait_loadcnt 0x2
	v_cvt_f32_i32_e32 v17, v17
	s_wait_loadcnt 0x1
	v_bfe_i32 v24, v12, 0, 8
	v_bfe_i32 v12, v12, 8, 8
	s_wait_loadcnt 0x0
	v_cvt_f32_i32_e32 v13, v13
	s_delay_alu instid0(VALU_DEP_3) | instskip(NEXT) | instid1(VALU_DEP_3)
	v_bfe_i32 v24, v24, 0, 16
	v_cvt_f32_i32_e32 v12, v12
	s_delay_alu instid0(VALU_DEP_2) | instskip(NEXT) | instid1(VALU_DEP_1)
	v_cvt_f32_i32_e32 v24, v24
	v_fmac_f32_e32 v14, v20, v24
	s_delay_alu instid0(VALU_DEP_1) | instskip(NEXT) | instid1(VALU_DEP_1)
	v_fmac_f32_e32 v14, v22, v12
	v_dual_fmac_f32 v15, v19, v24 :: v_dual_fmac_f32 v14, v13, v17
	s_delay_alu instid0(VALU_DEP_1) | instskip(NEXT) | instid1(VALU_DEP_1)
	v_fmac_f32_e32 v15, v21, v12
	v_dual_fmac_f32 v16, v18, v24 :: v_dual_fmac_f32 v15, v11, v17
	s_delay_alu instid0(VALU_DEP_1) | instskip(NEXT) | instid1(VALU_DEP_1)
	v_fmac_f32_e32 v16, v10, v12
	v_fmac_f32_e32 v16, v23, v17
	s_wait_alu 0xfffe
	s_and_not1_b32 exec_lo, exec_lo, s6
	s_cbranch_execnz .LBB83_22
; %bb.23:
	s_or_b32 exec_lo, exec_lo, s6
.LBB83_24:
	s_wait_alu 0xfffe
	s_or_b32 exec_lo, exec_lo, s3
.LBB83_25:
	v_mbcnt_lo_u32_b32 v2, -1, 0
	s_mov_b32 s2, -1
	s_delay_alu instid0(VALU_DEP_1) | instskip(SKIP_2) | instid1(VALU_DEP_3)
	v_xor_b32_e32 v3, 16, v2
	v_xor_b32_e32 v6, 8, v2
	;; [unrolled: 1-line block ×3, first 2 shown]
	v_cmp_gt_i32_e32 vcc_lo, 32, v3
	s_wait_alu 0xfffd
	v_cndmask_b32_e32 v3, v2, v3, vcc_lo
	v_cmp_gt_i32_e32 vcc_lo, 32, v6
	s_wait_alu 0xfffd
	v_cndmask_b32_e32 v6, v2, v6, vcc_lo
	v_cmp_gt_i32_e32 vcc_lo, 32, v9
	s_delay_alu instid0(VALU_DEP_2)
	v_lshlrev_b32_e32 v6, 2, v6
	v_lshlrev_b32_e32 v3, 2, v3
	ds_bpermute_b32 v4, v3, v16
	s_wait_dscnt 0x0
	v_add_f32_e32 v4, v16, v4
	ds_bpermute_b32 v5, v3, v15
	ds_bpermute_b32 v3, v3, v14
	;; [unrolled: 1-line block ×3, first 2 shown]
	s_wait_alu 0xfffd
	v_cndmask_b32_e32 v9, v2, v9, vcc_lo
	s_wait_dscnt 0x0
	v_dual_add_f32 v5, v15, v5 :: v_dual_add_f32 v4, v4, v7
	v_add_f32_e32 v3, v14, v3
	ds_bpermute_b32 v8, v6, v5
	ds_bpermute_b32 v6, v6, v3
	s_wait_dscnt 0x1
	v_add_f32_e32 v5, v5, v8
	s_wait_dscnt 0x0
	v_add_f32_e32 v3, v3, v6
	v_lshlrev_b32_e32 v9, 2, v9
	ds_bpermute_b32 v6, v9, v4
	ds_bpermute_b32 v8, v9, v3
	s_wait_dscnt 0x1
	v_add_f32_e32 v4, v4, v6
	s_wait_dscnt 0x0
	v_add_f32_e32 v6, v3, v8
	ds_bpermute_b32 v7, v9, v5
	v_xor_b32_e32 v9, 2, v2
	s_delay_alu instid0(VALU_DEP_1) | instskip(SKIP_2) | instid1(VALU_DEP_1)
	v_cmp_gt_i32_e32 vcc_lo, 32, v9
	s_wait_alu 0xfffd
	v_cndmask_b32_e32 v9, v2, v9, vcc_lo
	v_lshlrev_b32_e32 v9, 2, v9
	s_wait_dscnt 0x0
	v_add_f32_e32 v5, v5, v7
	ds_bpermute_b32 v3, v9, v4
	ds_bpermute_b32 v8, v9, v6
	;; [unrolled: 1-line block ×3, first 2 shown]
	v_xor_b32_e32 v9, 1, v2
	s_delay_alu instid0(VALU_DEP_1) | instskip(SKIP_4) | instid1(VALU_DEP_2)
	v_cmp_gt_i32_e32 vcc_lo, 32, v9
	s_wait_alu 0xfffd
	v_cndmask_b32_e32 v2, v2, v9, vcc_lo
	v_cmp_eq_u32_e32 vcc_lo, 31, v0
	s_wait_dscnt 0x2
	v_dual_add_f32 v2, v4, v3 :: v_dual_lshlrev_b32 v9, 2, v2
	s_wait_dscnt 0x0
	v_dual_add_f32 v4, v6, v8 :: v_dual_add_f32 v3, v5, v7
	ds_bpermute_b32 v5, v9, v2
	ds_bpermute_b32 v7, v9, v4
	;; [unrolled: 1-line block ×3, first 2 shown]
	s_and_b32 exec_lo, exec_lo, vcc_lo
	s_cbranch_execz .LBB83_10
; %bb.26:
	s_load_b64 s[0:1], s[0:1], 0x50
	s_wait_dscnt 0x2
	v_add_f32_e32 v0, v2, v5
	s_wait_dscnt 0x0
	v_add_f32_e32 v2, v3, v6
	v_add_f32_e32 v4, v4, v7
	v_lshl_add_u32 v3, v1, 1, v1
	s_cmp_eq_f32 s12, 0
	s_delay_alu instid0(VALU_DEP_3) | instskip(NEXT) | instid1(VALU_DEP_3)
	v_dual_mul_f32 v1, s14, v2 :: v_dual_mul_f32 v0, s14, v0
	v_mul_f32_e32 v2, s14, v4
	s_delay_alu instid0(VALU_DEP_3)
	v_ashrrev_i32_e32 v4, 31, v3
	s_cbranch_scc0 .LBB83_28
; %bb.27:
	s_delay_alu instid0(VALU_DEP_1) | instskip(SKIP_2) | instid1(VALU_DEP_1)
	v_lshlrev_b64_e32 v[5:6], 2, v[3:4]
	s_mov_b32 s2, 0
	s_wait_kmcnt 0x0
	v_add_co_u32 v5, vcc_lo, s0, v5
	s_wait_alu 0xfffd
	s_delay_alu instid0(VALU_DEP_2)
	v_add_co_ci_u32_e64 v6, null, s1, v6, vcc_lo
	global_store_b96 v[5:6], v[0:2], off
.LBB83_28:
	s_wait_alu 0xfffe
	s_and_not1_b32 vcc_lo, exec_lo, s2
	s_wait_alu 0xfffe
	s_cbranch_vccnz .LBB83_10
; %bb.29:
	v_lshlrev_b64_e32 v[3:4], 2, v[3:4]
	s_wait_kmcnt 0x0
	s_delay_alu instid0(VALU_DEP_1) | instskip(SKIP_1) | instid1(VALU_DEP_2)
	v_add_co_u32 v6, vcc_lo, s0, v3
	s_wait_alu 0xfffd
	v_add_co_ci_u32_e64 v7, null, s1, v4, vcc_lo
	global_load_b96 v[3:5], v[6:7], off
	s_wait_loadcnt 0x0
	v_dual_fmac_f32 v0, s12, v3 :: v_dual_fmac_f32 v1, s12, v4
	v_fmac_f32_e32 v2, s12, v5
	global_store_b96 v[6:7], v[0:2], off
	s_endpgm
	.section	.rodata,"a",@progbits
	.p2align	6, 0x0
	.amdhsa_kernel _ZN9rocsparseL18bsrxmvn_3x3_kernelILj256ELj32EfliaafEEvT3_20rocsparse_direction_NS_24const_host_device_scalarIT1_EES1_PKS1_PKT2_SA_S7_PKT4_PKT5_S5_PT6_21rocsparse_index_base_b
		.amdhsa_group_segment_fixed_size 0
		.amdhsa_private_segment_fixed_size 0
		.amdhsa_kernarg_size 96
		.amdhsa_user_sgpr_count 2
		.amdhsa_user_sgpr_dispatch_ptr 0
		.amdhsa_user_sgpr_queue_ptr 0
		.amdhsa_user_sgpr_kernarg_segment_ptr 1
		.amdhsa_user_sgpr_dispatch_id 0
		.amdhsa_user_sgpr_private_segment_size 0
		.amdhsa_wavefront_size32 1
		.amdhsa_uses_dynamic_stack 0
		.amdhsa_enable_private_segment 0
		.amdhsa_system_sgpr_workgroup_id_x 1
		.amdhsa_system_sgpr_workgroup_id_y 0
		.amdhsa_system_sgpr_workgroup_id_z 0
		.amdhsa_system_sgpr_workgroup_info 0
		.amdhsa_system_vgpr_workitem_id 0
		.amdhsa_next_free_vgpr 29
		.amdhsa_next_free_sgpr 18
		.amdhsa_reserve_vcc 1
		.amdhsa_float_round_mode_32 0
		.amdhsa_float_round_mode_16_64 0
		.amdhsa_float_denorm_mode_32 3
		.amdhsa_float_denorm_mode_16_64 3
		.amdhsa_fp16_overflow 0
		.amdhsa_workgroup_processor_mode 1
		.amdhsa_memory_ordered 1
		.amdhsa_forward_progress 1
		.amdhsa_inst_pref_size 17
		.amdhsa_round_robin_scheduling 0
		.amdhsa_exception_fp_ieee_invalid_op 0
		.amdhsa_exception_fp_denorm_src 0
		.amdhsa_exception_fp_ieee_div_zero 0
		.amdhsa_exception_fp_ieee_overflow 0
		.amdhsa_exception_fp_ieee_underflow 0
		.amdhsa_exception_fp_ieee_inexact 0
		.amdhsa_exception_int_div_zero 0
	.end_amdhsa_kernel
	.section	.text._ZN9rocsparseL18bsrxmvn_3x3_kernelILj256ELj32EfliaafEEvT3_20rocsparse_direction_NS_24const_host_device_scalarIT1_EES1_PKS1_PKT2_SA_S7_PKT4_PKT5_S5_PT6_21rocsparse_index_base_b,"axG",@progbits,_ZN9rocsparseL18bsrxmvn_3x3_kernelILj256ELj32EfliaafEEvT3_20rocsparse_direction_NS_24const_host_device_scalarIT1_EES1_PKS1_PKT2_SA_S7_PKT4_PKT5_S5_PT6_21rocsparse_index_base_b,comdat
.Lfunc_end83:
	.size	_ZN9rocsparseL18bsrxmvn_3x3_kernelILj256ELj32EfliaafEEvT3_20rocsparse_direction_NS_24const_host_device_scalarIT1_EES1_PKS1_PKT2_SA_S7_PKT4_PKT5_S5_PT6_21rocsparse_index_base_b, .Lfunc_end83-_ZN9rocsparseL18bsrxmvn_3x3_kernelILj256ELj32EfliaafEEvT3_20rocsparse_direction_NS_24const_host_device_scalarIT1_EES1_PKS1_PKT2_SA_S7_PKT4_PKT5_S5_PT6_21rocsparse_index_base_b
                                        ; -- End function
	.set _ZN9rocsparseL18bsrxmvn_3x3_kernelILj256ELj32EfliaafEEvT3_20rocsparse_direction_NS_24const_host_device_scalarIT1_EES1_PKS1_PKT2_SA_S7_PKT4_PKT5_S5_PT6_21rocsparse_index_base_b.num_vgpr, 29
	.set _ZN9rocsparseL18bsrxmvn_3x3_kernelILj256ELj32EfliaafEEvT3_20rocsparse_direction_NS_24const_host_device_scalarIT1_EES1_PKS1_PKT2_SA_S7_PKT4_PKT5_S5_PT6_21rocsparse_index_base_b.num_agpr, 0
	.set _ZN9rocsparseL18bsrxmvn_3x3_kernelILj256ELj32EfliaafEEvT3_20rocsparse_direction_NS_24const_host_device_scalarIT1_EES1_PKS1_PKT2_SA_S7_PKT4_PKT5_S5_PT6_21rocsparse_index_base_b.numbered_sgpr, 18
	.set _ZN9rocsparseL18bsrxmvn_3x3_kernelILj256ELj32EfliaafEEvT3_20rocsparse_direction_NS_24const_host_device_scalarIT1_EES1_PKS1_PKT2_SA_S7_PKT4_PKT5_S5_PT6_21rocsparse_index_base_b.num_named_barrier, 0
	.set _ZN9rocsparseL18bsrxmvn_3x3_kernelILj256ELj32EfliaafEEvT3_20rocsparse_direction_NS_24const_host_device_scalarIT1_EES1_PKS1_PKT2_SA_S7_PKT4_PKT5_S5_PT6_21rocsparse_index_base_b.private_seg_size, 0
	.set _ZN9rocsparseL18bsrxmvn_3x3_kernelILj256ELj32EfliaafEEvT3_20rocsparse_direction_NS_24const_host_device_scalarIT1_EES1_PKS1_PKT2_SA_S7_PKT4_PKT5_S5_PT6_21rocsparse_index_base_b.uses_vcc, 1
	.set _ZN9rocsparseL18bsrxmvn_3x3_kernelILj256ELj32EfliaafEEvT3_20rocsparse_direction_NS_24const_host_device_scalarIT1_EES1_PKS1_PKT2_SA_S7_PKT4_PKT5_S5_PT6_21rocsparse_index_base_b.uses_flat_scratch, 0
	.set _ZN9rocsparseL18bsrxmvn_3x3_kernelILj256ELj32EfliaafEEvT3_20rocsparse_direction_NS_24const_host_device_scalarIT1_EES1_PKS1_PKT2_SA_S7_PKT4_PKT5_S5_PT6_21rocsparse_index_base_b.has_dyn_sized_stack, 0
	.set _ZN9rocsparseL18bsrxmvn_3x3_kernelILj256ELj32EfliaafEEvT3_20rocsparse_direction_NS_24const_host_device_scalarIT1_EES1_PKS1_PKT2_SA_S7_PKT4_PKT5_S5_PT6_21rocsparse_index_base_b.has_recursion, 0
	.set _ZN9rocsparseL18bsrxmvn_3x3_kernelILj256ELj32EfliaafEEvT3_20rocsparse_direction_NS_24const_host_device_scalarIT1_EES1_PKS1_PKT2_SA_S7_PKT4_PKT5_S5_PT6_21rocsparse_index_base_b.has_indirect_call, 0
	.section	.AMDGPU.csdata,"",@progbits
; Kernel info:
; codeLenInByte = 2140
; TotalNumSgprs: 20
; NumVgprs: 29
; ScratchSize: 0
; MemoryBound: 0
; FloatMode: 240
; IeeeMode: 1
; LDSByteSize: 0 bytes/workgroup (compile time only)
; SGPRBlocks: 0
; VGPRBlocks: 3
; NumSGPRsForWavesPerEU: 20
; NumVGPRsForWavesPerEU: 29
; Occupancy: 16
; WaveLimiterHint : 1
; COMPUTE_PGM_RSRC2:SCRATCH_EN: 0
; COMPUTE_PGM_RSRC2:USER_SGPR: 2
; COMPUTE_PGM_RSRC2:TRAP_HANDLER: 0
; COMPUTE_PGM_RSRC2:TGID_X_EN: 1
; COMPUTE_PGM_RSRC2:TGID_Y_EN: 0
; COMPUTE_PGM_RSRC2:TGID_Z_EN: 0
; COMPUTE_PGM_RSRC2:TIDIG_COMP_CNT: 0
	.section	.text._ZN9rocsparseL18bsrxmvn_3x3_kernelILj256ELj64EfliaafEEvT3_20rocsparse_direction_NS_24const_host_device_scalarIT1_EES1_PKS1_PKT2_SA_S7_PKT4_PKT5_S5_PT6_21rocsparse_index_base_b,"axG",@progbits,_ZN9rocsparseL18bsrxmvn_3x3_kernelILj256ELj64EfliaafEEvT3_20rocsparse_direction_NS_24const_host_device_scalarIT1_EES1_PKS1_PKT2_SA_S7_PKT4_PKT5_S5_PT6_21rocsparse_index_base_b,comdat
	.globl	_ZN9rocsparseL18bsrxmvn_3x3_kernelILj256ELj64EfliaafEEvT3_20rocsparse_direction_NS_24const_host_device_scalarIT1_EES1_PKS1_PKT2_SA_S7_PKT4_PKT5_S5_PT6_21rocsparse_index_base_b ; -- Begin function _ZN9rocsparseL18bsrxmvn_3x3_kernelILj256ELj64EfliaafEEvT3_20rocsparse_direction_NS_24const_host_device_scalarIT1_EES1_PKS1_PKT2_SA_S7_PKT4_PKT5_S5_PT6_21rocsparse_index_base_b
	.p2align	8
	.type	_ZN9rocsparseL18bsrxmvn_3x3_kernelILj256ELj64EfliaafEEvT3_20rocsparse_direction_NS_24const_host_device_scalarIT1_EES1_PKS1_PKT2_SA_S7_PKT4_PKT5_S5_PT6_21rocsparse_index_base_b,@function
_ZN9rocsparseL18bsrxmvn_3x3_kernelILj256ELj64EfliaafEEvT3_20rocsparse_direction_NS_24const_host_device_scalarIT1_EES1_PKS1_PKT2_SA_S7_PKT4_PKT5_S5_PT6_21rocsparse_index_base_b: ; @_ZN9rocsparseL18bsrxmvn_3x3_kernelILj256ELj64EfliaafEEvT3_20rocsparse_direction_NS_24const_host_device_scalarIT1_EES1_PKS1_PKT2_SA_S7_PKT4_PKT5_S5_PT6_21rocsparse_index_base_b
; %bb.0:
	s_clause 0x2
	s_load_b64 s[16:17], s[0:1], 0x58
	s_load_b64 s[14:15], s[0:1], 0x8
	;; [unrolled: 1-line block ×3, first 2 shown]
	s_wait_kmcnt 0x0
	s_bitcmp1_b32 s17, 0
	s_cselect_b32 s2, -1, 0
	s_delay_alu instid0(SALU_CYCLE_1)
	s_and_b32 vcc_lo, exec_lo, s2
	s_xor_b32 s2, s2, -1
	s_cbranch_vccnz .LBB84_2
; %bb.1:
	s_load_b32 s14, s[14:15], 0x0
.LBB84_2:
	s_and_not1_b32 vcc_lo, exec_lo, s2
	s_cbranch_vccnz .LBB84_4
; %bb.3:
	s_load_b32 s12, s[12:13], 0x0
.LBB84_4:
	s_wait_kmcnt 0x0
	s_cmp_neq_f32 s14, 0
	s_mov_b32 s6, 0
	s_cselect_b32 s2, -1, 0
	s_cmp_neq_f32 s12, 1.0
	s_cselect_b32 s3, -1, 0
	s_delay_alu instid0(SALU_CYCLE_1) | instskip(NEXT) | instid1(SALU_CYCLE_1)
	s_or_b32 s2, s2, s3
	s_and_not1_b32 vcc_lo, exec_lo, s2
	s_cbranch_vccnz .LBB84_10
; %bb.5:
	s_clause 0x1
	s_load_b64 s[4:5], s[0:1], 0x18
	s_load_b64 s[2:3], s[0:1], 0x0
	v_lshrrev_b32_e32 v1, 6, v0
	s_delay_alu instid0(VALU_DEP_1)
	v_lshl_or_b32 v1, ttmp9, 2, v1
	s_wait_kmcnt 0x0
	s_cmp_lg_u64 s[4:5], 0
	s_cbranch_scc0 .LBB84_11
; %bb.6:
	s_load_b32 s6, s[0:1], 0x10
	s_mov_b32 s7, 0
                                        ; implicit-def: $vgpr2
	s_wait_kmcnt 0x0
	v_cmp_gt_i32_e32 vcc_lo, s6, v1
	s_mov_b32 s6, 0
	s_and_saveexec_b32 s8, vcc_lo
	s_delay_alu instid0(SALU_CYCLE_1)
	s_xor_b32 s8, exec_lo, s8
	s_cbranch_execz .LBB84_8
; %bb.7:
	v_ashrrev_i32_e32 v2, 31, v1
	s_mov_b32 s6, exec_lo
	s_delay_alu instid0(VALU_DEP_1) | instskip(NEXT) | instid1(VALU_DEP_1)
	v_lshlrev_b64_e32 v[2:3], 2, v[1:2]
	v_add_co_u32 v2, vcc_lo, s4, v2
	s_delay_alu instid0(VALU_DEP_1)
	v_add_co_ci_u32_e64 v3, null, s5, v3, vcc_lo
	global_load_b32 v2, v[2:3], off
	s_wait_loadcnt 0x0
	v_subrev_nc_u32_e32 v2, s16, v2
.LBB84_8:
	s_or_b32 exec_lo, exec_lo, s8
	s_delay_alu instid0(SALU_CYCLE_1)
	s_and_b32 vcc_lo, exec_lo, s7
	s_wait_alu 0xfffe
	s_cbranch_vccz .LBB84_12
.LBB84_9:
	v_cmp_gt_i32_e32 vcc_lo, s2, v1
	s_and_not1_b32 s2, s6, exec_lo
	s_and_b32 s4, vcc_lo, exec_lo
	s_wait_alu 0xfffe
	s_or_b32 s6, s2, s4
	s_wait_alu 0xfffe
	s_and_saveexec_b32 s2, s6
	s_cbranch_execnz .LBB84_13
.LBB84_10:
	s_endpgm
.LBB84_11:
                                        ; implicit-def: $vgpr2
	s_cbranch_execnz .LBB84_9
.LBB84_12:
	v_mov_b32_e32 v1, v2
	s_and_saveexec_b32 s2, s6
	s_cbranch_execz .LBB84_10
.LBB84_13:
	s_load_b256 s[4:11], s[0:1], 0x20
	s_delay_alu instid0(VALU_DEP_1) | instskip(SKIP_2) | instid1(VALU_DEP_3)
	v_ashrrev_i32_e32 v2, 31, v1
	v_and_b32_e32 v0, 63, v0
	v_mov_b32_e32 v14, 0
	v_lshlrev_b64_e32 v[2:3], 3, v[1:2]
	s_wait_kmcnt 0x0
	s_delay_alu instid0(VALU_DEP_1) | instskip(SKIP_1) | instid1(VALU_DEP_2)
	v_add_co_u32 v4, vcc_lo, s4, v2
	s_wait_alu 0xfffd
	v_add_co_ci_u32_e64 v5, null, s5, v3, vcc_lo
	v_add_co_u32 v2, vcc_lo, s6, v2
	s_wait_alu 0xfffd
	v_add_co_ci_u32_e64 v3, null, s7, v3, vcc_lo
	global_load_b64 v[6:7], v[4:5], off
	v_add_co_u32 v4, vcc_lo, v4, 8
	s_wait_alu 0xfffd
	v_add_co_ci_u32_e64 v5, null, 0, v5, vcc_lo
	s_cmp_eq_u64 s[6:7], 0
	s_load_b64 s[4:5], s[0:1], 0x40
	s_cselect_b32 vcc_lo, -1, 0
	s_cmp_eq_u32 s3, 1
	s_wait_alu 0xfffe
	v_dual_cndmask_b32 v3, v3, v5 :: v_dual_cndmask_b32 v2, v2, v4
	global_load_b64 v[8:9], v[2:3], off
	s_wait_loadcnt 0x1
	v_sub_co_u32 v2, vcc_lo, v6, s16
	s_wait_alu 0xfffd
	v_subrev_co_ci_u32_e64 v3, null, 0, v7, vcc_lo
	s_delay_alu instid0(VALU_DEP_2) | instskip(SKIP_1) | instid1(VALU_DEP_2)
	v_add_co_u32 v2, vcc_lo, v2, v0
	s_wait_alu 0xfffd
	v_add_co_ci_u32_e64 v3, null, 0, v3, vcc_lo
	s_delay_alu instid0(VALU_DEP_2) | instskip(NEXT) | instid1(VALU_DEP_1)
	v_mad_co_u64_u32 v[4:5], null, v2, 9, s[10:11]
	v_mad_co_u64_u32 v[5:6], null, v3, 9, v[5:6]
	s_wait_loadcnt 0x0
	v_sub_co_u32 v6, vcc_lo, v8, s16
	s_wait_alu 0xfffd
	v_subrev_co_ci_u32_e64 v7, null, 0, v9, vcc_lo
	s_delay_alu instid0(VALU_DEP_1)
	v_cmp_lt_i64_e64 s2, v[2:3], v[6:7]
	s_cbranch_scc1 .LBB84_19
; %bb.14:
	v_dual_mov_b32 v15, 0 :: v_dual_mov_b32 v16, 0
	s_and_saveexec_b32 s6, s2
	s_cbranch_execz .LBB84_18
; %bb.15:
	v_lshlrev_b64_e32 v[10:11], 2, v[2:3]
	v_dual_mov_b32 v14, 0 :: v_dual_mov_b32 v9, v5
	v_dual_mov_b32 v8, v4 :: v_dual_mov_b32 v13, v3
	;; [unrolled: 1-line block ×3, first 2 shown]
	s_delay_alu instid0(VALU_DEP_4)
	v_add_co_u32 v10, vcc_lo, s8, v10
	s_wait_alu 0xfffd
	v_add_co_ci_u32_e64 v11, null, s9, v11, vcc_lo
	v_mov_b32_e32 v16, 0
	s_mov_b32 s7, 0
.LBB84_16:                              ; =>This Inner Loop Header: Depth=1
	global_load_b32 v19, v[10:11], off
	global_load_b64 v[17:18], v[8:9], off
	s_wait_loadcnt 0x1
	v_subrev_nc_u32_e32 v19, s16, v19
	s_wait_loadcnt 0x0
	v_bfe_i32 v22, v17, 0, 8
	v_bfe_i32 v23, v17, 8, 8
	;; [unrolled: 1-line block ×3, first 2 shown]
	v_ashrrev_i32_e32 v17, 24, v17
	v_lshl_add_u32 v19, v19, 1, v19
	v_bfe_i32 v25, v18, 0, 8
	v_bfe_i32 v27, v18, 16, 8
	;; [unrolled: 1-line block ×3, first 2 shown]
	v_cvt_f32_i32_e32 v17, v17
	v_ashrrev_i32_e32 v20, 31, v19
	s_wait_kmcnt 0x0
	v_add_co_u32 v19, vcc_lo, s4, v19
	v_ashrrev_i32_e32 v18, 24, v18
	v_cvt_f32_i32_e32 v22, v22
	s_wait_alu 0xfffd
	v_add_co_ci_u32_e64 v20, null, s5, v20, vcc_lo
	v_cvt_f32_i32_e32 v23, v23
	v_cvt_f32_i32_e32 v25, v25
	;; [unrolled: 1-line block ×3, first 2 shown]
	s_clause 0x1
	global_load_i8 v21, v[19:20], off offset:2
	global_load_u16 v19, v[19:20], off
	global_load_i8 v20, v[8:9], off offset:8
	v_add_co_u32 v12, vcc_lo, v12, 64
	v_cvt_f32_i32_e32 v18, v18
	s_wait_alu 0xfffd
	v_add_co_ci_u32_e64 v13, null, 0, v13, vcc_lo
	v_cvt_f32_i32_e32 v24, v24
	v_add_co_u32 v8, vcc_lo, 0x240, v8
	s_delay_alu instid0(VALU_DEP_3)
	v_cmp_ge_i64_e64 s3, v[12:13], v[6:7]
	s_wait_alu 0xfffd
	v_add_co_ci_u32_e64 v9, null, 0, v9, vcc_lo
	v_add_co_u32 v10, vcc_lo, 0x100, v10
	s_wait_alu 0xfffd
	v_add_co_ci_u32_e64 v11, null, 0, v11, vcc_lo
	s_wait_alu 0xfffe
	s_or_b32 s7, s3, s7
	s_wait_loadcnt 0x2
	v_cvt_f32_i32_e32 v21, v21
	s_wait_loadcnt 0x1
	v_bfe_i32 v28, v19, 0, 8
	v_bfe_i32 v19, v19, 8, 8
	s_wait_loadcnt 0x0
	v_cvt_f32_i32_e32 v20, v20
	s_delay_alu instid0(VALU_DEP_3) | instskip(NEXT) | instid1(VALU_DEP_3)
	v_bfe_i32 v28, v28, 0, 16
	v_cvt_f32_i32_e32 v19, v19
	s_delay_alu instid0(VALU_DEP_2) | instskip(NEXT) | instid1(VALU_DEP_1)
	v_cvt_f32_i32_e32 v28, v28
	v_fmac_f32_e32 v15, v17, v28
	v_fmac_f32_e32 v16, v22, v28
	v_cvt_f32_i32_e32 v17, v26
	s_delay_alu instid0(VALU_DEP_3) | instskip(NEXT) | instid1(VALU_DEP_1)
	v_dual_fmac_f32 v15, v25, v19 :: v_dual_fmac_f32 v14, v27, v28
	v_dual_fmac_f32 v16, v23, v19 :: v_dual_fmac_f32 v15, v17, v21
	s_delay_alu instid0(VALU_DEP_2) | instskip(NEXT) | instid1(VALU_DEP_2)
	v_fmac_f32_e32 v14, v18, v19
	v_fmac_f32_e32 v16, v24, v21
	s_delay_alu instid0(VALU_DEP_2)
	v_fmac_f32_e32 v14, v20, v21
	s_wait_alu 0xfffe
	s_and_not1_b32 exec_lo, exec_lo, s7
	s_cbranch_execnz .LBB84_16
; %bb.17:
	s_or_b32 exec_lo, exec_lo, s7
.LBB84_18:
	s_wait_alu 0xfffe
	s_or_b32 exec_lo, exec_lo, s6
	s_cbranch_execz .LBB84_20
	s_branch .LBB84_25
.LBB84_19:
                                        ; implicit-def: $vgpr14
                                        ; implicit-def: $vgpr15
                                        ; implicit-def: $vgpr16
.LBB84_20:
	v_dual_mov_b32 v14, 0 :: v_dual_mov_b32 v15, 0
	v_mov_b32_e32 v16, 0
	s_and_saveexec_b32 s3, s2
	s_cbranch_execz .LBB84_24
; %bb.21:
	v_lshlrev_b64_e32 v[8:9], 2, v[2:3]
	v_dual_mov_b32 v14, 0 :: v_dual_mov_b32 v15, 0
	v_mov_b32_e32 v16, 0
	s_mov_b32 s6, 0
	s_delay_alu instid0(VALU_DEP_3)
	v_add_co_u32 v8, vcc_lo, s8, v8
	s_wait_alu 0xfffd
	v_add_co_ci_u32_e64 v9, null, s9, v9, vcc_lo
.LBB84_22:                              ; =>This Inner Loop Header: Depth=1
	global_load_b32 v12, v[8:9], off
	global_load_b64 v[10:11], v[4:5], off
	s_wait_loadcnt 0x1
	v_subrev_nc_u32_e32 v12, s16, v12
	s_wait_loadcnt 0x0
	v_bfe_i32 v20, v10, 16, 8
	v_bfe_i32 v19, v10, 8, 8
	;; [unrolled: 1-line block ×4, first 2 shown]
	v_lshl_add_u32 v12, v12, 1, v12
	v_cvt_f32_i32_e32 v20, v20
	v_bfe_i32 v21, v11, 0, 8
	v_cvt_f32_i32_e32 v19, v19
	v_cvt_f32_i32_e32 v22, v22
	v_ashrrev_i32_e32 v13, 31, v12
	s_wait_kmcnt 0x0
	v_add_co_u32 v12, vcc_lo, s4, v12
	v_ashrrev_i32_e32 v10, 24, v10
	v_bfe_i32 v23, v11, 16, 8
	s_wait_alu 0xfffd
	v_add_co_ci_u32_e64 v13, null, s5, v13, vcc_lo
	v_ashrrev_i32_e32 v11, 24, v11
	v_cvt_f32_i32_e32 v18, v18
	v_cvt_f32_i32_e32 v21, v21
	s_clause 0x1
	global_load_i8 v17, v[12:13], off offset:2
	global_load_u16 v12, v[12:13], off
	global_load_i8 v13, v[4:5], off offset:8
	v_add_co_u32 v2, vcc_lo, v2, 64
	v_cvt_f32_i32_e32 v10, v10
	v_cvt_f32_i32_e32 v23, v23
	;; [unrolled: 1-line block ×3, first 2 shown]
	s_wait_alu 0xfffd
	v_add_co_ci_u32_e64 v3, null, 0, v3, vcc_lo
	v_add_co_u32 v4, vcc_lo, 0x240, v4
	s_wait_alu 0xfffd
	v_add_co_ci_u32_e64 v5, null, 0, v5, vcc_lo
	s_delay_alu instid0(VALU_DEP_3) | instskip(SKIP_4) | instid1(VALU_DEP_3)
	v_cmp_ge_i64_e64 s2, v[2:3], v[6:7]
	v_add_co_u32 v8, vcc_lo, 0x100, v8
	s_wait_alu 0xfffd
	v_add_co_ci_u32_e64 v9, null, 0, v9, vcc_lo
	s_wait_alu 0xfffe
	s_or_b32 s6, s2, s6
	s_wait_loadcnt 0x2
	v_cvt_f32_i32_e32 v17, v17
	s_wait_loadcnt 0x1
	v_bfe_i32 v24, v12, 0, 8
	v_bfe_i32 v12, v12, 8, 8
	s_wait_loadcnt 0x0
	v_cvt_f32_i32_e32 v13, v13
	s_delay_alu instid0(VALU_DEP_3) | instskip(NEXT) | instid1(VALU_DEP_3)
	v_bfe_i32 v24, v24, 0, 16
	v_cvt_f32_i32_e32 v12, v12
	s_delay_alu instid0(VALU_DEP_2) | instskip(NEXT) | instid1(VALU_DEP_1)
	v_cvt_f32_i32_e32 v24, v24
	v_fmac_f32_e32 v14, v20, v24
	s_delay_alu instid0(VALU_DEP_1) | instskip(NEXT) | instid1(VALU_DEP_1)
	v_fmac_f32_e32 v14, v22, v12
	v_dual_fmac_f32 v15, v19, v24 :: v_dual_fmac_f32 v14, v13, v17
	s_delay_alu instid0(VALU_DEP_1) | instskip(NEXT) | instid1(VALU_DEP_1)
	v_fmac_f32_e32 v15, v21, v12
	v_dual_fmac_f32 v16, v18, v24 :: v_dual_fmac_f32 v15, v11, v17
	s_delay_alu instid0(VALU_DEP_1) | instskip(NEXT) | instid1(VALU_DEP_1)
	v_fmac_f32_e32 v16, v10, v12
	v_fmac_f32_e32 v16, v23, v17
	s_wait_alu 0xfffe
	s_and_not1_b32 exec_lo, exec_lo, s6
	s_cbranch_execnz .LBB84_22
; %bb.23:
	s_or_b32 exec_lo, exec_lo, s6
.LBB84_24:
	s_wait_alu 0xfffe
	s_or_b32 exec_lo, exec_lo, s3
.LBB84_25:
	v_mbcnt_lo_u32_b32 v2, -1, 0
	s_mov_b32 s2, -1
	s_delay_alu instid0(VALU_DEP_1) | instskip(SKIP_2) | instid1(VALU_DEP_3)
	v_or_b32_e32 v3, 32, v2
	v_xor_b32_e32 v6, 16, v2
	v_xor_b32_e32 v9, 8, v2
	v_cmp_gt_i32_e32 vcc_lo, 32, v3
	s_wait_alu 0xfffd
	v_cndmask_b32_e32 v3, v2, v3, vcc_lo
	v_cmp_gt_i32_e32 vcc_lo, 32, v6
	s_wait_alu 0xfffd
	v_cndmask_b32_e32 v6, v2, v6, vcc_lo
	v_cmp_gt_i32_e32 vcc_lo, 32, v9
	s_delay_alu instid0(VALU_DEP_2)
	v_lshlrev_b32_e32 v6, 2, v6
	v_lshlrev_b32_e32 v3, 2, v3
	ds_bpermute_b32 v4, v3, v16
	s_wait_dscnt 0x0
	v_add_f32_e32 v4, v16, v4
	ds_bpermute_b32 v5, v3, v15
	ds_bpermute_b32 v3, v3, v14
	;; [unrolled: 1-line block ×3, first 2 shown]
	s_wait_alu 0xfffd
	v_cndmask_b32_e32 v9, v2, v9, vcc_lo
	s_wait_dscnt 0x0
	v_dual_add_f32 v5, v15, v5 :: v_dual_add_f32 v4, v4, v7
	v_add_f32_e32 v3, v14, v3
	ds_bpermute_b32 v8, v6, v5
	v_lshlrev_b32_e32 v9, 2, v9
	ds_bpermute_b32 v6, v6, v3
	s_wait_dscnt 0x1
	v_add_f32_e32 v5, v5, v8
	s_wait_dscnt 0x0
	v_add_f32_e32 v3, v3, v6
	ds_bpermute_b32 v6, v9, v4
	ds_bpermute_b32 v7, v9, v5
	ds_bpermute_b32 v8, v9, v3
	v_xor_b32_e32 v9, 4, v2
	s_delay_alu instid0(VALU_DEP_1)
	v_cmp_gt_i32_e32 vcc_lo, 32, v9
	s_wait_dscnt 0x1
	v_dual_add_f32 v4, v4, v6 :: v_dual_add_f32 v5, v5, v7
	s_wait_dscnt 0x0
	v_add_f32_e32 v3, v3, v8
	s_wait_alu 0xfffd
	v_cndmask_b32_e32 v9, v2, v9, vcc_lo
	s_delay_alu instid0(VALU_DEP_1) | instskip(SKIP_4) | instid1(VALU_DEP_1)
	v_lshlrev_b32_e32 v9, 2, v9
	ds_bpermute_b32 v6, v9, v4
	ds_bpermute_b32 v7, v9, v5
	;; [unrolled: 1-line block ×3, first 2 shown]
	v_xor_b32_e32 v9, 2, v2
	v_cmp_gt_i32_e32 vcc_lo, 32, v9
	s_wait_alu 0xfffd
	v_cndmask_b32_e32 v9, v2, v9, vcc_lo
	s_wait_dscnt 0x2
	s_delay_alu instid0(VALU_DEP_1)
	v_dual_add_f32 v4, v4, v6 :: v_dual_lshlrev_b32 v9, 2, v9
	s_wait_dscnt 0x0
	v_dual_add_f32 v5, v5, v7 :: v_dual_add_f32 v6, v3, v8
	ds_bpermute_b32 v3, v9, v4
	ds_bpermute_b32 v7, v9, v5
	;; [unrolled: 1-line block ×3, first 2 shown]
	v_xor_b32_e32 v9, 1, v2
	s_delay_alu instid0(VALU_DEP_1) | instskip(SKIP_4) | instid1(VALU_DEP_2)
	v_cmp_gt_i32_e32 vcc_lo, 32, v9
	s_wait_alu 0xfffd
	v_cndmask_b32_e32 v2, v2, v9, vcc_lo
	v_cmp_eq_u32_e32 vcc_lo, 63, v0
	s_wait_dscnt 0x2
	v_dual_add_f32 v2, v4, v3 :: v_dual_lshlrev_b32 v9, 2, v2
	s_wait_dscnt 0x0
	v_dual_add_f32 v3, v5, v7 :: v_dual_add_f32 v4, v6, v8
	ds_bpermute_b32 v5, v9, v2
	ds_bpermute_b32 v6, v9, v3
	;; [unrolled: 1-line block ×3, first 2 shown]
	s_and_b32 exec_lo, exec_lo, vcc_lo
	s_cbranch_execz .LBB84_10
; %bb.26:
	s_load_b64 s[0:1], s[0:1], 0x50
	s_wait_dscnt 0x2
	v_add_f32_e32 v0, v2, v5
	s_wait_dscnt 0x1
	v_add_f32_e32 v2, v3, v6
	;; [unrolled: 2-line block ×3, first 2 shown]
	v_lshl_add_u32 v3, v1, 1, v1
	s_cmp_eq_f32 s12, 0
	v_dual_mul_f32 v1, s14, v2 :: v_dual_mul_f32 v0, s14, v0
	s_delay_alu instid0(VALU_DEP_3) | instskip(NEXT) | instid1(VALU_DEP_3)
	v_mul_f32_e32 v2, s14, v4
	v_ashrrev_i32_e32 v4, 31, v3
	s_cbranch_scc0 .LBB84_28
; %bb.27:
	s_delay_alu instid0(VALU_DEP_1) | instskip(SKIP_2) | instid1(VALU_DEP_1)
	v_lshlrev_b64_e32 v[5:6], 2, v[3:4]
	s_mov_b32 s2, 0
	s_wait_kmcnt 0x0
	v_add_co_u32 v5, vcc_lo, s0, v5
	s_wait_alu 0xfffd
	s_delay_alu instid0(VALU_DEP_2)
	v_add_co_ci_u32_e64 v6, null, s1, v6, vcc_lo
	global_store_b96 v[5:6], v[0:2], off
.LBB84_28:
	s_wait_alu 0xfffe
	s_and_not1_b32 vcc_lo, exec_lo, s2
	s_wait_alu 0xfffe
	s_cbranch_vccnz .LBB84_10
; %bb.29:
	v_lshlrev_b64_e32 v[3:4], 2, v[3:4]
	s_wait_kmcnt 0x0
	s_delay_alu instid0(VALU_DEP_1) | instskip(SKIP_1) | instid1(VALU_DEP_2)
	v_add_co_u32 v6, vcc_lo, s0, v3
	s_wait_alu 0xfffd
	v_add_co_ci_u32_e64 v7, null, s1, v4, vcc_lo
	global_load_b96 v[3:5], v[6:7], off
	s_wait_loadcnt 0x0
	v_dual_fmac_f32 v0, s12, v3 :: v_dual_fmac_f32 v1, s12, v4
	v_fmac_f32_e32 v2, s12, v5
	global_store_b96 v[6:7], v[0:2], off
	s_endpgm
	.section	.rodata,"a",@progbits
	.p2align	6, 0x0
	.amdhsa_kernel _ZN9rocsparseL18bsrxmvn_3x3_kernelILj256ELj64EfliaafEEvT3_20rocsparse_direction_NS_24const_host_device_scalarIT1_EES1_PKS1_PKT2_SA_S7_PKT4_PKT5_S5_PT6_21rocsparse_index_base_b
		.amdhsa_group_segment_fixed_size 0
		.amdhsa_private_segment_fixed_size 0
		.amdhsa_kernarg_size 96
		.amdhsa_user_sgpr_count 2
		.amdhsa_user_sgpr_dispatch_ptr 0
		.amdhsa_user_sgpr_queue_ptr 0
		.amdhsa_user_sgpr_kernarg_segment_ptr 1
		.amdhsa_user_sgpr_dispatch_id 0
		.amdhsa_user_sgpr_private_segment_size 0
		.amdhsa_wavefront_size32 1
		.amdhsa_uses_dynamic_stack 0
		.amdhsa_enable_private_segment 0
		.amdhsa_system_sgpr_workgroup_id_x 1
		.amdhsa_system_sgpr_workgroup_id_y 0
		.amdhsa_system_sgpr_workgroup_id_z 0
		.amdhsa_system_sgpr_workgroup_info 0
		.amdhsa_system_vgpr_workitem_id 0
		.amdhsa_next_free_vgpr 29
		.amdhsa_next_free_sgpr 18
		.amdhsa_reserve_vcc 1
		.amdhsa_float_round_mode_32 0
		.amdhsa_float_round_mode_16_64 0
		.amdhsa_float_denorm_mode_32 3
		.amdhsa_float_denorm_mode_16_64 3
		.amdhsa_fp16_overflow 0
		.amdhsa_workgroup_processor_mode 1
		.amdhsa_memory_ordered 1
		.amdhsa_forward_progress 1
		.amdhsa_inst_pref_size 18
		.amdhsa_round_robin_scheduling 0
		.amdhsa_exception_fp_ieee_invalid_op 0
		.amdhsa_exception_fp_denorm_src 0
		.amdhsa_exception_fp_ieee_div_zero 0
		.amdhsa_exception_fp_ieee_overflow 0
		.amdhsa_exception_fp_ieee_underflow 0
		.amdhsa_exception_fp_ieee_inexact 0
		.amdhsa_exception_int_div_zero 0
	.end_amdhsa_kernel
	.section	.text._ZN9rocsparseL18bsrxmvn_3x3_kernelILj256ELj64EfliaafEEvT3_20rocsparse_direction_NS_24const_host_device_scalarIT1_EES1_PKS1_PKT2_SA_S7_PKT4_PKT5_S5_PT6_21rocsparse_index_base_b,"axG",@progbits,_ZN9rocsparseL18bsrxmvn_3x3_kernelILj256ELj64EfliaafEEvT3_20rocsparse_direction_NS_24const_host_device_scalarIT1_EES1_PKS1_PKT2_SA_S7_PKT4_PKT5_S5_PT6_21rocsparse_index_base_b,comdat
.Lfunc_end84:
	.size	_ZN9rocsparseL18bsrxmvn_3x3_kernelILj256ELj64EfliaafEEvT3_20rocsparse_direction_NS_24const_host_device_scalarIT1_EES1_PKS1_PKT2_SA_S7_PKT4_PKT5_S5_PT6_21rocsparse_index_base_b, .Lfunc_end84-_ZN9rocsparseL18bsrxmvn_3x3_kernelILj256ELj64EfliaafEEvT3_20rocsparse_direction_NS_24const_host_device_scalarIT1_EES1_PKS1_PKT2_SA_S7_PKT4_PKT5_S5_PT6_21rocsparse_index_base_b
                                        ; -- End function
	.set _ZN9rocsparseL18bsrxmvn_3x3_kernelILj256ELj64EfliaafEEvT3_20rocsparse_direction_NS_24const_host_device_scalarIT1_EES1_PKS1_PKT2_SA_S7_PKT4_PKT5_S5_PT6_21rocsparse_index_base_b.num_vgpr, 29
	.set _ZN9rocsparseL18bsrxmvn_3x3_kernelILj256ELj64EfliaafEEvT3_20rocsparse_direction_NS_24const_host_device_scalarIT1_EES1_PKS1_PKT2_SA_S7_PKT4_PKT5_S5_PT6_21rocsparse_index_base_b.num_agpr, 0
	.set _ZN9rocsparseL18bsrxmvn_3x3_kernelILj256ELj64EfliaafEEvT3_20rocsparse_direction_NS_24const_host_device_scalarIT1_EES1_PKS1_PKT2_SA_S7_PKT4_PKT5_S5_PT6_21rocsparse_index_base_b.numbered_sgpr, 18
	.set _ZN9rocsparseL18bsrxmvn_3x3_kernelILj256ELj64EfliaafEEvT3_20rocsparse_direction_NS_24const_host_device_scalarIT1_EES1_PKS1_PKT2_SA_S7_PKT4_PKT5_S5_PT6_21rocsparse_index_base_b.num_named_barrier, 0
	.set _ZN9rocsparseL18bsrxmvn_3x3_kernelILj256ELj64EfliaafEEvT3_20rocsparse_direction_NS_24const_host_device_scalarIT1_EES1_PKS1_PKT2_SA_S7_PKT4_PKT5_S5_PT6_21rocsparse_index_base_b.private_seg_size, 0
	.set _ZN9rocsparseL18bsrxmvn_3x3_kernelILj256ELj64EfliaafEEvT3_20rocsparse_direction_NS_24const_host_device_scalarIT1_EES1_PKS1_PKT2_SA_S7_PKT4_PKT5_S5_PT6_21rocsparse_index_base_b.uses_vcc, 1
	.set _ZN9rocsparseL18bsrxmvn_3x3_kernelILj256ELj64EfliaafEEvT3_20rocsparse_direction_NS_24const_host_device_scalarIT1_EES1_PKS1_PKT2_SA_S7_PKT4_PKT5_S5_PT6_21rocsparse_index_base_b.uses_flat_scratch, 0
	.set _ZN9rocsparseL18bsrxmvn_3x3_kernelILj256ELj64EfliaafEEvT3_20rocsparse_direction_NS_24const_host_device_scalarIT1_EES1_PKS1_PKT2_SA_S7_PKT4_PKT5_S5_PT6_21rocsparse_index_base_b.has_dyn_sized_stack, 0
	.set _ZN9rocsparseL18bsrxmvn_3x3_kernelILj256ELj64EfliaafEEvT3_20rocsparse_direction_NS_24const_host_device_scalarIT1_EES1_PKS1_PKT2_SA_S7_PKT4_PKT5_S5_PT6_21rocsparse_index_base_b.has_recursion, 0
	.set _ZN9rocsparseL18bsrxmvn_3x3_kernelILj256ELj64EfliaafEEvT3_20rocsparse_direction_NS_24const_host_device_scalarIT1_EES1_PKS1_PKT2_SA_S7_PKT4_PKT5_S5_PT6_21rocsparse_index_base_b.has_indirect_call, 0
	.section	.AMDGPU.csdata,"",@progbits
; Kernel info:
; codeLenInByte = 2208
; TotalNumSgprs: 20
; NumVgprs: 29
; ScratchSize: 0
; MemoryBound: 0
; FloatMode: 240
; IeeeMode: 1
; LDSByteSize: 0 bytes/workgroup (compile time only)
; SGPRBlocks: 0
; VGPRBlocks: 3
; NumSGPRsForWavesPerEU: 20
; NumVGPRsForWavesPerEU: 29
; Occupancy: 16
; WaveLimiterHint : 1
; COMPUTE_PGM_RSRC2:SCRATCH_EN: 0
; COMPUTE_PGM_RSRC2:USER_SGPR: 2
; COMPUTE_PGM_RSRC2:TRAP_HANDLER: 0
; COMPUTE_PGM_RSRC2:TGID_X_EN: 1
; COMPUTE_PGM_RSRC2:TGID_Y_EN: 0
; COMPUTE_PGM_RSRC2:TGID_Z_EN: 0
; COMPUTE_PGM_RSRC2:TIDIG_COMP_CNT: 0
	.section	.text._ZN9rocsparseL18bsrxmvn_3x3_kernelILj256ELj4EfllaafEEvT3_20rocsparse_direction_NS_24const_host_device_scalarIT1_EES1_PKS1_PKT2_SA_S7_PKT4_PKT5_S5_PT6_21rocsparse_index_base_b,"axG",@progbits,_ZN9rocsparseL18bsrxmvn_3x3_kernelILj256ELj4EfllaafEEvT3_20rocsparse_direction_NS_24const_host_device_scalarIT1_EES1_PKS1_PKT2_SA_S7_PKT4_PKT5_S5_PT6_21rocsparse_index_base_b,comdat
	.globl	_ZN9rocsparseL18bsrxmvn_3x3_kernelILj256ELj4EfllaafEEvT3_20rocsparse_direction_NS_24const_host_device_scalarIT1_EES1_PKS1_PKT2_SA_S7_PKT4_PKT5_S5_PT6_21rocsparse_index_base_b ; -- Begin function _ZN9rocsparseL18bsrxmvn_3x3_kernelILj256ELj4EfllaafEEvT3_20rocsparse_direction_NS_24const_host_device_scalarIT1_EES1_PKS1_PKT2_SA_S7_PKT4_PKT5_S5_PT6_21rocsparse_index_base_b
	.p2align	8
	.type	_ZN9rocsparseL18bsrxmvn_3x3_kernelILj256ELj4EfllaafEEvT3_20rocsparse_direction_NS_24const_host_device_scalarIT1_EES1_PKS1_PKT2_SA_S7_PKT4_PKT5_S5_PT6_21rocsparse_index_base_b,@function
_ZN9rocsparseL18bsrxmvn_3x3_kernelILj256ELj4EfllaafEEvT3_20rocsparse_direction_NS_24const_host_device_scalarIT1_EES1_PKS1_PKT2_SA_S7_PKT4_PKT5_S5_PT6_21rocsparse_index_base_b: ; @_ZN9rocsparseL18bsrxmvn_3x3_kernelILj256ELj4EfllaafEEvT3_20rocsparse_direction_NS_24const_host_device_scalarIT1_EES1_PKS1_PKT2_SA_S7_PKT4_PKT5_S5_PT6_21rocsparse_index_base_b
; %bb.0:
	s_clause 0x2
	s_load_b64 s[2:3], s[0:1], 0x60
	s_load_b128 s[12:15], s[0:1], 0x10
	s_load_b64 s[16:17], s[0:1], 0x50
	s_wait_kmcnt 0x0
	s_bitcmp1_b32 s3, 0
	s_cselect_b32 s3, -1, 0
	s_delay_alu instid0(SALU_CYCLE_1)
	s_and_b32 vcc_lo, exec_lo, s3
	s_xor_b32 s3, s3, -1
	s_cbranch_vccnz .LBB85_2
; %bb.1:
	s_load_b32 s12, s[12:13], 0x0
.LBB85_2:
	s_and_not1_b32 vcc_lo, exec_lo, s3
	s_cbranch_vccnz .LBB85_4
; %bb.3:
	s_load_b32 s16, s[16:17], 0x0
.LBB85_4:
	s_wait_kmcnt 0x0
	s_cmp_neq_f32 s12, 0
	s_mov_b32 s6, 0
	s_cselect_b32 s3, -1, 0
	s_cmp_neq_f32 s16, 1.0
	s_cselect_b32 s4, -1, 0
	s_delay_alu instid0(SALU_CYCLE_1) | instskip(NEXT) | instid1(SALU_CYCLE_1)
	s_or_b32 s3, s3, s4
	s_and_not1_b32 vcc_lo, exec_lo, s3
	s_cbranch_vccnz .LBB85_10
; %bb.5:
	s_load_b64 s[4:5], s[0:1], 0x20
	v_lshrrev_b32_e32 v1, 2, v0
	v_mov_b32_e32 v6, 0
	s_delay_alu instid0(VALU_DEP_2)
	v_lshl_or_b32 v5, ttmp9, 6, v1
	s_wait_kmcnt 0x0
	s_cmp_lg_u64 s[4:5], 0
	s_cbranch_scc0 .LBB85_11
; %bb.6:
	s_mov_b32 s7, 0
                                        ; implicit-def: $vgpr3_vgpr4
                                        ; implicit-def: $vgpr1_vgpr2
	s_mov_b32 s3, exec_lo
	v_cmpx_gt_i64_e64 s[14:15], v[5:6]
	s_xor_b32 s8, exec_lo, s3
	s_cbranch_execz .LBB85_8
; %bb.7:
	v_lshlrev_b64_e32 v[1:2], 3, v[5:6]
	s_mov_b32 s3, 0
	s_mov_b32 s6, exec_lo
	s_delay_alu instid0(VALU_DEP_1) | instskip(NEXT) | instid1(VALU_DEP_1)
	v_add_co_u32 v1, vcc_lo, s4, v1
	v_add_co_ci_u32_e64 v2, null, s5, v2, vcc_lo
	global_load_b64 v[1:2], v[1:2], off
	s_wait_loadcnt 0x0
	v_sub_co_u32 v3, vcc_lo, v1, s2
	s_wait_alu 0xfffd
	v_subrev_co_ci_u32_e64 v4, null, 0, v2, vcc_lo
	v_dual_mov_b32 v1, s2 :: v_dual_mov_b32 v2, s3
.LBB85_8:
	s_or_b32 exec_lo, exec_lo, s8
	s_delay_alu instid0(SALU_CYCLE_1)
	s_and_b32 vcc_lo, exec_lo, s7
	s_wait_alu 0xfffe
	s_cbranch_vccnz .LBB85_12
.LBB85_9:
	s_and_saveexec_b32 s2, s6
	s_cbranch_execnz .LBB85_15
.LBB85_10:
	s_endpgm
.LBB85_11:
                                        ; implicit-def: $vgpr3_vgpr4
                                        ; implicit-def: $vgpr1_vgpr2
	s_cbranch_execz .LBB85_9
.LBB85_12:
	s_load_b64 s[4:5], s[0:1], 0x0
	s_wait_kmcnt 0x0
	v_cmp_gt_i64_e32 vcc_lo, s[4:5], v[5:6]
	s_and_saveexec_b32 s4, vcc_lo
; %bb.13:
	s_mov_b32 s3, 0
	s_or_b32 s6, s6, exec_lo
; %bb.14:
	s_wait_alu 0xfffe
	s_or_b32 exec_lo, exec_lo, s4
	v_dual_mov_b32 v1, s2 :: v_dual_mov_b32 v2, s3
	v_dual_mov_b32 v3, v5 :: v_dual_mov_b32 v4, v6
	s_and_saveexec_b32 s2, s6
	s_cbranch_execz .LBB85_10
.LBB85_15:
	s_load_b256 s[4:11], s[0:1], 0x28
	s_delay_alu instid0(VALU_DEP_1) | instskip(SKIP_2) | instid1(VALU_DEP_2)
	v_lshlrev_b64_e32 v[5:6], 3, v[3:4]
	v_dual_mov_b32 v17, 0 :: v_dual_and_b32 v0, 3, v0
	s_wait_kmcnt 0x0
	v_add_co_u32 v7, vcc_lo, s4, v5
	s_wait_alu 0xfffd
	s_delay_alu instid0(VALU_DEP_3)
	v_add_co_ci_u32_e64 v8, null, s5, v6, vcc_lo
	v_add_co_u32 v5, vcc_lo, s6, v5
	s_wait_alu 0xfffd
	v_add_co_ci_u32_e64 v6, null, s7, v6, vcc_lo
	global_load_b64 v[9:10], v[7:8], off
	v_add_co_u32 v7, vcc_lo, v7, 8
	s_wait_alu 0xfffd
	v_add_co_ci_u32_e64 v8, null, 0, v8, vcc_lo
	s_cmp_eq_u64 s[6:7], 0
	s_cselect_b32 vcc_lo, -1, 0
	s_wait_alu 0xfffe
	v_dual_cndmask_b32 v6, v6, v8 :: v_dual_cndmask_b32 v5, v5, v7
	global_load_b64 v[11:12], v[5:6], off
	s_clause 0x1
	s_load_b32 s3, s[0:1], 0x8
	s_load_b64 s[4:5], s[0:1], 0x48
	s_wait_kmcnt 0x0
	s_cmp_eq_u32 s3, 1
	s_wait_loadcnt 0x1
	v_sub_co_u32 v5, vcc_lo, v9, v1
	s_wait_alu 0xfffd
	v_sub_co_ci_u32_e64 v6, null, v10, v2, vcc_lo
	s_delay_alu instid0(VALU_DEP_2) | instskip(SKIP_1) | instid1(VALU_DEP_2)
	v_add_co_u32 v5, vcc_lo, v5, v0
	s_wait_alu 0xfffd
	v_add_co_ci_u32_e64 v6, null, 0, v6, vcc_lo
	s_delay_alu instid0(VALU_DEP_2) | instskip(NEXT) | instid1(VALU_DEP_1)
	v_mad_co_u64_u32 v[7:8], null, v5, 9, s[10:11]
	v_mad_co_u64_u32 v[8:9], null, v6, 9, v[8:9]
	s_wait_loadcnt 0x0
	v_sub_co_u32 v9, vcc_lo, v11, v1
	s_wait_alu 0xfffd
	v_sub_co_ci_u32_e64 v10, null, v12, v2, vcc_lo
	s_delay_alu instid0(VALU_DEP_1)
	v_cmp_lt_i64_e64 s2, v[5:6], v[9:10]
	s_cbranch_scc1 .LBB85_21
; %bb.16:
	v_dual_mov_b32 v18, 0 :: v_dual_mov_b32 v19, 0
	s_and_saveexec_b32 s6, s2
	s_cbranch_execz .LBB85_20
; %bb.17:
	v_lshlrev_b64_e32 v[13:14], 3, v[5:6]
	v_dual_mov_b32 v17, 0 :: v_dual_mov_b32 v12, v8
	v_dual_mov_b32 v11, v7 :: v_dual_mov_b32 v16, v6
	v_dual_mov_b32 v15, v5 :: v_dual_mov_b32 v18, 0
	s_delay_alu instid0(VALU_DEP_4)
	v_add_co_u32 v13, vcc_lo, s8, v13
	s_wait_alu 0xfffd
	v_add_co_ci_u32_e64 v14, null, s9, v14, vcc_lo
	v_mov_b32_e32 v19, 0
	s_mov_b32 s7, 0
.LBB85_18:                              ; =>This Inner Loop Header: Depth=1
	global_load_b64 v[20:21], v[13:14], off
	global_load_b64 v[22:23], v[11:12], off
	s_wait_loadcnt 0x1
	v_sub_co_u32 v20, vcc_lo, v20, v1
	s_wait_alu 0xfffd
	v_sub_co_ci_u32_e64 v24, null, v21, v2, vcc_lo
	s_wait_loadcnt 0x0
	v_bfe_i32 v26, v22, 8, 8
	v_mad_co_u64_u32 v[20:21], null, v20, 3, s[4:5]
	v_bfe_i32 v27, v22, 16, 8
	v_bfe_i32 v30, v23, 16, 8
	;; [unrolled: 1-line block ×4, first 2 shown]
	v_ashrrev_i32_e32 v23, 24, v23
	v_add_co_u32 v15, vcc_lo, v15, 4
	v_mad_co_u64_u32 v[24:25], null, v24, 3, v[21:22]
	v_bfe_i32 v25, v22, 0, 8
	v_ashrrev_i32_e32 v22, 24, v22
	v_cvt_f32_i32_e32 v30, v30
	v_cvt_f32_i32_e32 v26, v26
	;; [unrolled: 1-line block ×5, first 2 shown]
	v_mov_b32_e32 v21, v24
	v_cvt_f32_i32_e32 v23, v23
	s_wait_alu 0xfffd
	v_add_co_ci_u32_e64 v16, null, 0, v16, vcc_lo
	s_clause 0x1
	global_load_i8 v24, v[20:21], off offset:2
	global_load_u16 v20, v[20:21], off
	global_load_i8 v21, v[11:12], off offset:8
	v_cvt_f32_i32_e32 v27, v27
	v_add_co_u32 v11, vcc_lo, v11, 36
	v_cmp_ge_i64_e64 s3, v[15:16], v[9:10]
	s_wait_alu 0xfffd
	v_add_co_ci_u32_e64 v12, null, 0, v12, vcc_lo
	v_add_co_u32 v13, vcc_lo, v13, 32
	s_wait_alu 0xfffd
	v_add_co_ci_u32_e64 v14, null, 0, v14, vcc_lo
	s_wait_alu 0xfffe
	s_or_b32 s7, s3, s7
	s_wait_loadcnt 0x2
	v_cvt_f32_i32_e32 v24, v24
	s_wait_loadcnt 0x1
	v_bfe_i32 v31, v20, 0, 8
	v_bfe_i32 v20, v20, 8, 8
	s_wait_loadcnt 0x0
	v_cvt_f32_i32_e32 v21, v21
	s_delay_alu instid0(VALU_DEP_3) | instskip(NEXT) | instid1(VALU_DEP_3)
	v_bfe_i32 v31, v31, 0, 16
	v_cvt_f32_i32_e32 v20, v20
	s_delay_alu instid0(VALU_DEP_2) | instskip(NEXT) | instid1(VALU_DEP_1)
	v_cvt_f32_i32_e32 v31, v31
	v_fmac_f32_e32 v18, v22, v31
	v_fmac_f32_e32 v19, v25, v31
	v_fmac_f32_e32 v17, v30, v31
	v_cvt_f32_i32_e32 v22, v29
	s_delay_alu instid0(VALU_DEP_4) | instskip(NEXT) | instid1(VALU_DEP_4)
	v_fmac_f32_e32 v18, v28, v20
	v_fmac_f32_e32 v19, v26, v20
	s_delay_alu instid0(VALU_DEP_4) | instskip(NEXT) | instid1(VALU_DEP_3)
	v_fmac_f32_e32 v17, v23, v20
	v_fmac_f32_e32 v18, v22, v24
	s_delay_alu instid0(VALU_DEP_3) | instskip(NEXT) | instid1(VALU_DEP_3)
	v_fmac_f32_e32 v19, v27, v24
	v_fmac_f32_e32 v17, v21, v24
	s_wait_alu 0xfffe
	s_and_not1_b32 exec_lo, exec_lo, s7
	s_cbranch_execnz .LBB85_18
; %bb.19:
	s_or_b32 exec_lo, exec_lo, s7
.LBB85_20:
	s_wait_alu 0xfffe
	s_or_b32 exec_lo, exec_lo, s6
	s_cbranch_execz .LBB85_22
	s_branch .LBB85_27
.LBB85_21:
                                        ; implicit-def: $vgpr17
                                        ; implicit-def: $vgpr18
                                        ; implicit-def: $vgpr19
.LBB85_22:
	v_dual_mov_b32 v17, 0 :: v_dual_mov_b32 v18, 0
	v_mov_b32_e32 v19, 0
	s_and_saveexec_b32 s3, s2
	s_cbranch_execz .LBB85_26
; %bb.23:
	v_lshlrev_b64_e32 v[11:12], 3, v[5:6]
	v_dual_mov_b32 v17, 0 :: v_dual_mov_b32 v18, 0
	v_mov_b32_e32 v19, 0
	s_mov_b32 s6, 0
	s_delay_alu instid0(VALU_DEP_3)
	v_add_co_u32 v11, vcc_lo, s8, v11
	s_wait_alu 0xfffd
	v_add_co_ci_u32_e64 v12, null, s9, v12, vcc_lo
.LBB85_24:                              ; =>This Inner Loop Header: Depth=1
	global_load_b64 v[13:14], v[11:12], off
	global_load_b64 v[15:16], v[7:8], off
	s_wait_loadcnt 0x1
	v_sub_co_u32 v13, vcc_lo, v13, v1
	s_wait_alu 0xfffd
	v_sub_co_ci_u32_e64 v20, null, v14, v2, vcc_lo
	s_wait_loadcnt 0x0
	v_bfe_i32 v22, v15, 8, 8
	v_mad_co_u64_u32 v[13:14], null, v13, 3, s[4:5]
	v_bfe_i32 v23, v15, 16, 8
	v_bfe_i32 v24, v16, 0, 8
	;; [unrolled: 1-line block ×3, first 2 shown]
	v_cvt_f32_i32_e32 v22, v22
	v_add_co_u32 v5, vcc_lo, v5, 4
	v_mad_co_u64_u32 v[20:21], null, v20, 3, v[14:15]
	v_bfe_i32 v21, v15, 0, 8
	v_ashrrev_i32_e32 v15, 24, v15
	v_cvt_f32_i32_e32 v23, v23
	v_bfe_i32 v26, v16, 16, 8
	v_ashrrev_i32_e32 v16, 24, v16
	v_cvt_f32_i32_e32 v21, v21
	v_mov_b32_e32 v14, v20
	v_cvt_f32_i32_e32 v15, v15
	v_cvt_f32_i32_e32 v24, v24
	;; [unrolled: 1-line block ×3, first 2 shown]
	s_wait_alu 0xfffd
	v_add_co_ci_u32_e64 v6, null, 0, v6, vcc_lo
	s_clause 0x1
	global_load_i8 v20, v[13:14], off offset:2
	global_load_u16 v13, v[13:14], off
	global_load_i8 v14, v[7:8], off offset:8
	v_cvt_f32_i32_e32 v26, v26
	v_cvt_f32_i32_e32 v16, v16
	v_add_co_u32 v7, vcc_lo, v7, 36
	v_cmp_ge_i64_e64 s2, v[5:6], v[9:10]
	s_wait_alu 0xfffd
	v_add_co_ci_u32_e64 v8, null, 0, v8, vcc_lo
	v_add_co_u32 v11, vcc_lo, v11, 32
	s_wait_alu 0xfffd
	v_add_co_ci_u32_e64 v12, null, 0, v12, vcc_lo
	s_wait_alu 0xfffe
	s_or_b32 s6, s2, s6
	s_wait_loadcnt 0x2
	v_cvt_f32_i32_e32 v20, v20
	s_wait_loadcnt 0x1
	v_bfe_i32 v27, v13, 0, 8
	v_bfe_i32 v13, v13, 8, 8
	s_wait_loadcnt 0x0
	v_cvt_f32_i32_e32 v14, v14
	s_delay_alu instid0(VALU_DEP_3) | instskip(NEXT) | instid1(VALU_DEP_3)
	v_bfe_i32 v27, v27, 0, 16
	v_cvt_f32_i32_e32 v13, v13
	s_delay_alu instid0(VALU_DEP_2) | instskip(NEXT) | instid1(VALU_DEP_1)
	v_cvt_f32_i32_e32 v27, v27
	v_fmac_f32_e32 v19, v21, v27
	s_delay_alu instid0(VALU_DEP_1) | instskip(NEXT) | instid1(VALU_DEP_1)
	v_dual_fmac_f32 v18, v22, v27 :: v_dual_fmac_f32 v19, v15, v13
	v_dual_fmac_f32 v17, v23, v27 :: v_dual_fmac_f32 v18, v24, v13
	s_delay_alu instid0(VALU_DEP_2) | instskip(NEXT) | instid1(VALU_DEP_2)
	v_fmac_f32_e32 v19, v26, v20
	v_dual_fmac_f32 v17, v25, v13 :: v_dual_fmac_f32 v18, v16, v20
	s_delay_alu instid0(VALU_DEP_1)
	v_fmac_f32_e32 v17, v14, v20
	s_wait_alu 0xfffe
	s_and_not1_b32 exec_lo, exec_lo, s6
	s_cbranch_execnz .LBB85_24
; %bb.25:
	s_or_b32 exec_lo, exec_lo, s6
.LBB85_26:
	s_wait_alu 0xfffe
	s_or_b32 exec_lo, exec_lo, s3
.LBB85_27:
	v_mbcnt_lo_u32_b32 v1, -1, 0
	s_mov_b32 s2, -1
	s_delay_alu instid0(VALU_DEP_1) | instskip(NEXT) | instid1(VALU_DEP_1)
	v_xor_b32_e32 v2, 2, v1
	v_cmp_gt_i32_e32 vcc_lo, 32, v2
	s_wait_alu 0xfffd
	v_cndmask_b32_e32 v2, v1, v2, vcc_lo
	s_delay_alu instid0(VALU_DEP_1) | instskip(SKIP_4) | instid1(VALU_DEP_1)
	v_lshlrev_b32_e32 v2, 2, v2
	ds_bpermute_b32 v5, v2, v19
	ds_bpermute_b32 v6, v2, v18
	ds_bpermute_b32 v7, v2, v17
	v_xor_b32_e32 v2, 1, v1
	v_cmp_gt_i32_e32 vcc_lo, 32, v2
	s_wait_alu 0xfffd
	v_cndmask_b32_e32 v1, v1, v2, vcc_lo
	v_cmp_eq_u32_e32 vcc_lo, 3, v0
	s_delay_alu instid0(VALU_DEP_2)
	v_lshlrev_b32_e32 v8, 2, v1
	s_wait_dscnt 0x1
	v_dual_add_f32 v1, v19, v5 :: v_dual_add_f32 v2, v18, v6
	s_wait_dscnt 0x0
	v_add_f32_e32 v5, v17, v7
	ds_bpermute_b32 v6, v8, v1
	ds_bpermute_b32 v7, v8, v2
	;; [unrolled: 1-line block ×3, first 2 shown]
	s_and_b32 exec_lo, exec_lo, vcc_lo
	s_cbranch_execz .LBB85_10
; %bb.28:
	s_load_b64 s[0:1], s[0:1], 0x58
	s_wait_dscnt 0x1
	v_dual_add_f32 v0, v1, v6 :: v_dual_add_f32 v1, v2, v7
	s_wait_dscnt 0x0
	v_add_f32_e32 v2, v5, v8
	s_cmp_eq_f32 s16, 0
	s_delay_alu instid0(VALU_DEP_2) | instskip(NEXT) | instid1(VALU_DEP_2)
	v_dual_mul_f32 v0, s12, v0 :: v_dual_mul_f32 v1, s12, v1
	v_mul_f32_e32 v2, s12, v2
	s_cbranch_scc0 .LBB85_30
; %bb.29:
	s_wait_kmcnt 0x0
	v_mad_co_u64_u32 v[5:6], null, v3, 12, s[0:1]
	s_mov_b32 s2, 0
	v_mad_co_u64_u32 v[6:7], null, v4, 12, v[6:7]
	global_store_b96 v[5:6], v[0:2], off
.LBB85_30:
	s_wait_alu 0xfffe
	s_and_not1_b32 vcc_lo, exec_lo, s2
	s_wait_alu 0xfffe
	s_cbranch_vccnz .LBB85_10
; %bb.31:
	s_wait_kmcnt 0x0
	v_mad_co_u64_u32 v[6:7], null, v3, 12, s[0:1]
	s_delay_alu instid0(VALU_DEP_1) | instskip(NEXT) | instid1(VALU_DEP_1)
	v_mov_b32_e32 v3, v7
	v_mad_co_u64_u32 v[3:4], null, v4, 12, v[3:4]
	s_delay_alu instid0(VALU_DEP_1)
	v_mov_b32_e32 v7, v3
	global_load_b96 v[3:5], v[6:7], off
	s_wait_loadcnt 0x0
	v_dual_fmac_f32 v0, s16, v3 :: v_dual_fmac_f32 v1, s16, v4
	v_fmac_f32_e32 v2, s16, v5
	global_store_b96 v[6:7], v[0:2], off
	s_endpgm
	.section	.rodata,"a",@progbits
	.p2align	6, 0x0
	.amdhsa_kernel _ZN9rocsparseL18bsrxmvn_3x3_kernelILj256ELj4EfllaafEEvT3_20rocsparse_direction_NS_24const_host_device_scalarIT1_EES1_PKS1_PKT2_SA_S7_PKT4_PKT5_S5_PT6_21rocsparse_index_base_b
		.amdhsa_group_segment_fixed_size 0
		.amdhsa_private_segment_fixed_size 0
		.amdhsa_kernarg_size 104
		.amdhsa_user_sgpr_count 2
		.amdhsa_user_sgpr_dispatch_ptr 0
		.amdhsa_user_sgpr_queue_ptr 0
		.amdhsa_user_sgpr_kernarg_segment_ptr 1
		.amdhsa_user_sgpr_dispatch_id 0
		.amdhsa_user_sgpr_private_segment_size 0
		.amdhsa_wavefront_size32 1
		.amdhsa_uses_dynamic_stack 0
		.amdhsa_enable_private_segment 0
		.amdhsa_system_sgpr_workgroup_id_x 1
		.amdhsa_system_sgpr_workgroup_id_y 0
		.amdhsa_system_sgpr_workgroup_id_z 0
		.amdhsa_system_sgpr_workgroup_info 0
		.amdhsa_system_vgpr_workitem_id 0
		.amdhsa_next_free_vgpr 32
		.amdhsa_next_free_sgpr 18
		.amdhsa_reserve_vcc 1
		.amdhsa_float_round_mode_32 0
		.amdhsa_float_round_mode_16_64 0
		.amdhsa_float_denorm_mode_32 3
		.amdhsa_float_denorm_mode_16_64 3
		.amdhsa_fp16_overflow 0
		.amdhsa_workgroup_processor_mode 1
		.amdhsa_memory_ordered 1
		.amdhsa_forward_progress 1
		.amdhsa_inst_pref_size 15
		.amdhsa_round_robin_scheduling 0
		.amdhsa_exception_fp_ieee_invalid_op 0
		.amdhsa_exception_fp_denorm_src 0
		.amdhsa_exception_fp_ieee_div_zero 0
		.amdhsa_exception_fp_ieee_overflow 0
		.amdhsa_exception_fp_ieee_underflow 0
		.amdhsa_exception_fp_ieee_inexact 0
		.amdhsa_exception_int_div_zero 0
	.end_amdhsa_kernel
	.section	.text._ZN9rocsparseL18bsrxmvn_3x3_kernelILj256ELj4EfllaafEEvT3_20rocsparse_direction_NS_24const_host_device_scalarIT1_EES1_PKS1_PKT2_SA_S7_PKT4_PKT5_S5_PT6_21rocsparse_index_base_b,"axG",@progbits,_ZN9rocsparseL18bsrxmvn_3x3_kernelILj256ELj4EfllaafEEvT3_20rocsparse_direction_NS_24const_host_device_scalarIT1_EES1_PKS1_PKT2_SA_S7_PKT4_PKT5_S5_PT6_21rocsparse_index_base_b,comdat
.Lfunc_end85:
	.size	_ZN9rocsparseL18bsrxmvn_3x3_kernelILj256ELj4EfllaafEEvT3_20rocsparse_direction_NS_24const_host_device_scalarIT1_EES1_PKS1_PKT2_SA_S7_PKT4_PKT5_S5_PT6_21rocsparse_index_base_b, .Lfunc_end85-_ZN9rocsparseL18bsrxmvn_3x3_kernelILj256ELj4EfllaafEEvT3_20rocsparse_direction_NS_24const_host_device_scalarIT1_EES1_PKS1_PKT2_SA_S7_PKT4_PKT5_S5_PT6_21rocsparse_index_base_b
                                        ; -- End function
	.set _ZN9rocsparseL18bsrxmvn_3x3_kernelILj256ELj4EfllaafEEvT3_20rocsparse_direction_NS_24const_host_device_scalarIT1_EES1_PKS1_PKT2_SA_S7_PKT4_PKT5_S5_PT6_21rocsparse_index_base_b.num_vgpr, 32
	.set _ZN9rocsparseL18bsrxmvn_3x3_kernelILj256ELj4EfllaafEEvT3_20rocsparse_direction_NS_24const_host_device_scalarIT1_EES1_PKS1_PKT2_SA_S7_PKT4_PKT5_S5_PT6_21rocsparse_index_base_b.num_agpr, 0
	.set _ZN9rocsparseL18bsrxmvn_3x3_kernelILj256ELj4EfllaafEEvT3_20rocsparse_direction_NS_24const_host_device_scalarIT1_EES1_PKS1_PKT2_SA_S7_PKT4_PKT5_S5_PT6_21rocsparse_index_base_b.numbered_sgpr, 18
	.set _ZN9rocsparseL18bsrxmvn_3x3_kernelILj256ELj4EfllaafEEvT3_20rocsparse_direction_NS_24const_host_device_scalarIT1_EES1_PKS1_PKT2_SA_S7_PKT4_PKT5_S5_PT6_21rocsparse_index_base_b.num_named_barrier, 0
	.set _ZN9rocsparseL18bsrxmvn_3x3_kernelILj256ELj4EfllaafEEvT3_20rocsparse_direction_NS_24const_host_device_scalarIT1_EES1_PKS1_PKT2_SA_S7_PKT4_PKT5_S5_PT6_21rocsparse_index_base_b.private_seg_size, 0
	.set _ZN9rocsparseL18bsrxmvn_3x3_kernelILj256ELj4EfllaafEEvT3_20rocsparse_direction_NS_24const_host_device_scalarIT1_EES1_PKS1_PKT2_SA_S7_PKT4_PKT5_S5_PT6_21rocsparse_index_base_b.uses_vcc, 1
	.set _ZN9rocsparseL18bsrxmvn_3x3_kernelILj256ELj4EfllaafEEvT3_20rocsparse_direction_NS_24const_host_device_scalarIT1_EES1_PKS1_PKT2_SA_S7_PKT4_PKT5_S5_PT6_21rocsparse_index_base_b.uses_flat_scratch, 0
	.set _ZN9rocsparseL18bsrxmvn_3x3_kernelILj256ELj4EfllaafEEvT3_20rocsparse_direction_NS_24const_host_device_scalarIT1_EES1_PKS1_PKT2_SA_S7_PKT4_PKT5_S5_PT6_21rocsparse_index_base_b.has_dyn_sized_stack, 0
	.set _ZN9rocsparseL18bsrxmvn_3x3_kernelILj256ELj4EfllaafEEvT3_20rocsparse_direction_NS_24const_host_device_scalarIT1_EES1_PKS1_PKT2_SA_S7_PKT4_PKT5_S5_PT6_21rocsparse_index_base_b.has_recursion, 0
	.set _ZN9rocsparseL18bsrxmvn_3x3_kernelILj256ELj4EfllaafEEvT3_20rocsparse_direction_NS_24const_host_device_scalarIT1_EES1_PKS1_PKT2_SA_S7_PKT4_PKT5_S5_PT6_21rocsparse_index_base_b.has_indirect_call, 0
	.section	.AMDGPU.csdata,"",@progbits
; Kernel info:
; codeLenInByte = 1920
; TotalNumSgprs: 20
; NumVgprs: 32
; ScratchSize: 0
; MemoryBound: 0
; FloatMode: 240
; IeeeMode: 1
; LDSByteSize: 0 bytes/workgroup (compile time only)
; SGPRBlocks: 0
; VGPRBlocks: 3
; NumSGPRsForWavesPerEU: 20
; NumVGPRsForWavesPerEU: 32
; Occupancy: 16
; WaveLimiterHint : 1
; COMPUTE_PGM_RSRC2:SCRATCH_EN: 0
; COMPUTE_PGM_RSRC2:USER_SGPR: 2
; COMPUTE_PGM_RSRC2:TRAP_HANDLER: 0
; COMPUTE_PGM_RSRC2:TGID_X_EN: 1
; COMPUTE_PGM_RSRC2:TGID_Y_EN: 0
; COMPUTE_PGM_RSRC2:TGID_Z_EN: 0
; COMPUTE_PGM_RSRC2:TIDIG_COMP_CNT: 0
	.section	.text._ZN9rocsparseL18bsrxmvn_3x3_kernelILj256ELj8EfllaafEEvT3_20rocsparse_direction_NS_24const_host_device_scalarIT1_EES1_PKS1_PKT2_SA_S7_PKT4_PKT5_S5_PT6_21rocsparse_index_base_b,"axG",@progbits,_ZN9rocsparseL18bsrxmvn_3x3_kernelILj256ELj8EfllaafEEvT3_20rocsparse_direction_NS_24const_host_device_scalarIT1_EES1_PKS1_PKT2_SA_S7_PKT4_PKT5_S5_PT6_21rocsparse_index_base_b,comdat
	.globl	_ZN9rocsparseL18bsrxmvn_3x3_kernelILj256ELj8EfllaafEEvT3_20rocsparse_direction_NS_24const_host_device_scalarIT1_EES1_PKS1_PKT2_SA_S7_PKT4_PKT5_S5_PT6_21rocsparse_index_base_b ; -- Begin function _ZN9rocsparseL18bsrxmvn_3x3_kernelILj256ELj8EfllaafEEvT3_20rocsparse_direction_NS_24const_host_device_scalarIT1_EES1_PKS1_PKT2_SA_S7_PKT4_PKT5_S5_PT6_21rocsparse_index_base_b
	.p2align	8
	.type	_ZN9rocsparseL18bsrxmvn_3x3_kernelILj256ELj8EfllaafEEvT3_20rocsparse_direction_NS_24const_host_device_scalarIT1_EES1_PKS1_PKT2_SA_S7_PKT4_PKT5_S5_PT6_21rocsparse_index_base_b,@function
_ZN9rocsparseL18bsrxmvn_3x3_kernelILj256ELj8EfllaafEEvT3_20rocsparse_direction_NS_24const_host_device_scalarIT1_EES1_PKS1_PKT2_SA_S7_PKT4_PKT5_S5_PT6_21rocsparse_index_base_b: ; @_ZN9rocsparseL18bsrxmvn_3x3_kernelILj256ELj8EfllaafEEvT3_20rocsparse_direction_NS_24const_host_device_scalarIT1_EES1_PKS1_PKT2_SA_S7_PKT4_PKT5_S5_PT6_21rocsparse_index_base_b
; %bb.0:
	s_clause 0x2
	s_load_b64 s[2:3], s[0:1], 0x60
	s_load_b128 s[12:15], s[0:1], 0x10
	s_load_b64 s[16:17], s[0:1], 0x50
	s_wait_kmcnt 0x0
	s_bitcmp1_b32 s3, 0
	s_cselect_b32 s3, -1, 0
	s_delay_alu instid0(SALU_CYCLE_1)
	s_and_b32 vcc_lo, exec_lo, s3
	s_xor_b32 s3, s3, -1
	s_cbranch_vccnz .LBB86_2
; %bb.1:
	s_load_b32 s12, s[12:13], 0x0
.LBB86_2:
	s_and_not1_b32 vcc_lo, exec_lo, s3
	s_cbranch_vccnz .LBB86_4
; %bb.3:
	s_load_b32 s16, s[16:17], 0x0
.LBB86_4:
	s_wait_kmcnt 0x0
	s_cmp_neq_f32 s12, 0
	s_mov_b32 s6, 0
	s_cselect_b32 s3, -1, 0
	s_cmp_neq_f32 s16, 1.0
	s_cselect_b32 s4, -1, 0
	s_delay_alu instid0(SALU_CYCLE_1) | instskip(NEXT) | instid1(SALU_CYCLE_1)
	s_or_b32 s3, s3, s4
	s_and_not1_b32 vcc_lo, exec_lo, s3
	s_cbranch_vccnz .LBB86_10
; %bb.5:
	s_load_b64 s[4:5], s[0:1], 0x20
	v_lshrrev_b32_e32 v1, 3, v0
	v_mov_b32_e32 v6, 0
	s_delay_alu instid0(VALU_DEP_2)
	v_lshl_or_b32 v5, ttmp9, 5, v1
	s_wait_kmcnt 0x0
	s_cmp_lg_u64 s[4:5], 0
	s_cbranch_scc0 .LBB86_11
; %bb.6:
	s_mov_b32 s7, 0
                                        ; implicit-def: $vgpr3_vgpr4
                                        ; implicit-def: $vgpr1_vgpr2
	s_mov_b32 s3, exec_lo
	v_cmpx_gt_i64_e64 s[14:15], v[5:6]
	s_xor_b32 s8, exec_lo, s3
	s_cbranch_execz .LBB86_8
; %bb.7:
	v_lshlrev_b64_e32 v[1:2], 3, v[5:6]
	s_mov_b32 s3, 0
	s_mov_b32 s6, exec_lo
	s_delay_alu instid0(VALU_DEP_1) | instskip(NEXT) | instid1(VALU_DEP_1)
	v_add_co_u32 v1, vcc_lo, s4, v1
	v_add_co_ci_u32_e64 v2, null, s5, v2, vcc_lo
	global_load_b64 v[1:2], v[1:2], off
	s_wait_loadcnt 0x0
	v_sub_co_u32 v3, vcc_lo, v1, s2
	s_wait_alu 0xfffd
	v_subrev_co_ci_u32_e64 v4, null, 0, v2, vcc_lo
	v_dual_mov_b32 v1, s2 :: v_dual_mov_b32 v2, s3
.LBB86_8:
	s_or_b32 exec_lo, exec_lo, s8
	s_delay_alu instid0(SALU_CYCLE_1)
	s_and_b32 vcc_lo, exec_lo, s7
	s_wait_alu 0xfffe
	s_cbranch_vccnz .LBB86_12
.LBB86_9:
	s_and_saveexec_b32 s2, s6
	s_cbranch_execnz .LBB86_15
.LBB86_10:
	s_endpgm
.LBB86_11:
                                        ; implicit-def: $vgpr3_vgpr4
                                        ; implicit-def: $vgpr1_vgpr2
	s_cbranch_execz .LBB86_9
.LBB86_12:
	s_load_b64 s[4:5], s[0:1], 0x0
	s_wait_kmcnt 0x0
	v_cmp_gt_i64_e32 vcc_lo, s[4:5], v[5:6]
	s_and_saveexec_b32 s4, vcc_lo
; %bb.13:
	s_mov_b32 s3, 0
	s_or_b32 s6, s6, exec_lo
; %bb.14:
	s_wait_alu 0xfffe
	s_or_b32 exec_lo, exec_lo, s4
	v_dual_mov_b32 v1, s2 :: v_dual_mov_b32 v2, s3
	v_dual_mov_b32 v3, v5 :: v_dual_mov_b32 v4, v6
	s_and_saveexec_b32 s2, s6
	s_cbranch_execz .LBB86_10
.LBB86_15:
	s_load_b256 s[4:11], s[0:1], 0x28
	s_delay_alu instid0(VALU_DEP_1) | instskip(SKIP_2) | instid1(VALU_DEP_2)
	v_lshlrev_b64_e32 v[5:6], 3, v[3:4]
	v_dual_mov_b32 v17, 0 :: v_dual_and_b32 v0, 7, v0
	s_wait_kmcnt 0x0
	v_add_co_u32 v7, vcc_lo, s4, v5
	s_wait_alu 0xfffd
	s_delay_alu instid0(VALU_DEP_3)
	v_add_co_ci_u32_e64 v8, null, s5, v6, vcc_lo
	v_add_co_u32 v5, vcc_lo, s6, v5
	s_wait_alu 0xfffd
	v_add_co_ci_u32_e64 v6, null, s7, v6, vcc_lo
	global_load_b64 v[9:10], v[7:8], off
	v_add_co_u32 v7, vcc_lo, v7, 8
	s_wait_alu 0xfffd
	v_add_co_ci_u32_e64 v8, null, 0, v8, vcc_lo
	s_cmp_eq_u64 s[6:7], 0
	s_cselect_b32 vcc_lo, -1, 0
	s_wait_alu 0xfffe
	v_dual_cndmask_b32 v6, v6, v8 :: v_dual_cndmask_b32 v5, v5, v7
	global_load_b64 v[11:12], v[5:6], off
	s_clause 0x1
	s_load_b32 s3, s[0:1], 0x8
	s_load_b64 s[4:5], s[0:1], 0x48
	s_wait_kmcnt 0x0
	s_cmp_eq_u32 s3, 1
	s_wait_loadcnt 0x1
	v_sub_co_u32 v5, vcc_lo, v9, v1
	s_wait_alu 0xfffd
	v_sub_co_ci_u32_e64 v6, null, v10, v2, vcc_lo
	s_delay_alu instid0(VALU_DEP_2) | instskip(SKIP_1) | instid1(VALU_DEP_2)
	v_add_co_u32 v5, vcc_lo, v5, v0
	s_wait_alu 0xfffd
	v_add_co_ci_u32_e64 v6, null, 0, v6, vcc_lo
	s_delay_alu instid0(VALU_DEP_2) | instskip(NEXT) | instid1(VALU_DEP_1)
	v_mad_co_u64_u32 v[7:8], null, v5, 9, s[10:11]
	v_mad_co_u64_u32 v[8:9], null, v6, 9, v[8:9]
	s_wait_loadcnt 0x0
	v_sub_co_u32 v9, vcc_lo, v11, v1
	s_wait_alu 0xfffd
	v_sub_co_ci_u32_e64 v10, null, v12, v2, vcc_lo
	s_delay_alu instid0(VALU_DEP_1)
	v_cmp_lt_i64_e64 s2, v[5:6], v[9:10]
	s_cbranch_scc1 .LBB86_21
; %bb.16:
	v_dual_mov_b32 v18, 0 :: v_dual_mov_b32 v19, 0
	s_and_saveexec_b32 s6, s2
	s_cbranch_execz .LBB86_20
; %bb.17:
	v_lshlrev_b64_e32 v[13:14], 3, v[5:6]
	v_dual_mov_b32 v17, 0 :: v_dual_mov_b32 v12, v8
	v_dual_mov_b32 v11, v7 :: v_dual_mov_b32 v16, v6
	;; [unrolled: 1-line block ×3, first 2 shown]
	s_delay_alu instid0(VALU_DEP_4)
	v_add_co_u32 v13, vcc_lo, s8, v13
	s_wait_alu 0xfffd
	v_add_co_ci_u32_e64 v14, null, s9, v14, vcc_lo
	v_mov_b32_e32 v19, 0
	s_mov_b32 s7, 0
.LBB86_18:                              ; =>This Inner Loop Header: Depth=1
	global_load_b64 v[20:21], v[13:14], off
	global_load_b64 v[22:23], v[11:12], off
	s_wait_loadcnt 0x1
	v_sub_co_u32 v20, vcc_lo, v20, v1
	s_wait_alu 0xfffd
	v_sub_co_ci_u32_e64 v24, null, v21, v2, vcc_lo
	s_wait_loadcnt 0x0
	v_bfe_i32 v26, v22, 8, 8
	v_mad_co_u64_u32 v[20:21], null, v20, 3, s[4:5]
	v_bfe_i32 v27, v22, 16, 8
	v_bfe_i32 v30, v23, 16, 8
	;; [unrolled: 1-line block ×4, first 2 shown]
	v_ashrrev_i32_e32 v23, 24, v23
	v_add_co_u32 v15, vcc_lo, v15, 8
	v_mad_co_u64_u32 v[24:25], null, v24, 3, v[21:22]
	v_bfe_i32 v25, v22, 0, 8
	v_ashrrev_i32_e32 v22, 24, v22
	v_cvt_f32_i32_e32 v30, v30
	v_cvt_f32_i32_e32 v26, v26
	;; [unrolled: 1-line block ×5, first 2 shown]
	v_mov_b32_e32 v21, v24
	v_cvt_f32_i32_e32 v23, v23
	s_wait_alu 0xfffd
	v_add_co_ci_u32_e64 v16, null, 0, v16, vcc_lo
	s_clause 0x1
	global_load_i8 v24, v[20:21], off offset:2
	global_load_u16 v20, v[20:21], off
	global_load_i8 v21, v[11:12], off offset:8
	v_cvt_f32_i32_e32 v27, v27
	v_add_co_u32 v11, vcc_lo, 0x48, v11
	v_cmp_ge_i64_e64 s3, v[15:16], v[9:10]
	s_wait_alu 0xfffd
	v_add_co_ci_u32_e64 v12, null, 0, v12, vcc_lo
	v_add_co_u32 v13, vcc_lo, v13, 64
	s_wait_alu 0xfffd
	v_add_co_ci_u32_e64 v14, null, 0, v14, vcc_lo
	s_wait_alu 0xfffe
	s_or_b32 s7, s3, s7
	s_wait_loadcnt 0x2
	v_cvt_f32_i32_e32 v24, v24
	s_wait_loadcnt 0x1
	v_bfe_i32 v31, v20, 0, 8
	v_bfe_i32 v20, v20, 8, 8
	s_wait_loadcnt 0x0
	v_cvt_f32_i32_e32 v21, v21
	s_delay_alu instid0(VALU_DEP_3) | instskip(NEXT) | instid1(VALU_DEP_3)
	v_bfe_i32 v31, v31, 0, 16
	v_cvt_f32_i32_e32 v20, v20
	s_delay_alu instid0(VALU_DEP_2) | instskip(NEXT) | instid1(VALU_DEP_1)
	v_cvt_f32_i32_e32 v31, v31
	v_fmac_f32_e32 v18, v22, v31
	v_fmac_f32_e32 v19, v25, v31
	;; [unrolled: 1-line block ×3, first 2 shown]
	v_cvt_f32_i32_e32 v22, v29
	s_delay_alu instid0(VALU_DEP_4) | instskip(NEXT) | instid1(VALU_DEP_4)
	v_fmac_f32_e32 v18, v28, v20
	v_fmac_f32_e32 v19, v26, v20
	s_delay_alu instid0(VALU_DEP_4) | instskip(NEXT) | instid1(VALU_DEP_3)
	v_fmac_f32_e32 v17, v23, v20
	v_fmac_f32_e32 v18, v22, v24
	s_delay_alu instid0(VALU_DEP_3) | instskip(NEXT) | instid1(VALU_DEP_3)
	v_fmac_f32_e32 v19, v27, v24
	v_fmac_f32_e32 v17, v21, v24
	s_wait_alu 0xfffe
	s_and_not1_b32 exec_lo, exec_lo, s7
	s_cbranch_execnz .LBB86_18
; %bb.19:
	s_or_b32 exec_lo, exec_lo, s7
.LBB86_20:
	s_wait_alu 0xfffe
	s_or_b32 exec_lo, exec_lo, s6
	s_cbranch_execz .LBB86_22
	s_branch .LBB86_27
.LBB86_21:
                                        ; implicit-def: $vgpr17
                                        ; implicit-def: $vgpr18
                                        ; implicit-def: $vgpr19
.LBB86_22:
	v_dual_mov_b32 v17, 0 :: v_dual_mov_b32 v18, 0
	v_mov_b32_e32 v19, 0
	s_and_saveexec_b32 s3, s2
	s_cbranch_execz .LBB86_26
; %bb.23:
	v_lshlrev_b64_e32 v[11:12], 3, v[5:6]
	v_dual_mov_b32 v17, 0 :: v_dual_mov_b32 v18, 0
	v_mov_b32_e32 v19, 0
	s_mov_b32 s6, 0
	s_delay_alu instid0(VALU_DEP_3)
	v_add_co_u32 v11, vcc_lo, s8, v11
	s_wait_alu 0xfffd
	v_add_co_ci_u32_e64 v12, null, s9, v12, vcc_lo
.LBB86_24:                              ; =>This Inner Loop Header: Depth=1
	global_load_b64 v[13:14], v[11:12], off
	global_load_b64 v[15:16], v[7:8], off
	s_wait_loadcnt 0x1
	v_sub_co_u32 v13, vcc_lo, v13, v1
	s_wait_alu 0xfffd
	v_sub_co_ci_u32_e64 v20, null, v14, v2, vcc_lo
	s_wait_loadcnt 0x0
	v_bfe_i32 v22, v15, 8, 8
	v_mad_co_u64_u32 v[13:14], null, v13, 3, s[4:5]
	v_bfe_i32 v23, v15, 16, 8
	v_bfe_i32 v24, v16, 0, 8
	;; [unrolled: 1-line block ×3, first 2 shown]
	v_cvt_f32_i32_e32 v22, v22
	v_add_co_u32 v5, vcc_lo, v5, 8
	v_mad_co_u64_u32 v[20:21], null, v20, 3, v[14:15]
	v_bfe_i32 v21, v15, 0, 8
	v_ashrrev_i32_e32 v15, 24, v15
	v_cvt_f32_i32_e32 v23, v23
	v_bfe_i32 v26, v16, 16, 8
	v_ashrrev_i32_e32 v16, 24, v16
	v_cvt_f32_i32_e32 v21, v21
	v_mov_b32_e32 v14, v20
	v_cvt_f32_i32_e32 v15, v15
	v_cvt_f32_i32_e32 v24, v24
	;; [unrolled: 1-line block ×3, first 2 shown]
	s_wait_alu 0xfffd
	v_add_co_ci_u32_e64 v6, null, 0, v6, vcc_lo
	s_clause 0x1
	global_load_i8 v20, v[13:14], off offset:2
	global_load_u16 v13, v[13:14], off
	global_load_i8 v14, v[7:8], off offset:8
	v_cvt_f32_i32_e32 v26, v26
	v_cvt_f32_i32_e32 v16, v16
	v_add_co_u32 v7, vcc_lo, 0x48, v7
	v_cmp_ge_i64_e64 s2, v[5:6], v[9:10]
	s_wait_alu 0xfffd
	v_add_co_ci_u32_e64 v8, null, 0, v8, vcc_lo
	v_add_co_u32 v11, vcc_lo, v11, 64
	s_wait_alu 0xfffd
	v_add_co_ci_u32_e64 v12, null, 0, v12, vcc_lo
	s_wait_alu 0xfffe
	s_or_b32 s6, s2, s6
	s_wait_loadcnt 0x2
	v_cvt_f32_i32_e32 v20, v20
	s_wait_loadcnt 0x1
	v_bfe_i32 v27, v13, 0, 8
	v_bfe_i32 v13, v13, 8, 8
	s_wait_loadcnt 0x0
	v_cvt_f32_i32_e32 v14, v14
	s_delay_alu instid0(VALU_DEP_3) | instskip(NEXT) | instid1(VALU_DEP_3)
	v_bfe_i32 v27, v27, 0, 16
	v_cvt_f32_i32_e32 v13, v13
	s_delay_alu instid0(VALU_DEP_2) | instskip(NEXT) | instid1(VALU_DEP_1)
	v_cvt_f32_i32_e32 v27, v27
	v_fmac_f32_e32 v19, v21, v27
	s_delay_alu instid0(VALU_DEP_1) | instskip(NEXT) | instid1(VALU_DEP_1)
	v_dual_fmac_f32 v18, v22, v27 :: v_dual_fmac_f32 v19, v15, v13
	v_dual_fmac_f32 v17, v23, v27 :: v_dual_fmac_f32 v18, v24, v13
	s_delay_alu instid0(VALU_DEP_2) | instskip(NEXT) | instid1(VALU_DEP_2)
	v_fmac_f32_e32 v19, v26, v20
	v_dual_fmac_f32 v17, v25, v13 :: v_dual_fmac_f32 v18, v16, v20
	s_delay_alu instid0(VALU_DEP_1)
	v_fmac_f32_e32 v17, v14, v20
	s_wait_alu 0xfffe
	s_and_not1_b32 exec_lo, exec_lo, s6
	s_cbranch_execnz .LBB86_24
; %bb.25:
	s_or_b32 exec_lo, exec_lo, s6
.LBB86_26:
	s_wait_alu 0xfffe
	s_or_b32 exec_lo, exec_lo, s3
.LBB86_27:
	v_mbcnt_lo_u32_b32 v1, -1, 0
	s_mov_b32 s2, -1
	s_delay_alu instid0(VALU_DEP_1) | instskip(SKIP_2) | instid1(VALU_DEP_3)
	v_xor_b32_e32 v2, 4, v1
	v_xor_b32_e32 v7, 2, v1
	;; [unrolled: 1-line block ×3, first 2 shown]
	v_cmp_gt_i32_e32 vcc_lo, 32, v2
	s_wait_alu 0xfffd
	v_cndmask_b32_e32 v2, v1, v2, vcc_lo
	v_cmp_gt_i32_e32 vcc_lo, 32, v7
	s_wait_alu 0xfffd
	v_cndmask_b32_e32 v7, v1, v7, vcc_lo
	v_cmp_gt_i32_e32 vcc_lo, 32, v10
	s_delay_alu instid0(VALU_DEP_2)
	v_lshlrev_b32_e32 v7, 2, v7
	v_lshlrev_b32_e32 v2, 2, v2
	ds_bpermute_b32 v5, v2, v19
	s_wait_dscnt 0x0
	v_add_f32_e32 v5, v19, v5
	ds_bpermute_b32 v6, v2, v18
	ds_bpermute_b32 v2, v2, v17
	s_wait_dscnt 0x1
	v_add_f32_e32 v6, v18, v6
	s_wait_dscnt 0x0
	v_add_f32_e32 v8, v17, v2
	ds_bpermute_b32 v2, v7, v5
	ds_bpermute_b32 v9, v7, v6
	;; [unrolled: 1-line block ×3, first 2 shown]
	s_wait_alu 0xfffd
	v_cndmask_b32_e32 v1, v1, v10, vcc_lo
	v_cmp_eq_u32_e32 vcc_lo, 7, v0
	s_wait_dscnt 0x2
	s_delay_alu instid0(VALU_DEP_2)
	v_dual_add_f32 v1, v5, v2 :: v_dual_lshlrev_b32 v10, 2, v1
	s_wait_dscnt 0x0
	v_dual_add_f32 v2, v6, v9 :: v_dual_add_f32 v5, v8, v7
	ds_bpermute_b32 v6, v10, v1
	ds_bpermute_b32 v7, v10, v2
	;; [unrolled: 1-line block ×3, first 2 shown]
	s_and_b32 exec_lo, exec_lo, vcc_lo
	s_cbranch_execz .LBB86_10
; %bb.28:
	s_load_b64 s[0:1], s[0:1], 0x58
	s_wait_dscnt 0x1
	v_dual_add_f32 v0, v1, v6 :: v_dual_add_f32 v1, v2, v7
	s_wait_dscnt 0x0
	v_add_f32_e32 v2, v5, v8
	s_cmp_eq_f32 s16, 0
	s_delay_alu instid0(VALU_DEP_2) | instskip(NEXT) | instid1(VALU_DEP_2)
	v_dual_mul_f32 v0, s12, v0 :: v_dual_mul_f32 v1, s12, v1
	v_mul_f32_e32 v2, s12, v2
	s_cbranch_scc0 .LBB86_30
; %bb.29:
	s_wait_kmcnt 0x0
	v_mad_co_u64_u32 v[5:6], null, v3, 12, s[0:1]
	s_mov_b32 s2, 0
	v_mad_co_u64_u32 v[6:7], null, v4, 12, v[6:7]
	global_store_b96 v[5:6], v[0:2], off
.LBB86_30:
	s_wait_alu 0xfffe
	s_and_not1_b32 vcc_lo, exec_lo, s2
	s_wait_alu 0xfffe
	s_cbranch_vccnz .LBB86_10
; %bb.31:
	s_wait_kmcnt 0x0
	v_mad_co_u64_u32 v[6:7], null, v3, 12, s[0:1]
	s_delay_alu instid0(VALU_DEP_1) | instskip(NEXT) | instid1(VALU_DEP_1)
	v_mov_b32_e32 v3, v7
	v_mad_co_u64_u32 v[3:4], null, v4, 12, v[3:4]
	s_delay_alu instid0(VALU_DEP_1)
	v_mov_b32_e32 v7, v3
	global_load_b96 v[3:5], v[6:7], off
	s_wait_loadcnt 0x0
	v_dual_fmac_f32 v0, s16, v3 :: v_dual_fmac_f32 v1, s16, v4
	v_fmac_f32_e32 v2, s16, v5
	global_store_b96 v[6:7], v[0:2], off
	s_endpgm
	.section	.rodata,"a",@progbits
	.p2align	6, 0x0
	.amdhsa_kernel _ZN9rocsparseL18bsrxmvn_3x3_kernelILj256ELj8EfllaafEEvT3_20rocsparse_direction_NS_24const_host_device_scalarIT1_EES1_PKS1_PKT2_SA_S7_PKT4_PKT5_S5_PT6_21rocsparse_index_base_b
		.amdhsa_group_segment_fixed_size 0
		.amdhsa_private_segment_fixed_size 0
		.amdhsa_kernarg_size 104
		.amdhsa_user_sgpr_count 2
		.amdhsa_user_sgpr_dispatch_ptr 0
		.amdhsa_user_sgpr_queue_ptr 0
		.amdhsa_user_sgpr_kernarg_segment_ptr 1
		.amdhsa_user_sgpr_dispatch_id 0
		.amdhsa_user_sgpr_private_segment_size 0
		.amdhsa_wavefront_size32 1
		.amdhsa_uses_dynamic_stack 0
		.amdhsa_enable_private_segment 0
		.amdhsa_system_sgpr_workgroup_id_x 1
		.amdhsa_system_sgpr_workgroup_id_y 0
		.amdhsa_system_sgpr_workgroup_id_z 0
		.amdhsa_system_sgpr_workgroup_info 0
		.amdhsa_system_vgpr_workitem_id 0
		.amdhsa_next_free_vgpr 32
		.amdhsa_next_free_sgpr 18
		.amdhsa_reserve_vcc 1
		.amdhsa_float_round_mode_32 0
		.amdhsa_float_round_mode_16_64 0
		.amdhsa_float_denorm_mode_32 3
		.amdhsa_float_denorm_mode_16_64 3
		.amdhsa_fp16_overflow 0
		.amdhsa_workgroup_processor_mode 1
		.amdhsa_memory_ordered 1
		.amdhsa_forward_progress 1
		.amdhsa_inst_pref_size 16
		.amdhsa_round_robin_scheduling 0
		.amdhsa_exception_fp_ieee_invalid_op 0
		.amdhsa_exception_fp_denorm_src 0
		.amdhsa_exception_fp_ieee_div_zero 0
		.amdhsa_exception_fp_ieee_overflow 0
		.amdhsa_exception_fp_ieee_underflow 0
		.amdhsa_exception_fp_ieee_inexact 0
		.amdhsa_exception_int_div_zero 0
	.end_amdhsa_kernel
	.section	.text._ZN9rocsparseL18bsrxmvn_3x3_kernelILj256ELj8EfllaafEEvT3_20rocsparse_direction_NS_24const_host_device_scalarIT1_EES1_PKS1_PKT2_SA_S7_PKT4_PKT5_S5_PT6_21rocsparse_index_base_b,"axG",@progbits,_ZN9rocsparseL18bsrxmvn_3x3_kernelILj256ELj8EfllaafEEvT3_20rocsparse_direction_NS_24const_host_device_scalarIT1_EES1_PKS1_PKT2_SA_S7_PKT4_PKT5_S5_PT6_21rocsparse_index_base_b,comdat
.Lfunc_end86:
	.size	_ZN9rocsparseL18bsrxmvn_3x3_kernelILj256ELj8EfllaafEEvT3_20rocsparse_direction_NS_24const_host_device_scalarIT1_EES1_PKS1_PKT2_SA_S7_PKT4_PKT5_S5_PT6_21rocsparse_index_base_b, .Lfunc_end86-_ZN9rocsparseL18bsrxmvn_3x3_kernelILj256ELj8EfllaafEEvT3_20rocsparse_direction_NS_24const_host_device_scalarIT1_EES1_PKS1_PKT2_SA_S7_PKT4_PKT5_S5_PT6_21rocsparse_index_base_b
                                        ; -- End function
	.set _ZN9rocsparseL18bsrxmvn_3x3_kernelILj256ELj8EfllaafEEvT3_20rocsparse_direction_NS_24const_host_device_scalarIT1_EES1_PKS1_PKT2_SA_S7_PKT4_PKT5_S5_PT6_21rocsparse_index_base_b.num_vgpr, 32
	.set _ZN9rocsparseL18bsrxmvn_3x3_kernelILj256ELj8EfllaafEEvT3_20rocsparse_direction_NS_24const_host_device_scalarIT1_EES1_PKS1_PKT2_SA_S7_PKT4_PKT5_S5_PT6_21rocsparse_index_base_b.num_agpr, 0
	.set _ZN9rocsparseL18bsrxmvn_3x3_kernelILj256ELj8EfllaafEEvT3_20rocsparse_direction_NS_24const_host_device_scalarIT1_EES1_PKS1_PKT2_SA_S7_PKT4_PKT5_S5_PT6_21rocsparse_index_base_b.numbered_sgpr, 18
	.set _ZN9rocsparseL18bsrxmvn_3x3_kernelILj256ELj8EfllaafEEvT3_20rocsparse_direction_NS_24const_host_device_scalarIT1_EES1_PKS1_PKT2_SA_S7_PKT4_PKT5_S5_PT6_21rocsparse_index_base_b.num_named_barrier, 0
	.set _ZN9rocsparseL18bsrxmvn_3x3_kernelILj256ELj8EfllaafEEvT3_20rocsparse_direction_NS_24const_host_device_scalarIT1_EES1_PKS1_PKT2_SA_S7_PKT4_PKT5_S5_PT6_21rocsparse_index_base_b.private_seg_size, 0
	.set _ZN9rocsparseL18bsrxmvn_3x3_kernelILj256ELj8EfllaafEEvT3_20rocsparse_direction_NS_24const_host_device_scalarIT1_EES1_PKS1_PKT2_SA_S7_PKT4_PKT5_S5_PT6_21rocsparse_index_base_b.uses_vcc, 1
	.set _ZN9rocsparseL18bsrxmvn_3x3_kernelILj256ELj8EfllaafEEvT3_20rocsparse_direction_NS_24const_host_device_scalarIT1_EES1_PKS1_PKT2_SA_S7_PKT4_PKT5_S5_PT6_21rocsparse_index_base_b.uses_flat_scratch, 0
	.set _ZN9rocsparseL18bsrxmvn_3x3_kernelILj256ELj8EfllaafEEvT3_20rocsparse_direction_NS_24const_host_device_scalarIT1_EES1_PKS1_PKT2_SA_S7_PKT4_PKT5_S5_PT6_21rocsparse_index_base_b.has_dyn_sized_stack, 0
	.set _ZN9rocsparseL18bsrxmvn_3x3_kernelILj256ELj8EfllaafEEvT3_20rocsparse_direction_NS_24const_host_device_scalarIT1_EES1_PKS1_PKT2_SA_S7_PKT4_PKT5_S5_PT6_21rocsparse_index_base_b.has_recursion, 0
	.set _ZN9rocsparseL18bsrxmvn_3x3_kernelILj256ELj8EfllaafEEvT3_20rocsparse_direction_NS_24const_host_device_scalarIT1_EES1_PKS1_PKT2_SA_S7_PKT4_PKT5_S5_PT6_21rocsparse_index_base_b.has_indirect_call, 0
	.section	.AMDGPU.csdata,"",@progbits
; Kernel info:
; codeLenInByte = 1996
; TotalNumSgprs: 20
; NumVgprs: 32
; ScratchSize: 0
; MemoryBound: 0
; FloatMode: 240
; IeeeMode: 1
; LDSByteSize: 0 bytes/workgroup (compile time only)
; SGPRBlocks: 0
; VGPRBlocks: 3
; NumSGPRsForWavesPerEU: 20
; NumVGPRsForWavesPerEU: 32
; Occupancy: 16
; WaveLimiterHint : 1
; COMPUTE_PGM_RSRC2:SCRATCH_EN: 0
; COMPUTE_PGM_RSRC2:USER_SGPR: 2
; COMPUTE_PGM_RSRC2:TRAP_HANDLER: 0
; COMPUTE_PGM_RSRC2:TGID_X_EN: 1
; COMPUTE_PGM_RSRC2:TGID_Y_EN: 0
; COMPUTE_PGM_RSRC2:TGID_Z_EN: 0
; COMPUTE_PGM_RSRC2:TIDIG_COMP_CNT: 0
	.section	.text._ZN9rocsparseL18bsrxmvn_3x3_kernelILj256ELj16EfllaafEEvT3_20rocsparse_direction_NS_24const_host_device_scalarIT1_EES1_PKS1_PKT2_SA_S7_PKT4_PKT5_S5_PT6_21rocsparse_index_base_b,"axG",@progbits,_ZN9rocsparseL18bsrxmvn_3x3_kernelILj256ELj16EfllaafEEvT3_20rocsparse_direction_NS_24const_host_device_scalarIT1_EES1_PKS1_PKT2_SA_S7_PKT4_PKT5_S5_PT6_21rocsparse_index_base_b,comdat
	.globl	_ZN9rocsparseL18bsrxmvn_3x3_kernelILj256ELj16EfllaafEEvT3_20rocsparse_direction_NS_24const_host_device_scalarIT1_EES1_PKS1_PKT2_SA_S7_PKT4_PKT5_S5_PT6_21rocsparse_index_base_b ; -- Begin function _ZN9rocsparseL18bsrxmvn_3x3_kernelILj256ELj16EfllaafEEvT3_20rocsparse_direction_NS_24const_host_device_scalarIT1_EES1_PKS1_PKT2_SA_S7_PKT4_PKT5_S5_PT6_21rocsparse_index_base_b
	.p2align	8
	.type	_ZN9rocsparseL18bsrxmvn_3x3_kernelILj256ELj16EfllaafEEvT3_20rocsparse_direction_NS_24const_host_device_scalarIT1_EES1_PKS1_PKT2_SA_S7_PKT4_PKT5_S5_PT6_21rocsparse_index_base_b,@function
_ZN9rocsparseL18bsrxmvn_3x3_kernelILj256ELj16EfllaafEEvT3_20rocsparse_direction_NS_24const_host_device_scalarIT1_EES1_PKS1_PKT2_SA_S7_PKT4_PKT5_S5_PT6_21rocsparse_index_base_b: ; @_ZN9rocsparseL18bsrxmvn_3x3_kernelILj256ELj16EfllaafEEvT3_20rocsparse_direction_NS_24const_host_device_scalarIT1_EES1_PKS1_PKT2_SA_S7_PKT4_PKT5_S5_PT6_21rocsparse_index_base_b
; %bb.0:
	s_clause 0x2
	s_load_b64 s[2:3], s[0:1], 0x60
	s_load_b128 s[12:15], s[0:1], 0x10
	s_load_b64 s[16:17], s[0:1], 0x50
	s_wait_kmcnt 0x0
	s_bitcmp1_b32 s3, 0
	s_cselect_b32 s3, -1, 0
	s_delay_alu instid0(SALU_CYCLE_1)
	s_and_b32 vcc_lo, exec_lo, s3
	s_xor_b32 s3, s3, -1
	s_cbranch_vccnz .LBB87_2
; %bb.1:
	s_load_b32 s12, s[12:13], 0x0
.LBB87_2:
	s_and_not1_b32 vcc_lo, exec_lo, s3
	s_cbranch_vccnz .LBB87_4
; %bb.3:
	s_load_b32 s16, s[16:17], 0x0
.LBB87_4:
	s_wait_kmcnt 0x0
	s_cmp_neq_f32 s12, 0
	s_mov_b32 s6, 0
	s_cselect_b32 s3, -1, 0
	s_cmp_neq_f32 s16, 1.0
	s_cselect_b32 s4, -1, 0
	s_delay_alu instid0(SALU_CYCLE_1) | instskip(NEXT) | instid1(SALU_CYCLE_1)
	s_or_b32 s3, s3, s4
	s_and_not1_b32 vcc_lo, exec_lo, s3
	s_cbranch_vccnz .LBB87_10
; %bb.5:
	s_load_b64 s[4:5], s[0:1], 0x20
	v_lshrrev_b32_e32 v1, 4, v0
	v_mov_b32_e32 v6, 0
	s_delay_alu instid0(VALU_DEP_2)
	v_lshl_or_b32 v5, ttmp9, 4, v1
	s_wait_kmcnt 0x0
	s_cmp_lg_u64 s[4:5], 0
	s_cbranch_scc0 .LBB87_11
; %bb.6:
	s_mov_b32 s7, 0
                                        ; implicit-def: $vgpr3_vgpr4
                                        ; implicit-def: $vgpr1_vgpr2
	s_mov_b32 s3, exec_lo
	v_cmpx_gt_i64_e64 s[14:15], v[5:6]
	s_xor_b32 s8, exec_lo, s3
	s_cbranch_execz .LBB87_8
; %bb.7:
	v_lshlrev_b64_e32 v[1:2], 3, v[5:6]
	s_mov_b32 s3, 0
	s_mov_b32 s6, exec_lo
	s_delay_alu instid0(VALU_DEP_1) | instskip(NEXT) | instid1(VALU_DEP_1)
	v_add_co_u32 v1, vcc_lo, s4, v1
	v_add_co_ci_u32_e64 v2, null, s5, v2, vcc_lo
	global_load_b64 v[1:2], v[1:2], off
	s_wait_loadcnt 0x0
	v_sub_co_u32 v3, vcc_lo, v1, s2
	s_wait_alu 0xfffd
	v_subrev_co_ci_u32_e64 v4, null, 0, v2, vcc_lo
	v_dual_mov_b32 v1, s2 :: v_dual_mov_b32 v2, s3
.LBB87_8:
	s_or_b32 exec_lo, exec_lo, s8
	s_delay_alu instid0(SALU_CYCLE_1)
	s_and_b32 vcc_lo, exec_lo, s7
	s_wait_alu 0xfffe
	s_cbranch_vccnz .LBB87_12
.LBB87_9:
	s_and_saveexec_b32 s2, s6
	s_cbranch_execnz .LBB87_15
.LBB87_10:
	s_endpgm
.LBB87_11:
                                        ; implicit-def: $vgpr3_vgpr4
                                        ; implicit-def: $vgpr1_vgpr2
	s_cbranch_execz .LBB87_9
.LBB87_12:
	s_load_b64 s[4:5], s[0:1], 0x0
	s_wait_kmcnt 0x0
	v_cmp_gt_i64_e32 vcc_lo, s[4:5], v[5:6]
	s_and_saveexec_b32 s4, vcc_lo
; %bb.13:
	s_mov_b32 s3, 0
	s_or_b32 s6, s6, exec_lo
; %bb.14:
	s_wait_alu 0xfffe
	s_or_b32 exec_lo, exec_lo, s4
	v_dual_mov_b32 v1, s2 :: v_dual_mov_b32 v2, s3
	v_dual_mov_b32 v3, v5 :: v_dual_mov_b32 v4, v6
	s_and_saveexec_b32 s2, s6
	s_cbranch_execz .LBB87_10
.LBB87_15:
	s_load_b256 s[4:11], s[0:1], 0x28
	s_delay_alu instid0(VALU_DEP_1) | instskip(SKIP_2) | instid1(VALU_DEP_2)
	v_lshlrev_b64_e32 v[5:6], 3, v[3:4]
	v_dual_mov_b32 v17, 0 :: v_dual_and_b32 v0, 15, v0
	s_wait_kmcnt 0x0
	v_add_co_u32 v7, vcc_lo, s4, v5
	s_wait_alu 0xfffd
	s_delay_alu instid0(VALU_DEP_3)
	v_add_co_ci_u32_e64 v8, null, s5, v6, vcc_lo
	v_add_co_u32 v5, vcc_lo, s6, v5
	s_wait_alu 0xfffd
	v_add_co_ci_u32_e64 v6, null, s7, v6, vcc_lo
	global_load_b64 v[9:10], v[7:8], off
	v_add_co_u32 v7, vcc_lo, v7, 8
	s_wait_alu 0xfffd
	v_add_co_ci_u32_e64 v8, null, 0, v8, vcc_lo
	s_cmp_eq_u64 s[6:7], 0
	s_cselect_b32 vcc_lo, -1, 0
	s_wait_alu 0xfffe
	v_dual_cndmask_b32 v6, v6, v8 :: v_dual_cndmask_b32 v5, v5, v7
	global_load_b64 v[11:12], v[5:6], off
	s_clause 0x1
	s_load_b32 s3, s[0:1], 0x8
	s_load_b64 s[4:5], s[0:1], 0x48
	s_wait_kmcnt 0x0
	s_cmp_eq_u32 s3, 1
	s_wait_loadcnt 0x1
	v_sub_co_u32 v5, vcc_lo, v9, v1
	s_wait_alu 0xfffd
	v_sub_co_ci_u32_e64 v6, null, v10, v2, vcc_lo
	s_delay_alu instid0(VALU_DEP_2) | instskip(SKIP_1) | instid1(VALU_DEP_2)
	v_add_co_u32 v5, vcc_lo, v5, v0
	s_wait_alu 0xfffd
	v_add_co_ci_u32_e64 v6, null, 0, v6, vcc_lo
	s_delay_alu instid0(VALU_DEP_2) | instskip(NEXT) | instid1(VALU_DEP_1)
	v_mad_co_u64_u32 v[7:8], null, v5, 9, s[10:11]
	v_mad_co_u64_u32 v[8:9], null, v6, 9, v[8:9]
	s_wait_loadcnt 0x0
	v_sub_co_u32 v9, vcc_lo, v11, v1
	s_wait_alu 0xfffd
	v_sub_co_ci_u32_e64 v10, null, v12, v2, vcc_lo
	s_delay_alu instid0(VALU_DEP_1)
	v_cmp_lt_i64_e64 s2, v[5:6], v[9:10]
	s_cbranch_scc1 .LBB87_21
; %bb.16:
	v_dual_mov_b32 v18, 0 :: v_dual_mov_b32 v19, 0
	s_and_saveexec_b32 s6, s2
	s_cbranch_execz .LBB87_20
; %bb.17:
	v_lshlrev_b64_e32 v[13:14], 3, v[5:6]
	v_dual_mov_b32 v17, 0 :: v_dual_mov_b32 v12, v8
	v_dual_mov_b32 v11, v7 :: v_dual_mov_b32 v16, v6
	;; [unrolled: 1-line block ×3, first 2 shown]
	s_delay_alu instid0(VALU_DEP_4)
	v_add_co_u32 v13, vcc_lo, s8, v13
	s_wait_alu 0xfffd
	v_add_co_ci_u32_e64 v14, null, s9, v14, vcc_lo
	v_mov_b32_e32 v19, 0
	s_mov_b32 s7, 0
.LBB87_18:                              ; =>This Inner Loop Header: Depth=1
	global_load_b64 v[20:21], v[13:14], off
	global_load_b64 v[22:23], v[11:12], off
	s_wait_loadcnt 0x1
	v_sub_co_u32 v20, vcc_lo, v20, v1
	s_wait_alu 0xfffd
	v_sub_co_ci_u32_e64 v24, null, v21, v2, vcc_lo
	s_wait_loadcnt 0x0
	v_bfe_i32 v26, v22, 8, 8
	v_mad_co_u64_u32 v[20:21], null, v20, 3, s[4:5]
	v_bfe_i32 v27, v22, 16, 8
	v_bfe_i32 v30, v23, 16, 8
	;; [unrolled: 1-line block ×4, first 2 shown]
	v_ashrrev_i32_e32 v23, 24, v23
	v_add_co_u32 v15, vcc_lo, v15, 16
	v_mad_co_u64_u32 v[24:25], null, v24, 3, v[21:22]
	v_bfe_i32 v25, v22, 0, 8
	v_ashrrev_i32_e32 v22, 24, v22
	v_cvt_f32_i32_e32 v30, v30
	v_cvt_f32_i32_e32 v26, v26
	;; [unrolled: 1-line block ×5, first 2 shown]
	v_mov_b32_e32 v21, v24
	v_cvt_f32_i32_e32 v23, v23
	s_wait_alu 0xfffd
	v_add_co_ci_u32_e64 v16, null, 0, v16, vcc_lo
	s_clause 0x1
	global_load_i8 v24, v[20:21], off offset:2
	global_load_u16 v20, v[20:21], off
	global_load_i8 v21, v[11:12], off offset:8
	v_cvt_f32_i32_e32 v27, v27
	v_add_co_u32 v11, vcc_lo, 0x90, v11
	v_cmp_ge_i64_e64 s3, v[15:16], v[9:10]
	s_wait_alu 0xfffd
	v_add_co_ci_u32_e64 v12, null, 0, v12, vcc_lo
	v_add_co_u32 v13, vcc_lo, 0x80, v13
	s_wait_alu 0xfffd
	v_add_co_ci_u32_e64 v14, null, 0, v14, vcc_lo
	s_wait_alu 0xfffe
	s_or_b32 s7, s3, s7
	s_wait_loadcnt 0x2
	v_cvt_f32_i32_e32 v24, v24
	s_wait_loadcnt 0x1
	v_bfe_i32 v31, v20, 0, 8
	v_bfe_i32 v20, v20, 8, 8
	s_wait_loadcnt 0x0
	v_cvt_f32_i32_e32 v21, v21
	s_delay_alu instid0(VALU_DEP_3) | instskip(NEXT) | instid1(VALU_DEP_3)
	v_bfe_i32 v31, v31, 0, 16
	v_cvt_f32_i32_e32 v20, v20
	s_delay_alu instid0(VALU_DEP_2) | instskip(NEXT) | instid1(VALU_DEP_1)
	v_cvt_f32_i32_e32 v31, v31
	v_fmac_f32_e32 v18, v22, v31
	v_fmac_f32_e32 v19, v25, v31
	;; [unrolled: 1-line block ×3, first 2 shown]
	v_cvt_f32_i32_e32 v22, v29
	s_delay_alu instid0(VALU_DEP_4) | instskip(NEXT) | instid1(VALU_DEP_4)
	v_fmac_f32_e32 v18, v28, v20
	v_fmac_f32_e32 v19, v26, v20
	s_delay_alu instid0(VALU_DEP_4) | instskip(NEXT) | instid1(VALU_DEP_3)
	v_fmac_f32_e32 v17, v23, v20
	v_fmac_f32_e32 v18, v22, v24
	s_delay_alu instid0(VALU_DEP_3) | instskip(NEXT) | instid1(VALU_DEP_3)
	v_fmac_f32_e32 v19, v27, v24
	v_fmac_f32_e32 v17, v21, v24
	s_wait_alu 0xfffe
	s_and_not1_b32 exec_lo, exec_lo, s7
	s_cbranch_execnz .LBB87_18
; %bb.19:
	s_or_b32 exec_lo, exec_lo, s7
.LBB87_20:
	s_wait_alu 0xfffe
	s_or_b32 exec_lo, exec_lo, s6
	s_cbranch_execz .LBB87_22
	s_branch .LBB87_27
.LBB87_21:
                                        ; implicit-def: $vgpr17
                                        ; implicit-def: $vgpr18
                                        ; implicit-def: $vgpr19
.LBB87_22:
	v_dual_mov_b32 v17, 0 :: v_dual_mov_b32 v18, 0
	v_mov_b32_e32 v19, 0
	s_and_saveexec_b32 s3, s2
	s_cbranch_execz .LBB87_26
; %bb.23:
	v_lshlrev_b64_e32 v[11:12], 3, v[5:6]
	v_dual_mov_b32 v17, 0 :: v_dual_mov_b32 v18, 0
	v_mov_b32_e32 v19, 0
	s_mov_b32 s6, 0
	s_delay_alu instid0(VALU_DEP_3)
	v_add_co_u32 v11, vcc_lo, s8, v11
	s_wait_alu 0xfffd
	v_add_co_ci_u32_e64 v12, null, s9, v12, vcc_lo
.LBB87_24:                              ; =>This Inner Loop Header: Depth=1
	global_load_b64 v[13:14], v[11:12], off
	global_load_b64 v[15:16], v[7:8], off
	s_wait_loadcnt 0x1
	v_sub_co_u32 v13, vcc_lo, v13, v1
	s_wait_alu 0xfffd
	v_sub_co_ci_u32_e64 v20, null, v14, v2, vcc_lo
	s_wait_loadcnt 0x0
	v_bfe_i32 v22, v15, 8, 8
	v_mad_co_u64_u32 v[13:14], null, v13, 3, s[4:5]
	v_bfe_i32 v23, v15, 16, 8
	v_bfe_i32 v24, v16, 0, 8
	v_bfe_i32 v25, v16, 8, 8
	v_cvt_f32_i32_e32 v22, v22
	v_add_co_u32 v5, vcc_lo, v5, 16
	v_mad_co_u64_u32 v[20:21], null, v20, 3, v[14:15]
	v_bfe_i32 v21, v15, 0, 8
	v_ashrrev_i32_e32 v15, 24, v15
	v_cvt_f32_i32_e32 v23, v23
	v_bfe_i32 v26, v16, 16, 8
	v_ashrrev_i32_e32 v16, 24, v16
	v_cvt_f32_i32_e32 v21, v21
	v_mov_b32_e32 v14, v20
	v_cvt_f32_i32_e32 v15, v15
	v_cvt_f32_i32_e32 v24, v24
	v_cvt_f32_i32_e32 v25, v25
	s_wait_alu 0xfffd
	v_add_co_ci_u32_e64 v6, null, 0, v6, vcc_lo
	s_clause 0x1
	global_load_i8 v20, v[13:14], off offset:2
	global_load_u16 v13, v[13:14], off
	global_load_i8 v14, v[7:8], off offset:8
	v_cvt_f32_i32_e32 v26, v26
	v_cvt_f32_i32_e32 v16, v16
	v_add_co_u32 v7, vcc_lo, 0x90, v7
	v_cmp_ge_i64_e64 s2, v[5:6], v[9:10]
	s_wait_alu 0xfffd
	v_add_co_ci_u32_e64 v8, null, 0, v8, vcc_lo
	v_add_co_u32 v11, vcc_lo, 0x80, v11
	s_wait_alu 0xfffd
	v_add_co_ci_u32_e64 v12, null, 0, v12, vcc_lo
	s_wait_alu 0xfffe
	s_or_b32 s6, s2, s6
	s_wait_loadcnt 0x2
	v_cvt_f32_i32_e32 v20, v20
	s_wait_loadcnt 0x1
	v_bfe_i32 v27, v13, 0, 8
	v_bfe_i32 v13, v13, 8, 8
	s_wait_loadcnt 0x0
	v_cvt_f32_i32_e32 v14, v14
	s_delay_alu instid0(VALU_DEP_3) | instskip(NEXT) | instid1(VALU_DEP_3)
	v_bfe_i32 v27, v27, 0, 16
	v_cvt_f32_i32_e32 v13, v13
	s_delay_alu instid0(VALU_DEP_2) | instskip(NEXT) | instid1(VALU_DEP_1)
	v_cvt_f32_i32_e32 v27, v27
	v_fmac_f32_e32 v19, v21, v27
	s_delay_alu instid0(VALU_DEP_1) | instskip(NEXT) | instid1(VALU_DEP_1)
	v_dual_fmac_f32 v18, v22, v27 :: v_dual_fmac_f32 v19, v15, v13
	v_dual_fmac_f32 v17, v23, v27 :: v_dual_fmac_f32 v18, v24, v13
	s_delay_alu instid0(VALU_DEP_2) | instskip(NEXT) | instid1(VALU_DEP_2)
	v_fmac_f32_e32 v19, v26, v20
	v_dual_fmac_f32 v17, v25, v13 :: v_dual_fmac_f32 v18, v16, v20
	s_delay_alu instid0(VALU_DEP_1)
	v_fmac_f32_e32 v17, v14, v20
	s_wait_alu 0xfffe
	s_and_not1_b32 exec_lo, exec_lo, s6
	s_cbranch_execnz .LBB87_24
; %bb.25:
	s_or_b32 exec_lo, exec_lo, s6
.LBB87_26:
	s_wait_alu 0xfffe
	s_or_b32 exec_lo, exec_lo, s3
.LBB87_27:
	v_mbcnt_lo_u32_b32 v1, -1, 0
	s_mov_b32 s2, -1
	s_delay_alu instid0(VALU_DEP_1) | instskip(SKIP_2) | instid1(VALU_DEP_3)
	v_xor_b32_e32 v2, 8, v1
	v_xor_b32_e32 v7, 4, v1
	v_xor_b32_e32 v10, 2, v1
	v_cmp_gt_i32_e32 vcc_lo, 32, v2
	s_wait_alu 0xfffd
	v_cndmask_b32_e32 v2, v1, v2, vcc_lo
	v_cmp_gt_i32_e32 vcc_lo, 32, v7
	s_wait_alu 0xfffd
	v_cndmask_b32_e32 v7, v1, v7, vcc_lo
	v_cmp_gt_i32_e32 vcc_lo, 32, v10
	s_delay_alu instid0(VALU_DEP_2)
	v_lshlrev_b32_e32 v7, 2, v7
	v_lshlrev_b32_e32 v2, 2, v2
	ds_bpermute_b32 v5, v2, v19
	s_wait_dscnt 0x0
	v_add_f32_e32 v5, v19, v5
	ds_bpermute_b32 v6, v2, v18
	ds_bpermute_b32 v2, v2, v17
	;; [unrolled: 1-line block ×3, first 2 shown]
	s_wait_dscnt 0x2
	v_add_f32_e32 v6, v18, v6
	s_wait_dscnt 0x1
	v_add_f32_e32 v2, v17, v2
	;; [unrolled: 2-line block ×3, first 2 shown]
	ds_bpermute_b32 v9, v7, v6
	ds_bpermute_b32 v7, v7, v2
	s_wait_alu 0xfffd
	v_cndmask_b32_e32 v10, v1, v10, vcc_lo
	s_wait_dscnt 0x1
	v_add_f32_e32 v6, v6, v9
	s_wait_dscnt 0x0
	s_delay_alu instid0(VALU_DEP_2) | instskip(SKIP_4) | instid1(VALU_DEP_1)
	v_dual_add_f32 v7, v2, v7 :: v_dual_lshlrev_b32 v10, 2, v10
	ds_bpermute_b32 v2, v10, v5
	ds_bpermute_b32 v8, v10, v6
	;; [unrolled: 1-line block ×3, first 2 shown]
	v_xor_b32_e32 v10, 1, v1
	v_cmp_gt_i32_e32 vcc_lo, 32, v10
	s_wait_alu 0xfffd
	v_cndmask_b32_e32 v1, v1, v10, vcc_lo
	v_cmp_eq_u32_e32 vcc_lo, 15, v0
	s_wait_dscnt 0x2
	s_delay_alu instid0(VALU_DEP_2)
	v_dual_add_f32 v1, v5, v2 :: v_dual_lshlrev_b32 v10, 2, v1
	s_wait_dscnt 0x0
	v_dual_add_f32 v2, v6, v8 :: v_dual_add_f32 v5, v7, v9
	ds_bpermute_b32 v6, v10, v1
	ds_bpermute_b32 v7, v10, v2
	;; [unrolled: 1-line block ×3, first 2 shown]
	s_and_b32 exec_lo, exec_lo, vcc_lo
	s_cbranch_execz .LBB87_10
; %bb.28:
	s_load_b64 s[0:1], s[0:1], 0x58
	s_wait_dscnt 0x1
	v_dual_add_f32 v0, v1, v6 :: v_dual_add_f32 v1, v2, v7
	s_wait_dscnt 0x0
	v_add_f32_e32 v2, v5, v8
	s_cmp_eq_f32 s16, 0
	s_delay_alu instid0(VALU_DEP_2) | instskip(NEXT) | instid1(VALU_DEP_2)
	v_dual_mul_f32 v0, s12, v0 :: v_dual_mul_f32 v1, s12, v1
	v_mul_f32_e32 v2, s12, v2
	s_cbranch_scc0 .LBB87_30
; %bb.29:
	s_wait_kmcnt 0x0
	v_mad_co_u64_u32 v[5:6], null, v3, 12, s[0:1]
	s_mov_b32 s2, 0
	v_mad_co_u64_u32 v[6:7], null, v4, 12, v[6:7]
	global_store_b96 v[5:6], v[0:2], off
.LBB87_30:
	s_wait_alu 0xfffe
	s_and_not1_b32 vcc_lo, exec_lo, s2
	s_wait_alu 0xfffe
	s_cbranch_vccnz .LBB87_10
; %bb.31:
	s_wait_kmcnt 0x0
	v_mad_co_u64_u32 v[6:7], null, v3, 12, s[0:1]
	s_delay_alu instid0(VALU_DEP_1) | instskip(NEXT) | instid1(VALU_DEP_1)
	v_mov_b32_e32 v3, v7
	v_mad_co_u64_u32 v[3:4], null, v4, 12, v[3:4]
	s_delay_alu instid0(VALU_DEP_1)
	v_mov_b32_e32 v7, v3
	global_load_b96 v[3:5], v[6:7], off
	s_wait_loadcnt 0x0
	v_dual_fmac_f32 v0, s16, v3 :: v_dual_fmac_f32 v1, s16, v4
	v_fmac_f32_e32 v2, s16, v5
	global_store_b96 v[6:7], v[0:2], off
	s_endpgm
	.section	.rodata,"a",@progbits
	.p2align	6, 0x0
	.amdhsa_kernel _ZN9rocsparseL18bsrxmvn_3x3_kernelILj256ELj16EfllaafEEvT3_20rocsparse_direction_NS_24const_host_device_scalarIT1_EES1_PKS1_PKT2_SA_S7_PKT4_PKT5_S5_PT6_21rocsparse_index_base_b
		.amdhsa_group_segment_fixed_size 0
		.amdhsa_private_segment_fixed_size 0
		.amdhsa_kernarg_size 104
		.amdhsa_user_sgpr_count 2
		.amdhsa_user_sgpr_dispatch_ptr 0
		.amdhsa_user_sgpr_queue_ptr 0
		.amdhsa_user_sgpr_kernarg_segment_ptr 1
		.amdhsa_user_sgpr_dispatch_id 0
		.amdhsa_user_sgpr_private_segment_size 0
		.amdhsa_wavefront_size32 1
		.amdhsa_uses_dynamic_stack 0
		.amdhsa_enable_private_segment 0
		.amdhsa_system_sgpr_workgroup_id_x 1
		.amdhsa_system_sgpr_workgroup_id_y 0
		.amdhsa_system_sgpr_workgroup_id_z 0
		.amdhsa_system_sgpr_workgroup_info 0
		.amdhsa_system_vgpr_workitem_id 0
		.amdhsa_next_free_vgpr 32
		.amdhsa_next_free_sgpr 18
		.amdhsa_reserve_vcc 1
		.amdhsa_float_round_mode_32 0
		.amdhsa_float_round_mode_16_64 0
		.amdhsa_float_denorm_mode_32 3
		.amdhsa_float_denorm_mode_16_64 3
		.amdhsa_fp16_overflow 0
		.amdhsa_workgroup_processor_mode 1
		.amdhsa_memory_ordered 1
		.amdhsa_forward_progress 1
		.amdhsa_inst_pref_size 17
		.amdhsa_round_robin_scheduling 0
		.amdhsa_exception_fp_ieee_invalid_op 0
		.amdhsa_exception_fp_denorm_src 0
		.amdhsa_exception_fp_ieee_div_zero 0
		.amdhsa_exception_fp_ieee_overflow 0
		.amdhsa_exception_fp_ieee_underflow 0
		.amdhsa_exception_fp_ieee_inexact 0
		.amdhsa_exception_int_div_zero 0
	.end_amdhsa_kernel
	.section	.text._ZN9rocsparseL18bsrxmvn_3x3_kernelILj256ELj16EfllaafEEvT3_20rocsparse_direction_NS_24const_host_device_scalarIT1_EES1_PKS1_PKT2_SA_S7_PKT4_PKT5_S5_PT6_21rocsparse_index_base_b,"axG",@progbits,_ZN9rocsparseL18bsrxmvn_3x3_kernelILj256ELj16EfllaafEEvT3_20rocsparse_direction_NS_24const_host_device_scalarIT1_EES1_PKS1_PKT2_SA_S7_PKT4_PKT5_S5_PT6_21rocsparse_index_base_b,comdat
.Lfunc_end87:
	.size	_ZN9rocsparseL18bsrxmvn_3x3_kernelILj256ELj16EfllaafEEvT3_20rocsparse_direction_NS_24const_host_device_scalarIT1_EES1_PKS1_PKT2_SA_S7_PKT4_PKT5_S5_PT6_21rocsparse_index_base_b, .Lfunc_end87-_ZN9rocsparseL18bsrxmvn_3x3_kernelILj256ELj16EfllaafEEvT3_20rocsparse_direction_NS_24const_host_device_scalarIT1_EES1_PKS1_PKT2_SA_S7_PKT4_PKT5_S5_PT6_21rocsparse_index_base_b
                                        ; -- End function
	.set _ZN9rocsparseL18bsrxmvn_3x3_kernelILj256ELj16EfllaafEEvT3_20rocsparse_direction_NS_24const_host_device_scalarIT1_EES1_PKS1_PKT2_SA_S7_PKT4_PKT5_S5_PT6_21rocsparse_index_base_b.num_vgpr, 32
	.set _ZN9rocsparseL18bsrxmvn_3x3_kernelILj256ELj16EfllaafEEvT3_20rocsparse_direction_NS_24const_host_device_scalarIT1_EES1_PKS1_PKT2_SA_S7_PKT4_PKT5_S5_PT6_21rocsparse_index_base_b.num_agpr, 0
	.set _ZN9rocsparseL18bsrxmvn_3x3_kernelILj256ELj16EfllaafEEvT3_20rocsparse_direction_NS_24const_host_device_scalarIT1_EES1_PKS1_PKT2_SA_S7_PKT4_PKT5_S5_PT6_21rocsparse_index_base_b.numbered_sgpr, 18
	.set _ZN9rocsparseL18bsrxmvn_3x3_kernelILj256ELj16EfllaafEEvT3_20rocsparse_direction_NS_24const_host_device_scalarIT1_EES1_PKS1_PKT2_SA_S7_PKT4_PKT5_S5_PT6_21rocsparse_index_base_b.num_named_barrier, 0
	.set _ZN9rocsparseL18bsrxmvn_3x3_kernelILj256ELj16EfllaafEEvT3_20rocsparse_direction_NS_24const_host_device_scalarIT1_EES1_PKS1_PKT2_SA_S7_PKT4_PKT5_S5_PT6_21rocsparse_index_base_b.private_seg_size, 0
	.set _ZN9rocsparseL18bsrxmvn_3x3_kernelILj256ELj16EfllaafEEvT3_20rocsparse_direction_NS_24const_host_device_scalarIT1_EES1_PKS1_PKT2_SA_S7_PKT4_PKT5_S5_PT6_21rocsparse_index_base_b.uses_vcc, 1
	.set _ZN9rocsparseL18bsrxmvn_3x3_kernelILj256ELj16EfllaafEEvT3_20rocsparse_direction_NS_24const_host_device_scalarIT1_EES1_PKS1_PKT2_SA_S7_PKT4_PKT5_S5_PT6_21rocsparse_index_base_b.uses_flat_scratch, 0
	.set _ZN9rocsparseL18bsrxmvn_3x3_kernelILj256ELj16EfllaafEEvT3_20rocsparse_direction_NS_24const_host_device_scalarIT1_EES1_PKS1_PKT2_SA_S7_PKT4_PKT5_S5_PT6_21rocsparse_index_base_b.has_dyn_sized_stack, 0
	.set _ZN9rocsparseL18bsrxmvn_3x3_kernelILj256ELj16EfllaafEEvT3_20rocsparse_direction_NS_24const_host_device_scalarIT1_EES1_PKS1_PKT2_SA_S7_PKT4_PKT5_S5_PT6_21rocsparse_index_base_b.has_recursion, 0
	.set _ZN9rocsparseL18bsrxmvn_3x3_kernelILj256ELj16EfllaafEEvT3_20rocsparse_direction_NS_24const_host_device_scalarIT1_EES1_PKS1_PKT2_SA_S7_PKT4_PKT5_S5_PT6_21rocsparse_index_base_b.has_indirect_call, 0
	.section	.AMDGPU.csdata,"",@progbits
; Kernel info:
; codeLenInByte = 2076
; TotalNumSgprs: 20
; NumVgprs: 32
; ScratchSize: 0
; MemoryBound: 0
; FloatMode: 240
; IeeeMode: 1
; LDSByteSize: 0 bytes/workgroup (compile time only)
; SGPRBlocks: 0
; VGPRBlocks: 3
; NumSGPRsForWavesPerEU: 20
; NumVGPRsForWavesPerEU: 32
; Occupancy: 16
; WaveLimiterHint : 1
; COMPUTE_PGM_RSRC2:SCRATCH_EN: 0
; COMPUTE_PGM_RSRC2:USER_SGPR: 2
; COMPUTE_PGM_RSRC2:TRAP_HANDLER: 0
; COMPUTE_PGM_RSRC2:TGID_X_EN: 1
; COMPUTE_PGM_RSRC2:TGID_Y_EN: 0
; COMPUTE_PGM_RSRC2:TGID_Z_EN: 0
; COMPUTE_PGM_RSRC2:TIDIG_COMP_CNT: 0
	.section	.text._ZN9rocsparseL18bsrxmvn_3x3_kernelILj256ELj32EfllaafEEvT3_20rocsparse_direction_NS_24const_host_device_scalarIT1_EES1_PKS1_PKT2_SA_S7_PKT4_PKT5_S5_PT6_21rocsparse_index_base_b,"axG",@progbits,_ZN9rocsparseL18bsrxmvn_3x3_kernelILj256ELj32EfllaafEEvT3_20rocsparse_direction_NS_24const_host_device_scalarIT1_EES1_PKS1_PKT2_SA_S7_PKT4_PKT5_S5_PT6_21rocsparse_index_base_b,comdat
	.globl	_ZN9rocsparseL18bsrxmvn_3x3_kernelILj256ELj32EfllaafEEvT3_20rocsparse_direction_NS_24const_host_device_scalarIT1_EES1_PKS1_PKT2_SA_S7_PKT4_PKT5_S5_PT6_21rocsparse_index_base_b ; -- Begin function _ZN9rocsparseL18bsrxmvn_3x3_kernelILj256ELj32EfllaafEEvT3_20rocsparse_direction_NS_24const_host_device_scalarIT1_EES1_PKS1_PKT2_SA_S7_PKT4_PKT5_S5_PT6_21rocsparse_index_base_b
	.p2align	8
	.type	_ZN9rocsparseL18bsrxmvn_3x3_kernelILj256ELj32EfllaafEEvT3_20rocsparse_direction_NS_24const_host_device_scalarIT1_EES1_PKS1_PKT2_SA_S7_PKT4_PKT5_S5_PT6_21rocsparse_index_base_b,@function
_ZN9rocsparseL18bsrxmvn_3x3_kernelILj256ELj32EfllaafEEvT3_20rocsparse_direction_NS_24const_host_device_scalarIT1_EES1_PKS1_PKT2_SA_S7_PKT4_PKT5_S5_PT6_21rocsparse_index_base_b: ; @_ZN9rocsparseL18bsrxmvn_3x3_kernelILj256ELj32EfllaafEEvT3_20rocsparse_direction_NS_24const_host_device_scalarIT1_EES1_PKS1_PKT2_SA_S7_PKT4_PKT5_S5_PT6_21rocsparse_index_base_b
; %bb.0:
	s_clause 0x2
	s_load_b64 s[2:3], s[0:1], 0x60
	s_load_b128 s[12:15], s[0:1], 0x10
	s_load_b64 s[16:17], s[0:1], 0x50
	s_wait_kmcnt 0x0
	s_bitcmp1_b32 s3, 0
	s_cselect_b32 s3, -1, 0
	s_delay_alu instid0(SALU_CYCLE_1)
	s_and_b32 vcc_lo, exec_lo, s3
	s_xor_b32 s3, s3, -1
	s_cbranch_vccnz .LBB88_2
; %bb.1:
	s_load_b32 s12, s[12:13], 0x0
.LBB88_2:
	s_and_not1_b32 vcc_lo, exec_lo, s3
	s_cbranch_vccnz .LBB88_4
; %bb.3:
	s_load_b32 s16, s[16:17], 0x0
.LBB88_4:
	s_wait_kmcnt 0x0
	s_cmp_neq_f32 s12, 0
	s_mov_b32 s6, 0
	s_cselect_b32 s3, -1, 0
	s_cmp_neq_f32 s16, 1.0
	s_cselect_b32 s4, -1, 0
	s_delay_alu instid0(SALU_CYCLE_1) | instskip(NEXT) | instid1(SALU_CYCLE_1)
	s_or_b32 s3, s3, s4
	s_and_not1_b32 vcc_lo, exec_lo, s3
	s_cbranch_vccnz .LBB88_10
; %bb.5:
	s_load_b64 s[4:5], s[0:1], 0x20
	v_lshrrev_b32_e32 v1, 5, v0
	v_mov_b32_e32 v6, 0
	s_delay_alu instid0(VALU_DEP_2)
	v_lshl_or_b32 v5, ttmp9, 3, v1
	s_wait_kmcnt 0x0
	s_cmp_lg_u64 s[4:5], 0
	s_cbranch_scc0 .LBB88_11
; %bb.6:
	s_mov_b32 s7, 0
                                        ; implicit-def: $vgpr3_vgpr4
                                        ; implicit-def: $vgpr1_vgpr2
	s_mov_b32 s3, exec_lo
	v_cmpx_gt_i64_e64 s[14:15], v[5:6]
	s_xor_b32 s8, exec_lo, s3
	s_cbranch_execz .LBB88_8
; %bb.7:
	v_lshlrev_b64_e32 v[1:2], 3, v[5:6]
	s_mov_b32 s3, 0
	s_mov_b32 s6, exec_lo
	s_delay_alu instid0(VALU_DEP_1) | instskip(NEXT) | instid1(VALU_DEP_1)
	v_add_co_u32 v1, vcc_lo, s4, v1
	v_add_co_ci_u32_e64 v2, null, s5, v2, vcc_lo
	global_load_b64 v[1:2], v[1:2], off
	s_wait_loadcnt 0x0
	v_sub_co_u32 v3, vcc_lo, v1, s2
	s_wait_alu 0xfffd
	v_subrev_co_ci_u32_e64 v4, null, 0, v2, vcc_lo
	v_dual_mov_b32 v1, s2 :: v_dual_mov_b32 v2, s3
.LBB88_8:
	s_or_b32 exec_lo, exec_lo, s8
	s_delay_alu instid0(SALU_CYCLE_1)
	s_and_b32 vcc_lo, exec_lo, s7
	s_wait_alu 0xfffe
	s_cbranch_vccnz .LBB88_12
.LBB88_9:
	s_and_saveexec_b32 s2, s6
	s_cbranch_execnz .LBB88_15
.LBB88_10:
	s_endpgm
.LBB88_11:
                                        ; implicit-def: $vgpr3_vgpr4
                                        ; implicit-def: $vgpr1_vgpr2
	s_cbranch_execz .LBB88_9
.LBB88_12:
	s_load_b64 s[4:5], s[0:1], 0x0
	s_wait_kmcnt 0x0
	v_cmp_gt_i64_e32 vcc_lo, s[4:5], v[5:6]
	s_and_saveexec_b32 s4, vcc_lo
; %bb.13:
	s_mov_b32 s3, 0
	s_or_b32 s6, s6, exec_lo
; %bb.14:
	s_wait_alu 0xfffe
	s_or_b32 exec_lo, exec_lo, s4
	v_dual_mov_b32 v1, s2 :: v_dual_mov_b32 v2, s3
	v_dual_mov_b32 v3, v5 :: v_dual_mov_b32 v4, v6
	s_and_saveexec_b32 s2, s6
	s_cbranch_execz .LBB88_10
.LBB88_15:
	s_load_b256 s[4:11], s[0:1], 0x28
	s_delay_alu instid0(VALU_DEP_1) | instskip(SKIP_2) | instid1(VALU_DEP_2)
	v_lshlrev_b64_e32 v[5:6], 3, v[3:4]
	v_dual_mov_b32 v17, 0 :: v_dual_and_b32 v0, 31, v0
	s_wait_kmcnt 0x0
	v_add_co_u32 v7, vcc_lo, s4, v5
	s_wait_alu 0xfffd
	s_delay_alu instid0(VALU_DEP_3)
	v_add_co_ci_u32_e64 v8, null, s5, v6, vcc_lo
	v_add_co_u32 v5, vcc_lo, s6, v5
	s_wait_alu 0xfffd
	v_add_co_ci_u32_e64 v6, null, s7, v6, vcc_lo
	global_load_b64 v[9:10], v[7:8], off
	v_add_co_u32 v7, vcc_lo, v7, 8
	s_wait_alu 0xfffd
	v_add_co_ci_u32_e64 v8, null, 0, v8, vcc_lo
	s_cmp_eq_u64 s[6:7], 0
	s_cselect_b32 vcc_lo, -1, 0
	s_wait_alu 0xfffe
	v_dual_cndmask_b32 v6, v6, v8 :: v_dual_cndmask_b32 v5, v5, v7
	global_load_b64 v[11:12], v[5:6], off
	s_clause 0x1
	s_load_b32 s3, s[0:1], 0x8
	s_load_b64 s[4:5], s[0:1], 0x48
	s_wait_kmcnt 0x0
	s_cmp_eq_u32 s3, 1
	s_wait_loadcnt 0x1
	v_sub_co_u32 v5, vcc_lo, v9, v1
	s_wait_alu 0xfffd
	v_sub_co_ci_u32_e64 v6, null, v10, v2, vcc_lo
	s_delay_alu instid0(VALU_DEP_2) | instskip(SKIP_1) | instid1(VALU_DEP_2)
	v_add_co_u32 v5, vcc_lo, v5, v0
	s_wait_alu 0xfffd
	v_add_co_ci_u32_e64 v6, null, 0, v6, vcc_lo
	s_delay_alu instid0(VALU_DEP_2) | instskip(NEXT) | instid1(VALU_DEP_1)
	v_mad_co_u64_u32 v[7:8], null, v5, 9, s[10:11]
	v_mad_co_u64_u32 v[8:9], null, v6, 9, v[8:9]
	s_wait_loadcnt 0x0
	v_sub_co_u32 v9, vcc_lo, v11, v1
	s_wait_alu 0xfffd
	v_sub_co_ci_u32_e64 v10, null, v12, v2, vcc_lo
	s_delay_alu instid0(VALU_DEP_1)
	v_cmp_lt_i64_e64 s2, v[5:6], v[9:10]
	s_cbranch_scc1 .LBB88_21
; %bb.16:
	v_dual_mov_b32 v18, 0 :: v_dual_mov_b32 v19, 0
	s_and_saveexec_b32 s6, s2
	s_cbranch_execz .LBB88_20
; %bb.17:
	v_lshlrev_b64_e32 v[13:14], 3, v[5:6]
	v_dual_mov_b32 v17, 0 :: v_dual_mov_b32 v12, v8
	v_dual_mov_b32 v11, v7 :: v_dual_mov_b32 v16, v6
	;; [unrolled: 1-line block ×3, first 2 shown]
	s_delay_alu instid0(VALU_DEP_4)
	v_add_co_u32 v13, vcc_lo, s8, v13
	s_wait_alu 0xfffd
	v_add_co_ci_u32_e64 v14, null, s9, v14, vcc_lo
	v_mov_b32_e32 v19, 0
	s_mov_b32 s7, 0
.LBB88_18:                              ; =>This Inner Loop Header: Depth=1
	global_load_b64 v[20:21], v[13:14], off
	global_load_b64 v[22:23], v[11:12], off
	s_wait_loadcnt 0x1
	v_sub_co_u32 v20, vcc_lo, v20, v1
	s_wait_alu 0xfffd
	v_sub_co_ci_u32_e64 v24, null, v21, v2, vcc_lo
	s_wait_loadcnt 0x0
	v_bfe_i32 v26, v22, 8, 8
	v_mad_co_u64_u32 v[20:21], null, v20, 3, s[4:5]
	v_bfe_i32 v27, v22, 16, 8
	v_bfe_i32 v30, v23, 16, 8
	;; [unrolled: 1-line block ×4, first 2 shown]
	v_ashrrev_i32_e32 v23, 24, v23
	v_add_co_u32 v15, vcc_lo, v15, 32
	v_mad_co_u64_u32 v[24:25], null, v24, 3, v[21:22]
	v_bfe_i32 v25, v22, 0, 8
	v_ashrrev_i32_e32 v22, 24, v22
	v_cvt_f32_i32_e32 v30, v30
	v_cvt_f32_i32_e32 v26, v26
	;; [unrolled: 1-line block ×5, first 2 shown]
	v_mov_b32_e32 v21, v24
	v_cvt_f32_i32_e32 v23, v23
	s_wait_alu 0xfffd
	v_add_co_ci_u32_e64 v16, null, 0, v16, vcc_lo
	s_clause 0x1
	global_load_i8 v24, v[20:21], off offset:2
	global_load_u16 v20, v[20:21], off
	global_load_i8 v21, v[11:12], off offset:8
	v_cvt_f32_i32_e32 v27, v27
	v_add_co_u32 v11, vcc_lo, 0x120, v11
	v_cmp_ge_i64_e64 s3, v[15:16], v[9:10]
	s_wait_alu 0xfffd
	v_add_co_ci_u32_e64 v12, null, 0, v12, vcc_lo
	v_add_co_u32 v13, vcc_lo, 0x100, v13
	s_wait_alu 0xfffd
	v_add_co_ci_u32_e64 v14, null, 0, v14, vcc_lo
	s_wait_alu 0xfffe
	s_or_b32 s7, s3, s7
	s_wait_loadcnt 0x2
	v_cvt_f32_i32_e32 v24, v24
	s_wait_loadcnt 0x1
	v_bfe_i32 v31, v20, 0, 8
	v_bfe_i32 v20, v20, 8, 8
	s_wait_loadcnt 0x0
	v_cvt_f32_i32_e32 v21, v21
	s_delay_alu instid0(VALU_DEP_3) | instskip(NEXT) | instid1(VALU_DEP_3)
	v_bfe_i32 v31, v31, 0, 16
	v_cvt_f32_i32_e32 v20, v20
	s_delay_alu instid0(VALU_DEP_2) | instskip(NEXT) | instid1(VALU_DEP_1)
	v_cvt_f32_i32_e32 v31, v31
	v_fmac_f32_e32 v18, v22, v31
	v_fmac_f32_e32 v19, v25, v31
	;; [unrolled: 1-line block ×3, first 2 shown]
	v_cvt_f32_i32_e32 v22, v29
	s_delay_alu instid0(VALU_DEP_4) | instskip(NEXT) | instid1(VALU_DEP_4)
	v_fmac_f32_e32 v18, v28, v20
	v_fmac_f32_e32 v19, v26, v20
	s_delay_alu instid0(VALU_DEP_4) | instskip(NEXT) | instid1(VALU_DEP_3)
	v_fmac_f32_e32 v17, v23, v20
	v_fmac_f32_e32 v18, v22, v24
	s_delay_alu instid0(VALU_DEP_3) | instskip(NEXT) | instid1(VALU_DEP_3)
	v_fmac_f32_e32 v19, v27, v24
	v_fmac_f32_e32 v17, v21, v24
	s_wait_alu 0xfffe
	s_and_not1_b32 exec_lo, exec_lo, s7
	s_cbranch_execnz .LBB88_18
; %bb.19:
	s_or_b32 exec_lo, exec_lo, s7
.LBB88_20:
	s_wait_alu 0xfffe
	s_or_b32 exec_lo, exec_lo, s6
	s_cbranch_execz .LBB88_22
	s_branch .LBB88_27
.LBB88_21:
                                        ; implicit-def: $vgpr17
                                        ; implicit-def: $vgpr18
                                        ; implicit-def: $vgpr19
.LBB88_22:
	v_dual_mov_b32 v17, 0 :: v_dual_mov_b32 v18, 0
	v_mov_b32_e32 v19, 0
	s_and_saveexec_b32 s3, s2
	s_cbranch_execz .LBB88_26
; %bb.23:
	v_lshlrev_b64_e32 v[11:12], 3, v[5:6]
	v_dual_mov_b32 v17, 0 :: v_dual_mov_b32 v18, 0
	v_mov_b32_e32 v19, 0
	s_mov_b32 s6, 0
	s_delay_alu instid0(VALU_DEP_3)
	v_add_co_u32 v11, vcc_lo, s8, v11
	s_wait_alu 0xfffd
	v_add_co_ci_u32_e64 v12, null, s9, v12, vcc_lo
.LBB88_24:                              ; =>This Inner Loop Header: Depth=1
	global_load_b64 v[13:14], v[11:12], off
	global_load_b64 v[15:16], v[7:8], off
	s_wait_loadcnt 0x1
	v_sub_co_u32 v13, vcc_lo, v13, v1
	s_wait_alu 0xfffd
	v_sub_co_ci_u32_e64 v20, null, v14, v2, vcc_lo
	s_wait_loadcnt 0x0
	v_bfe_i32 v22, v15, 8, 8
	v_mad_co_u64_u32 v[13:14], null, v13, 3, s[4:5]
	v_bfe_i32 v23, v15, 16, 8
	v_bfe_i32 v24, v16, 0, 8
	;; [unrolled: 1-line block ×3, first 2 shown]
	v_cvt_f32_i32_e32 v22, v22
	v_add_co_u32 v5, vcc_lo, v5, 32
	v_mad_co_u64_u32 v[20:21], null, v20, 3, v[14:15]
	v_bfe_i32 v21, v15, 0, 8
	v_ashrrev_i32_e32 v15, 24, v15
	v_cvt_f32_i32_e32 v23, v23
	v_bfe_i32 v26, v16, 16, 8
	v_ashrrev_i32_e32 v16, 24, v16
	v_cvt_f32_i32_e32 v21, v21
	v_mov_b32_e32 v14, v20
	v_cvt_f32_i32_e32 v15, v15
	v_cvt_f32_i32_e32 v24, v24
	;; [unrolled: 1-line block ×3, first 2 shown]
	s_wait_alu 0xfffd
	v_add_co_ci_u32_e64 v6, null, 0, v6, vcc_lo
	s_clause 0x1
	global_load_i8 v20, v[13:14], off offset:2
	global_load_u16 v13, v[13:14], off
	global_load_i8 v14, v[7:8], off offset:8
	v_cvt_f32_i32_e32 v26, v26
	v_cvt_f32_i32_e32 v16, v16
	v_add_co_u32 v7, vcc_lo, 0x120, v7
	v_cmp_ge_i64_e64 s2, v[5:6], v[9:10]
	s_wait_alu 0xfffd
	v_add_co_ci_u32_e64 v8, null, 0, v8, vcc_lo
	v_add_co_u32 v11, vcc_lo, 0x100, v11
	s_wait_alu 0xfffd
	v_add_co_ci_u32_e64 v12, null, 0, v12, vcc_lo
	s_wait_alu 0xfffe
	s_or_b32 s6, s2, s6
	s_wait_loadcnt 0x2
	v_cvt_f32_i32_e32 v20, v20
	s_wait_loadcnt 0x1
	v_bfe_i32 v27, v13, 0, 8
	v_bfe_i32 v13, v13, 8, 8
	s_wait_loadcnt 0x0
	v_cvt_f32_i32_e32 v14, v14
	s_delay_alu instid0(VALU_DEP_3) | instskip(NEXT) | instid1(VALU_DEP_3)
	v_bfe_i32 v27, v27, 0, 16
	v_cvt_f32_i32_e32 v13, v13
	s_delay_alu instid0(VALU_DEP_2) | instskip(NEXT) | instid1(VALU_DEP_1)
	v_cvt_f32_i32_e32 v27, v27
	v_fmac_f32_e32 v19, v21, v27
	s_delay_alu instid0(VALU_DEP_1) | instskip(NEXT) | instid1(VALU_DEP_1)
	v_dual_fmac_f32 v18, v22, v27 :: v_dual_fmac_f32 v19, v15, v13
	v_dual_fmac_f32 v17, v23, v27 :: v_dual_fmac_f32 v18, v24, v13
	s_delay_alu instid0(VALU_DEP_2) | instskip(NEXT) | instid1(VALU_DEP_2)
	v_fmac_f32_e32 v19, v26, v20
	v_dual_fmac_f32 v17, v25, v13 :: v_dual_fmac_f32 v18, v16, v20
	s_delay_alu instid0(VALU_DEP_1)
	v_fmac_f32_e32 v17, v14, v20
	s_wait_alu 0xfffe
	s_and_not1_b32 exec_lo, exec_lo, s6
	s_cbranch_execnz .LBB88_24
; %bb.25:
	s_or_b32 exec_lo, exec_lo, s6
.LBB88_26:
	s_wait_alu 0xfffe
	s_or_b32 exec_lo, exec_lo, s3
.LBB88_27:
	v_mbcnt_lo_u32_b32 v1, -1, 0
	s_mov_b32 s2, -1
	s_delay_alu instid0(VALU_DEP_1) | instskip(SKIP_2) | instid1(VALU_DEP_3)
	v_xor_b32_e32 v2, 16, v1
	v_xor_b32_e32 v7, 8, v1
	;; [unrolled: 1-line block ×3, first 2 shown]
	v_cmp_gt_i32_e32 vcc_lo, 32, v2
	s_wait_alu 0xfffd
	v_cndmask_b32_e32 v2, v1, v2, vcc_lo
	v_cmp_gt_i32_e32 vcc_lo, 32, v7
	s_wait_alu 0xfffd
	v_cndmask_b32_e32 v7, v1, v7, vcc_lo
	v_cmp_gt_i32_e32 vcc_lo, 32, v10
	s_delay_alu instid0(VALU_DEP_2)
	v_lshlrev_b32_e32 v7, 2, v7
	v_lshlrev_b32_e32 v2, 2, v2
	ds_bpermute_b32 v5, v2, v19
	s_wait_dscnt 0x0
	v_add_f32_e32 v5, v19, v5
	ds_bpermute_b32 v6, v2, v18
	ds_bpermute_b32 v2, v2, v17
	ds_bpermute_b32 v8, v7, v5
	s_wait_dscnt 0x2
	v_add_f32_e32 v6, v18, v6
	s_wait_dscnt 0x1
	v_add_f32_e32 v2, v17, v2
	;; [unrolled: 2-line block ×3, first 2 shown]
	ds_bpermute_b32 v9, v7, v6
	ds_bpermute_b32 v7, v7, v2
	s_wait_dscnt 0x0
	v_add_f32_e32 v2, v2, v7
	s_wait_alu 0xfffd
	v_cndmask_b32_e32 v10, v1, v10, vcc_lo
	s_delay_alu instid0(VALU_DEP_1)
	v_lshlrev_b32_e32 v10, 2, v10
	ds_bpermute_b32 v7, v10, v5
	v_add_f32_e32 v6, v6, v9
	ds_bpermute_b32 v9, v10, v2
	s_wait_dscnt 0x1
	v_add_f32_e32 v5, v5, v7
	ds_bpermute_b32 v8, v10, v6
	v_xor_b32_e32 v10, 2, v1
	s_wait_dscnt 0x1
	v_add_f32_e32 v7, v2, v9
	s_delay_alu instid0(VALU_DEP_2) | instskip(SKIP_2) | instid1(VALU_DEP_1)
	v_cmp_gt_i32_e32 vcc_lo, 32, v10
	s_wait_alu 0xfffd
	v_cndmask_b32_e32 v10, v1, v10, vcc_lo
	v_lshlrev_b32_e32 v10, 2, v10
	ds_bpermute_b32 v2, v10, v5
	s_wait_dscnt 0x1
	v_add_f32_e32 v6, v6, v8
	ds_bpermute_b32 v9, v10, v7
	ds_bpermute_b32 v8, v10, v6
	v_xor_b32_e32 v10, 1, v1
	s_delay_alu instid0(VALU_DEP_1) | instskip(SKIP_4) | instid1(VALU_DEP_2)
	v_cmp_gt_i32_e32 vcc_lo, 32, v10
	s_wait_alu 0xfffd
	v_cndmask_b32_e32 v1, v1, v10, vcc_lo
	v_cmp_eq_u32_e32 vcc_lo, 31, v0
	s_wait_dscnt 0x2
	v_dual_add_f32 v1, v5, v2 :: v_dual_lshlrev_b32 v10, 2, v1
	s_wait_dscnt 0x0
	v_dual_add_f32 v5, v7, v9 :: v_dual_add_f32 v2, v6, v8
	ds_bpermute_b32 v6, v10, v1
	ds_bpermute_b32 v8, v10, v5
	;; [unrolled: 1-line block ×3, first 2 shown]
	s_and_b32 exec_lo, exec_lo, vcc_lo
	s_cbranch_execz .LBB88_10
; %bb.28:
	s_load_b64 s[0:1], s[0:1], 0x58
	s_wait_dscnt 0x0
	v_dual_add_f32 v0, v1, v6 :: v_dual_add_f32 v1, v2, v7
	v_add_f32_e32 v2, v5, v8
	s_cmp_eq_f32 s16, 0
	s_delay_alu instid0(VALU_DEP_2) | instskip(NEXT) | instid1(VALU_DEP_2)
	v_dual_mul_f32 v0, s12, v0 :: v_dual_mul_f32 v1, s12, v1
	v_mul_f32_e32 v2, s12, v2
	s_cbranch_scc0 .LBB88_30
; %bb.29:
	s_wait_kmcnt 0x0
	v_mad_co_u64_u32 v[5:6], null, v3, 12, s[0:1]
	s_mov_b32 s2, 0
	v_mad_co_u64_u32 v[6:7], null, v4, 12, v[6:7]
	global_store_b96 v[5:6], v[0:2], off
.LBB88_30:
	s_wait_alu 0xfffe
	s_and_not1_b32 vcc_lo, exec_lo, s2
	s_wait_alu 0xfffe
	s_cbranch_vccnz .LBB88_10
; %bb.31:
	s_wait_kmcnt 0x0
	v_mad_co_u64_u32 v[6:7], null, v3, 12, s[0:1]
	s_delay_alu instid0(VALU_DEP_1) | instskip(NEXT) | instid1(VALU_DEP_1)
	v_mov_b32_e32 v3, v7
	v_mad_co_u64_u32 v[3:4], null, v4, 12, v[3:4]
	s_delay_alu instid0(VALU_DEP_1)
	v_mov_b32_e32 v7, v3
	global_load_b96 v[3:5], v[6:7], off
	s_wait_loadcnt 0x0
	v_dual_fmac_f32 v0, s16, v3 :: v_dual_fmac_f32 v1, s16, v4
	v_fmac_f32_e32 v2, s16, v5
	global_store_b96 v[6:7], v[0:2], off
	s_endpgm
	.section	.rodata,"a",@progbits
	.p2align	6, 0x0
	.amdhsa_kernel _ZN9rocsparseL18bsrxmvn_3x3_kernelILj256ELj32EfllaafEEvT3_20rocsparse_direction_NS_24const_host_device_scalarIT1_EES1_PKS1_PKT2_SA_S7_PKT4_PKT5_S5_PT6_21rocsparse_index_base_b
		.amdhsa_group_segment_fixed_size 0
		.amdhsa_private_segment_fixed_size 0
		.amdhsa_kernarg_size 104
		.amdhsa_user_sgpr_count 2
		.amdhsa_user_sgpr_dispatch_ptr 0
		.amdhsa_user_sgpr_queue_ptr 0
		.amdhsa_user_sgpr_kernarg_segment_ptr 1
		.amdhsa_user_sgpr_dispatch_id 0
		.amdhsa_user_sgpr_private_segment_size 0
		.amdhsa_wavefront_size32 1
		.amdhsa_uses_dynamic_stack 0
		.amdhsa_enable_private_segment 0
		.amdhsa_system_sgpr_workgroup_id_x 1
		.amdhsa_system_sgpr_workgroup_id_y 0
		.amdhsa_system_sgpr_workgroup_id_z 0
		.amdhsa_system_sgpr_workgroup_info 0
		.amdhsa_system_vgpr_workitem_id 0
		.amdhsa_next_free_vgpr 32
		.amdhsa_next_free_sgpr 18
		.amdhsa_reserve_vcc 1
		.amdhsa_float_round_mode_32 0
		.amdhsa_float_round_mode_16_64 0
		.amdhsa_float_denorm_mode_32 3
		.amdhsa_float_denorm_mode_16_64 3
		.amdhsa_fp16_overflow 0
		.amdhsa_workgroup_processor_mode 1
		.amdhsa_memory_ordered 1
		.amdhsa_forward_progress 1
		.amdhsa_inst_pref_size 17
		.amdhsa_round_robin_scheduling 0
		.amdhsa_exception_fp_ieee_invalid_op 0
		.amdhsa_exception_fp_denorm_src 0
		.amdhsa_exception_fp_ieee_div_zero 0
		.amdhsa_exception_fp_ieee_overflow 0
		.amdhsa_exception_fp_ieee_underflow 0
		.amdhsa_exception_fp_ieee_inexact 0
		.amdhsa_exception_int_div_zero 0
	.end_amdhsa_kernel
	.section	.text._ZN9rocsparseL18bsrxmvn_3x3_kernelILj256ELj32EfllaafEEvT3_20rocsparse_direction_NS_24const_host_device_scalarIT1_EES1_PKS1_PKT2_SA_S7_PKT4_PKT5_S5_PT6_21rocsparse_index_base_b,"axG",@progbits,_ZN9rocsparseL18bsrxmvn_3x3_kernelILj256ELj32EfllaafEEvT3_20rocsparse_direction_NS_24const_host_device_scalarIT1_EES1_PKS1_PKT2_SA_S7_PKT4_PKT5_S5_PT6_21rocsparse_index_base_b,comdat
.Lfunc_end88:
	.size	_ZN9rocsparseL18bsrxmvn_3x3_kernelILj256ELj32EfllaafEEvT3_20rocsparse_direction_NS_24const_host_device_scalarIT1_EES1_PKS1_PKT2_SA_S7_PKT4_PKT5_S5_PT6_21rocsparse_index_base_b, .Lfunc_end88-_ZN9rocsparseL18bsrxmvn_3x3_kernelILj256ELj32EfllaafEEvT3_20rocsparse_direction_NS_24const_host_device_scalarIT1_EES1_PKS1_PKT2_SA_S7_PKT4_PKT5_S5_PT6_21rocsparse_index_base_b
                                        ; -- End function
	.set _ZN9rocsparseL18bsrxmvn_3x3_kernelILj256ELj32EfllaafEEvT3_20rocsparse_direction_NS_24const_host_device_scalarIT1_EES1_PKS1_PKT2_SA_S7_PKT4_PKT5_S5_PT6_21rocsparse_index_base_b.num_vgpr, 32
	.set _ZN9rocsparseL18bsrxmvn_3x3_kernelILj256ELj32EfllaafEEvT3_20rocsparse_direction_NS_24const_host_device_scalarIT1_EES1_PKS1_PKT2_SA_S7_PKT4_PKT5_S5_PT6_21rocsparse_index_base_b.num_agpr, 0
	.set _ZN9rocsparseL18bsrxmvn_3x3_kernelILj256ELj32EfllaafEEvT3_20rocsparse_direction_NS_24const_host_device_scalarIT1_EES1_PKS1_PKT2_SA_S7_PKT4_PKT5_S5_PT6_21rocsparse_index_base_b.numbered_sgpr, 18
	.set _ZN9rocsparseL18bsrxmvn_3x3_kernelILj256ELj32EfllaafEEvT3_20rocsparse_direction_NS_24const_host_device_scalarIT1_EES1_PKS1_PKT2_SA_S7_PKT4_PKT5_S5_PT6_21rocsparse_index_base_b.num_named_barrier, 0
	.set _ZN9rocsparseL18bsrxmvn_3x3_kernelILj256ELj32EfllaafEEvT3_20rocsparse_direction_NS_24const_host_device_scalarIT1_EES1_PKS1_PKT2_SA_S7_PKT4_PKT5_S5_PT6_21rocsparse_index_base_b.private_seg_size, 0
	.set _ZN9rocsparseL18bsrxmvn_3x3_kernelILj256ELj32EfllaafEEvT3_20rocsparse_direction_NS_24const_host_device_scalarIT1_EES1_PKS1_PKT2_SA_S7_PKT4_PKT5_S5_PT6_21rocsparse_index_base_b.uses_vcc, 1
	.set _ZN9rocsparseL18bsrxmvn_3x3_kernelILj256ELj32EfllaafEEvT3_20rocsparse_direction_NS_24const_host_device_scalarIT1_EES1_PKS1_PKT2_SA_S7_PKT4_PKT5_S5_PT6_21rocsparse_index_base_b.uses_flat_scratch, 0
	.set _ZN9rocsparseL18bsrxmvn_3x3_kernelILj256ELj32EfllaafEEvT3_20rocsparse_direction_NS_24const_host_device_scalarIT1_EES1_PKS1_PKT2_SA_S7_PKT4_PKT5_S5_PT6_21rocsparse_index_base_b.has_dyn_sized_stack, 0
	.set _ZN9rocsparseL18bsrxmvn_3x3_kernelILj256ELj32EfllaafEEvT3_20rocsparse_direction_NS_24const_host_device_scalarIT1_EES1_PKS1_PKT2_SA_S7_PKT4_PKT5_S5_PT6_21rocsparse_index_base_b.has_recursion, 0
	.set _ZN9rocsparseL18bsrxmvn_3x3_kernelILj256ELj32EfllaafEEvT3_20rocsparse_direction_NS_24const_host_device_scalarIT1_EES1_PKS1_PKT2_SA_S7_PKT4_PKT5_S5_PT6_21rocsparse_index_base_b.has_indirect_call, 0
	.section	.AMDGPU.csdata,"",@progbits
; Kernel info:
; codeLenInByte = 2140
; TotalNumSgprs: 20
; NumVgprs: 32
; ScratchSize: 0
; MemoryBound: 0
; FloatMode: 240
; IeeeMode: 1
; LDSByteSize: 0 bytes/workgroup (compile time only)
; SGPRBlocks: 0
; VGPRBlocks: 3
; NumSGPRsForWavesPerEU: 20
; NumVGPRsForWavesPerEU: 32
; Occupancy: 16
; WaveLimiterHint : 1
; COMPUTE_PGM_RSRC2:SCRATCH_EN: 0
; COMPUTE_PGM_RSRC2:USER_SGPR: 2
; COMPUTE_PGM_RSRC2:TRAP_HANDLER: 0
; COMPUTE_PGM_RSRC2:TGID_X_EN: 1
; COMPUTE_PGM_RSRC2:TGID_Y_EN: 0
; COMPUTE_PGM_RSRC2:TGID_Z_EN: 0
; COMPUTE_PGM_RSRC2:TIDIG_COMP_CNT: 0
	.section	.text._ZN9rocsparseL18bsrxmvn_3x3_kernelILj256ELj64EfllaafEEvT3_20rocsparse_direction_NS_24const_host_device_scalarIT1_EES1_PKS1_PKT2_SA_S7_PKT4_PKT5_S5_PT6_21rocsparse_index_base_b,"axG",@progbits,_ZN9rocsparseL18bsrxmvn_3x3_kernelILj256ELj64EfllaafEEvT3_20rocsparse_direction_NS_24const_host_device_scalarIT1_EES1_PKS1_PKT2_SA_S7_PKT4_PKT5_S5_PT6_21rocsparse_index_base_b,comdat
	.globl	_ZN9rocsparseL18bsrxmvn_3x3_kernelILj256ELj64EfllaafEEvT3_20rocsparse_direction_NS_24const_host_device_scalarIT1_EES1_PKS1_PKT2_SA_S7_PKT4_PKT5_S5_PT6_21rocsparse_index_base_b ; -- Begin function _ZN9rocsparseL18bsrxmvn_3x3_kernelILj256ELj64EfllaafEEvT3_20rocsparse_direction_NS_24const_host_device_scalarIT1_EES1_PKS1_PKT2_SA_S7_PKT4_PKT5_S5_PT6_21rocsparse_index_base_b
	.p2align	8
	.type	_ZN9rocsparseL18bsrxmvn_3x3_kernelILj256ELj64EfllaafEEvT3_20rocsparse_direction_NS_24const_host_device_scalarIT1_EES1_PKS1_PKT2_SA_S7_PKT4_PKT5_S5_PT6_21rocsparse_index_base_b,@function
_ZN9rocsparseL18bsrxmvn_3x3_kernelILj256ELj64EfllaafEEvT3_20rocsparse_direction_NS_24const_host_device_scalarIT1_EES1_PKS1_PKT2_SA_S7_PKT4_PKT5_S5_PT6_21rocsparse_index_base_b: ; @_ZN9rocsparseL18bsrxmvn_3x3_kernelILj256ELj64EfllaafEEvT3_20rocsparse_direction_NS_24const_host_device_scalarIT1_EES1_PKS1_PKT2_SA_S7_PKT4_PKT5_S5_PT6_21rocsparse_index_base_b
; %bb.0:
	s_clause 0x2
	s_load_b64 s[2:3], s[0:1], 0x60
	s_load_b128 s[12:15], s[0:1], 0x10
	s_load_b64 s[16:17], s[0:1], 0x50
	s_wait_kmcnt 0x0
	s_bitcmp1_b32 s3, 0
	s_cselect_b32 s3, -1, 0
	s_delay_alu instid0(SALU_CYCLE_1)
	s_and_b32 vcc_lo, exec_lo, s3
	s_xor_b32 s3, s3, -1
	s_cbranch_vccnz .LBB89_2
; %bb.1:
	s_load_b32 s12, s[12:13], 0x0
.LBB89_2:
	s_and_not1_b32 vcc_lo, exec_lo, s3
	s_cbranch_vccnz .LBB89_4
; %bb.3:
	s_load_b32 s16, s[16:17], 0x0
.LBB89_4:
	s_wait_kmcnt 0x0
	s_cmp_neq_f32 s12, 0
	s_mov_b32 s6, 0
	s_cselect_b32 s3, -1, 0
	s_cmp_neq_f32 s16, 1.0
	s_cselect_b32 s4, -1, 0
	s_delay_alu instid0(SALU_CYCLE_1) | instskip(NEXT) | instid1(SALU_CYCLE_1)
	s_or_b32 s3, s3, s4
	s_and_not1_b32 vcc_lo, exec_lo, s3
	s_cbranch_vccnz .LBB89_10
; %bb.5:
	s_load_b64 s[4:5], s[0:1], 0x20
	v_lshrrev_b32_e32 v1, 6, v0
	v_mov_b32_e32 v6, 0
	s_delay_alu instid0(VALU_DEP_2)
	v_lshl_or_b32 v5, ttmp9, 2, v1
	s_wait_kmcnt 0x0
	s_cmp_lg_u64 s[4:5], 0
	s_cbranch_scc0 .LBB89_11
; %bb.6:
	s_mov_b32 s7, 0
                                        ; implicit-def: $vgpr3_vgpr4
                                        ; implicit-def: $vgpr1_vgpr2
	s_mov_b32 s3, exec_lo
	v_cmpx_gt_i64_e64 s[14:15], v[5:6]
	s_xor_b32 s8, exec_lo, s3
	s_cbranch_execz .LBB89_8
; %bb.7:
	v_lshlrev_b64_e32 v[1:2], 3, v[5:6]
	s_mov_b32 s3, 0
	s_mov_b32 s6, exec_lo
	s_delay_alu instid0(VALU_DEP_1) | instskip(NEXT) | instid1(VALU_DEP_1)
	v_add_co_u32 v1, vcc_lo, s4, v1
	v_add_co_ci_u32_e64 v2, null, s5, v2, vcc_lo
	global_load_b64 v[1:2], v[1:2], off
	s_wait_loadcnt 0x0
	v_sub_co_u32 v3, vcc_lo, v1, s2
	s_wait_alu 0xfffd
	v_subrev_co_ci_u32_e64 v4, null, 0, v2, vcc_lo
	v_dual_mov_b32 v1, s2 :: v_dual_mov_b32 v2, s3
.LBB89_8:
	s_or_b32 exec_lo, exec_lo, s8
	s_delay_alu instid0(SALU_CYCLE_1)
	s_and_b32 vcc_lo, exec_lo, s7
	s_wait_alu 0xfffe
	s_cbranch_vccnz .LBB89_12
.LBB89_9:
	s_and_saveexec_b32 s2, s6
	s_cbranch_execnz .LBB89_15
.LBB89_10:
	s_endpgm
.LBB89_11:
                                        ; implicit-def: $vgpr3_vgpr4
                                        ; implicit-def: $vgpr1_vgpr2
	s_cbranch_execz .LBB89_9
.LBB89_12:
	s_load_b64 s[4:5], s[0:1], 0x0
	s_wait_kmcnt 0x0
	v_cmp_gt_i64_e32 vcc_lo, s[4:5], v[5:6]
	s_and_saveexec_b32 s4, vcc_lo
; %bb.13:
	s_mov_b32 s3, 0
	s_or_b32 s6, s6, exec_lo
; %bb.14:
	s_wait_alu 0xfffe
	s_or_b32 exec_lo, exec_lo, s4
	v_dual_mov_b32 v1, s2 :: v_dual_mov_b32 v2, s3
	v_dual_mov_b32 v3, v5 :: v_dual_mov_b32 v4, v6
	s_and_saveexec_b32 s2, s6
	s_cbranch_execz .LBB89_10
.LBB89_15:
	s_load_b256 s[4:11], s[0:1], 0x28
	s_delay_alu instid0(VALU_DEP_1) | instskip(SKIP_2) | instid1(VALU_DEP_2)
	v_lshlrev_b64_e32 v[5:6], 3, v[3:4]
	v_dual_mov_b32 v17, 0 :: v_dual_and_b32 v0, 63, v0
	s_wait_kmcnt 0x0
	v_add_co_u32 v7, vcc_lo, s4, v5
	s_wait_alu 0xfffd
	s_delay_alu instid0(VALU_DEP_3)
	v_add_co_ci_u32_e64 v8, null, s5, v6, vcc_lo
	v_add_co_u32 v5, vcc_lo, s6, v5
	s_wait_alu 0xfffd
	v_add_co_ci_u32_e64 v6, null, s7, v6, vcc_lo
	global_load_b64 v[9:10], v[7:8], off
	v_add_co_u32 v7, vcc_lo, v7, 8
	s_wait_alu 0xfffd
	v_add_co_ci_u32_e64 v8, null, 0, v8, vcc_lo
	s_cmp_eq_u64 s[6:7], 0
	s_cselect_b32 vcc_lo, -1, 0
	s_wait_alu 0xfffe
	v_dual_cndmask_b32 v6, v6, v8 :: v_dual_cndmask_b32 v5, v5, v7
	global_load_b64 v[11:12], v[5:6], off
	s_clause 0x1
	s_load_b32 s3, s[0:1], 0x8
	s_load_b64 s[4:5], s[0:1], 0x48
	s_wait_kmcnt 0x0
	s_cmp_eq_u32 s3, 1
	s_wait_loadcnt 0x1
	v_sub_co_u32 v5, vcc_lo, v9, v1
	s_wait_alu 0xfffd
	v_sub_co_ci_u32_e64 v6, null, v10, v2, vcc_lo
	s_delay_alu instid0(VALU_DEP_2) | instskip(SKIP_1) | instid1(VALU_DEP_2)
	v_add_co_u32 v5, vcc_lo, v5, v0
	s_wait_alu 0xfffd
	v_add_co_ci_u32_e64 v6, null, 0, v6, vcc_lo
	s_delay_alu instid0(VALU_DEP_2) | instskip(NEXT) | instid1(VALU_DEP_1)
	v_mad_co_u64_u32 v[7:8], null, v5, 9, s[10:11]
	v_mad_co_u64_u32 v[8:9], null, v6, 9, v[8:9]
	s_wait_loadcnt 0x0
	v_sub_co_u32 v9, vcc_lo, v11, v1
	s_wait_alu 0xfffd
	v_sub_co_ci_u32_e64 v10, null, v12, v2, vcc_lo
	s_delay_alu instid0(VALU_DEP_1)
	v_cmp_lt_i64_e64 s2, v[5:6], v[9:10]
	s_cbranch_scc1 .LBB89_21
; %bb.16:
	v_dual_mov_b32 v18, 0 :: v_dual_mov_b32 v19, 0
	s_and_saveexec_b32 s6, s2
	s_cbranch_execz .LBB89_20
; %bb.17:
	v_lshlrev_b64_e32 v[13:14], 3, v[5:6]
	v_dual_mov_b32 v17, 0 :: v_dual_mov_b32 v12, v8
	v_dual_mov_b32 v11, v7 :: v_dual_mov_b32 v16, v6
	;; [unrolled: 1-line block ×3, first 2 shown]
	s_delay_alu instid0(VALU_DEP_4)
	v_add_co_u32 v13, vcc_lo, s8, v13
	s_wait_alu 0xfffd
	v_add_co_ci_u32_e64 v14, null, s9, v14, vcc_lo
	v_mov_b32_e32 v19, 0
	s_mov_b32 s7, 0
.LBB89_18:                              ; =>This Inner Loop Header: Depth=1
	global_load_b64 v[20:21], v[13:14], off
	global_load_b64 v[22:23], v[11:12], off
	s_wait_loadcnt 0x1
	v_sub_co_u32 v20, vcc_lo, v20, v1
	s_wait_alu 0xfffd
	v_sub_co_ci_u32_e64 v24, null, v21, v2, vcc_lo
	s_wait_loadcnt 0x0
	v_bfe_i32 v26, v22, 8, 8
	v_mad_co_u64_u32 v[20:21], null, v20, 3, s[4:5]
	v_bfe_i32 v27, v22, 16, 8
	v_bfe_i32 v30, v23, 16, 8
	;; [unrolled: 1-line block ×4, first 2 shown]
	v_ashrrev_i32_e32 v23, 24, v23
	v_add_co_u32 v15, vcc_lo, v15, 64
	v_mad_co_u64_u32 v[24:25], null, v24, 3, v[21:22]
	v_bfe_i32 v25, v22, 0, 8
	v_ashrrev_i32_e32 v22, 24, v22
	v_cvt_f32_i32_e32 v30, v30
	v_cvt_f32_i32_e32 v26, v26
	;; [unrolled: 1-line block ×5, first 2 shown]
	v_mov_b32_e32 v21, v24
	v_cvt_f32_i32_e32 v23, v23
	s_wait_alu 0xfffd
	v_add_co_ci_u32_e64 v16, null, 0, v16, vcc_lo
	s_clause 0x1
	global_load_i8 v24, v[20:21], off offset:2
	global_load_u16 v20, v[20:21], off
	global_load_i8 v21, v[11:12], off offset:8
	v_cvt_f32_i32_e32 v27, v27
	v_add_co_u32 v11, vcc_lo, 0x240, v11
	v_cmp_ge_i64_e64 s3, v[15:16], v[9:10]
	s_wait_alu 0xfffd
	v_add_co_ci_u32_e64 v12, null, 0, v12, vcc_lo
	v_add_co_u32 v13, vcc_lo, 0x200, v13
	s_wait_alu 0xfffd
	v_add_co_ci_u32_e64 v14, null, 0, v14, vcc_lo
	s_wait_alu 0xfffe
	s_or_b32 s7, s3, s7
	s_wait_loadcnt 0x2
	v_cvt_f32_i32_e32 v24, v24
	s_wait_loadcnt 0x1
	v_bfe_i32 v31, v20, 0, 8
	v_bfe_i32 v20, v20, 8, 8
	s_wait_loadcnt 0x0
	v_cvt_f32_i32_e32 v21, v21
	s_delay_alu instid0(VALU_DEP_3) | instskip(NEXT) | instid1(VALU_DEP_3)
	v_bfe_i32 v31, v31, 0, 16
	v_cvt_f32_i32_e32 v20, v20
	s_delay_alu instid0(VALU_DEP_2) | instskip(NEXT) | instid1(VALU_DEP_1)
	v_cvt_f32_i32_e32 v31, v31
	v_fmac_f32_e32 v18, v22, v31
	v_fmac_f32_e32 v19, v25, v31
	;; [unrolled: 1-line block ×3, first 2 shown]
	v_cvt_f32_i32_e32 v22, v29
	s_delay_alu instid0(VALU_DEP_4) | instskip(NEXT) | instid1(VALU_DEP_4)
	v_fmac_f32_e32 v18, v28, v20
	v_fmac_f32_e32 v19, v26, v20
	s_delay_alu instid0(VALU_DEP_4) | instskip(NEXT) | instid1(VALU_DEP_3)
	v_fmac_f32_e32 v17, v23, v20
	v_fmac_f32_e32 v18, v22, v24
	s_delay_alu instid0(VALU_DEP_3) | instskip(NEXT) | instid1(VALU_DEP_3)
	v_fmac_f32_e32 v19, v27, v24
	v_fmac_f32_e32 v17, v21, v24
	s_wait_alu 0xfffe
	s_and_not1_b32 exec_lo, exec_lo, s7
	s_cbranch_execnz .LBB89_18
; %bb.19:
	s_or_b32 exec_lo, exec_lo, s7
.LBB89_20:
	s_wait_alu 0xfffe
	s_or_b32 exec_lo, exec_lo, s6
	s_cbranch_execz .LBB89_22
	s_branch .LBB89_27
.LBB89_21:
                                        ; implicit-def: $vgpr17
                                        ; implicit-def: $vgpr18
                                        ; implicit-def: $vgpr19
.LBB89_22:
	v_dual_mov_b32 v17, 0 :: v_dual_mov_b32 v18, 0
	v_mov_b32_e32 v19, 0
	s_and_saveexec_b32 s3, s2
	s_cbranch_execz .LBB89_26
; %bb.23:
	v_lshlrev_b64_e32 v[11:12], 3, v[5:6]
	v_dual_mov_b32 v17, 0 :: v_dual_mov_b32 v18, 0
	v_mov_b32_e32 v19, 0
	s_mov_b32 s6, 0
	s_delay_alu instid0(VALU_DEP_3)
	v_add_co_u32 v11, vcc_lo, s8, v11
	s_wait_alu 0xfffd
	v_add_co_ci_u32_e64 v12, null, s9, v12, vcc_lo
.LBB89_24:                              ; =>This Inner Loop Header: Depth=1
	global_load_b64 v[13:14], v[11:12], off
	global_load_b64 v[15:16], v[7:8], off
	s_wait_loadcnt 0x1
	v_sub_co_u32 v13, vcc_lo, v13, v1
	s_wait_alu 0xfffd
	v_sub_co_ci_u32_e64 v20, null, v14, v2, vcc_lo
	s_wait_loadcnt 0x0
	v_bfe_i32 v22, v15, 8, 8
	v_mad_co_u64_u32 v[13:14], null, v13, 3, s[4:5]
	v_bfe_i32 v23, v15, 16, 8
	v_bfe_i32 v24, v16, 0, 8
	;; [unrolled: 1-line block ×3, first 2 shown]
	v_cvt_f32_i32_e32 v22, v22
	v_add_co_u32 v5, vcc_lo, v5, 64
	v_mad_co_u64_u32 v[20:21], null, v20, 3, v[14:15]
	v_bfe_i32 v21, v15, 0, 8
	v_ashrrev_i32_e32 v15, 24, v15
	v_cvt_f32_i32_e32 v23, v23
	v_bfe_i32 v26, v16, 16, 8
	v_ashrrev_i32_e32 v16, 24, v16
	v_cvt_f32_i32_e32 v21, v21
	v_mov_b32_e32 v14, v20
	v_cvt_f32_i32_e32 v15, v15
	v_cvt_f32_i32_e32 v24, v24
	;; [unrolled: 1-line block ×3, first 2 shown]
	s_wait_alu 0xfffd
	v_add_co_ci_u32_e64 v6, null, 0, v6, vcc_lo
	s_clause 0x1
	global_load_i8 v20, v[13:14], off offset:2
	global_load_u16 v13, v[13:14], off
	global_load_i8 v14, v[7:8], off offset:8
	v_cvt_f32_i32_e32 v26, v26
	v_cvt_f32_i32_e32 v16, v16
	v_add_co_u32 v7, vcc_lo, 0x240, v7
	v_cmp_ge_i64_e64 s2, v[5:6], v[9:10]
	s_wait_alu 0xfffd
	v_add_co_ci_u32_e64 v8, null, 0, v8, vcc_lo
	v_add_co_u32 v11, vcc_lo, 0x200, v11
	s_wait_alu 0xfffd
	v_add_co_ci_u32_e64 v12, null, 0, v12, vcc_lo
	s_wait_alu 0xfffe
	s_or_b32 s6, s2, s6
	s_wait_loadcnt 0x2
	v_cvt_f32_i32_e32 v20, v20
	s_wait_loadcnt 0x1
	v_bfe_i32 v27, v13, 0, 8
	v_bfe_i32 v13, v13, 8, 8
	s_wait_loadcnt 0x0
	v_cvt_f32_i32_e32 v14, v14
	s_delay_alu instid0(VALU_DEP_3) | instskip(NEXT) | instid1(VALU_DEP_3)
	v_bfe_i32 v27, v27, 0, 16
	v_cvt_f32_i32_e32 v13, v13
	s_delay_alu instid0(VALU_DEP_2) | instskip(NEXT) | instid1(VALU_DEP_1)
	v_cvt_f32_i32_e32 v27, v27
	v_fmac_f32_e32 v19, v21, v27
	s_delay_alu instid0(VALU_DEP_1) | instskip(NEXT) | instid1(VALU_DEP_1)
	v_dual_fmac_f32 v18, v22, v27 :: v_dual_fmac_f32 v19, v15, v13
	v_dual_fmac_f32 v17, v23, v27 :: v_dual_fmac_f32 v18, v24, v13
	s_delay_alu instid0(VALU_DEP_2) | instskip(NEXT) | instid1(VALU_DEP_2)
	v_fmac_f32_e32 v19, v26, v20
	v_dual_fmac_f32 v17, v25, v13 :: v_dual_fmac_f32 v18, v16, v20
	s_delay_alu instid0(VALU_DEP_1)
	v_fmac_f32_e32 v17, v14, v20
	s_wait_alu 0xfffe
	s_and_not1_b32 exec_lo, exec_lo, s6
	s_cbranch_execnz .LBB89_24
; %bb.25:
	s_or_b32 exec_lo, exec_lo, s6
.LBB89_26:
	s_wait_alu 0xfffe
	s_or_b32 exec_lo, exec_lo, s3
.LBB89_27:
	v_mbcnt_lo_u32_b32 v1, -1, 0
	s_mov_b32 s2, -1
	s_delay_alu instid0(VALU_DEP_1) | instskip(SKIP_2) | instid1(VALU_DEP_3)
	v_or_b32_e32 v2, 32, v1
	v_xor_b32_e32 v7, 16, v1
	v_xor_b32_e32 v10, 8, v1
	v_cmp_gt_i32_e32 vcc_lo, 32, v2
	s_wait_alu 0xfffd
	v_cndmask_b32_e32 v2, v1, v2, vcc_lo
	v_cmp_gt_i32_e32 vcc_lo, 32, v7
	s_wait_alu 0xfffd
	v_cndmask_b32_e32 v7, v1, v7, vcc_lo
	v_cmp_gt_i32_e32 vcc_lo, 32, v10
	s_delay_alu instid0(VALU_DEP_2)
	v_lshlrev_b32_e32 v7, 2, v7
	v_lshlrev_b32_e32 v2, 2, v2
	s_wait_alu 0xfffd
	v_cndmask_b32_e32 v10, v1, v10, vcc_lo
	ds_bpermute_b32 v5, v2, v19
	s_wait_dscnt 0x0
	v_add_f32_e32 v5, v19, v5
	ds_bpermute_b32 v6, v2, v18
	ds_bpermute_b32 v2, v2, v17
	;; [unrolled: 1-line block ×3, first 2 shown]
	v_lshlrev_b32_e32 v10, 2, v10
	s_wait_dscnt 0x2
	v_add_f32_e32 v6, v18, v6
	s_wait_dscnt 0x1
	v_add_f32_e32 v2, v17, v2
	;; [unrolled: 2-line block ×3, first 2 shown]
	ds_bpermute_b32 v9, v7, v6
	ds_bpermute_b32 v7, v7, v2
	s_wait_dscnt 0x0
	v_add_f32_e32 v2, v2, v7
	ds_bpermute_b32 v7, v10, v5
	v_add_f32_e32 v6, v6, v9
	ds_bpermute_b32 v9, v10, v2
	s_wait_dscnt 0x1
	v_add_f32_e32 v5, v5, v7
	ds_bpermute_b32 v8, v10, v6
	v_xor_b32_e32 v10, 4, v1
	s_wait_dscnt 0x1
	v_add_f32_e32 v2, v2, v9
	s_delay_alu instid0(VALU_DEP_2) | instskip(SKIP_2) | instid1(VALU_DEP_1)
	v_cmp_gt_i32_e32 vcc_lo, 32, v10
	s_wait_alu 0xfffd
	v_cndmask_b32_e32 v10, v1, v10, vcc_lo
	v_lshlrev_b32_e32 v10, 2, v10
	ds_bpermute_b32 v7, v10, v5
	s_wait_dscnt 0x0
	v_dual_add_f32 v5, v5, v7 :: v_dual_add_f32 v6, v6, v8
	ds_bpermute_b32 v9, v10, v2
	ds_bpermute_b32 v8, v10, v6
	v_xor_b32_e32 v10, 2, v1
	s_delay_alu instid0(VALU_DEP_1) | instskip(SKIP_3) | instid1(VALU_DEP_1)
	v_cmp_gt_i32_e32 vcc_lo, 32, v10
	s_wait_alu 0xfffd
	v_cndmask_b32_e32 v10, v1, v10, vcc_lo
	s_wait_dscnt 0x1
	v_dual_add_f32 v7, v2, v9 :: v_dual_lshlrev_b32 v10, 2, v10
	s_wait_dscnt 0x0
	v_add_f32_e32 v6, v6, v8
	ds_bpermute_b32 v2, v10, v5
	ds_bpermute_b32 v9, v10, v7
	;; [unrolled: 1-line block ×3, first 2 shown]
	v_xor_b32_e32 v10, 1, v1
	s_delay_alu instid0(VALU_DEP_1) | instskip(SKIP_4) | instid1(VALU_DEP_2)
	v_cmp_gt_i32_e32 vcc_lo, 32, v10
	s_wait_alu 0xfffd
	v_cndmask_b32_e32 v1, v1, v10, vcc_lo
	v_cmp_eq_u32_e32 vcc_lo, 63, v0
	s_wait_dscnt 0x2
	v_dual_add_f32 v1, v5, v2 :: v_dual_lshlrev_b32 v10, 2, v1
	s_wait_dscnt 0x0
	v_dual_add_f32 v5, v7, v9 :: v_dual_add_f32 v2, v6, v8
	ds_bpermute_b32 v6, v10, v1
	ds_bpermute_b32 v8, v10, v5
	;; [unrolled: 1-line block ×3, first 2 shown]
	s_and_b32 exec_lo, exec_lo, vcc_lo
	s_cbranch_execz .LBB89_10
; %bb.28:
	s_load_b64 s[0:1], s[0:1], 0x58
	s_wait_dscnt 0x0
	v_dual_add_f32 v0, v1, v6 :: v_dual_add_f32 v1, v2, v7
	v_add_f32_e32 v2, v5, v8
	s_cmp_eq_f32 s16, 0
	s_delay_alu instid0(VALU_DEP_2) | instskip(NEXT) | instid1(VALU_DEP_2)
	v_dual_mul_f32 v0, s12, v0 :: v_dual_mul_f32 v1, s12, v1
	v_mul_f32_e32 v2, s12, v2
	s_cbranch_scc0 .LBB89_30
; %bb.29:
	s_wait_kmcnt 0x0
	v_mad_co_u64_u32 v[5:6], null, v3, 12, s[0:1]
	s_mov_b32 s2, 0
	v_mad_co_u64_u32 v[6:7], null, v4, 12, v[6:7]
	global_store_b96 v[5:6], v[0:2], off
.LBB89_30:
	s_wait_alu 0xfffe
	s_and_not1_b32 vcc_lo, exec_lo, s2
	s_wait_alu 0xfffe
	s_cbranch_vccnz .LBB89_10
; %bb.31:
	s_wait_kmcnt 0x0
	v_mad_co_u64_u32 v[6:7], null, v3, 12, s[0:1]
	s_delay_alu instid0(VALU_DEP_1) | instskip(NEXT) | instid1(VALU_DEP_1)
	v_mov_b32_e32 v3, v7
	v_mad_co_u64_u32 v[3:4], null, v4, 12, v[3:4]
	s_delay_alu instid0(VALU_DEP_1)
	v_mov_b32_e32 v7, v3
	global_load_b96 v[3:5], v[6:7], off
	s_wait_loadcnt 0x0
	v_dual_fmac_f32 v0, s16, v3 :: v_dual_fmac_f32 v1, s16, v4
	v_fmac_f32_e32 v2, s16, v5
	global_store_b96 v[6:7], v[0:2], off
	s_endpgm
	.section	.rodata,"a",@progbits
	.p2align	6, 0x0
	.amdhsa_kernel _ZN9rocsparseL18bsrxmvn_3x3_kernelILj256ELj64EfllaafEEvT3_20rocsparse_direction_NS_24const_host_device_scalarIT1_EES1_PKS1_PKT2_SA_S7_PKT4_PKT5_S5_PT6_21rocsparse_index_base_b
		.amdhsa_group_segment_fixed_size 0
		.amdhsa_private_segment_fixed_size 0
		.amdhsa_kernarg_size 104
		.amdhsa_user_sgpr_count 2
		.amdhsa_user_sgpr_dispatch_ptr 0
		.amdhsa_user_sgpr_queue_ptr 0
		.amdhsa_user_sgpr_kernarg_segment_ptr 1
		.amdhsa_user_sgpr_dispatch_id 0
		.amdhsa_user_sgpr_private_segment_size 0
		.amdhsa_wavefront_size32 1
		.amdhsa_uses_dynamic_stack 0
		.amdhsa_enable_private_segment 0
		.amdhsa_system_sgpr_workgroup_id_x 1
		.amdhsa_system_sgpr_workgroup_id_y 0
		.amdhsa_system_sgpr_workgroup_id_z 0
		.amdhsa_system_sgpr_workgroup_info 0
		.amdhsa_system_vgpr_workitem_id 0
		.amdhsa_next_free_vgpr 32
		.amdhsa_next_free_sgpr 18
		.amdhsa_reserve_vcc 1
		.amdhsa_float_round_mode_32 0
		.amdhsa_float_round_mode_16_64 0
		.amdhsa_float_denorm_mode_32 3
		.amdhsa_float_denorm_mode_16_64 3
		.amdhsa_fp16_overflow 0
		.amdhsa_workgroup_processor_mode 1
		.amdhsa_memory_ordered 1
		.amdhsa_forward_progress 1
		.amdhsa_inst_pref_size 18
		.amdhsa_round_robin_scheduling 0
		.amdhsa_exception_fp_ieee_invalid_op 0
		.amdhsa_exception_fp_denorm_src 0
		.amdhsa_exception_fp_ieee_div_zero 0
		.amdhsa_exception_fp_ieee_overflow 0
		.amdhsa_exception_fp_ieee_underflow 0
		.amdhsa_exception_fp_ieee_inexact 0
		.amdhsa_exception_int_div_zero 0
	.end_amdhsa_kernel
	.section	.text._ZN9rocsparseL18bsrxmvn_3x3_kernelILj256ELj64EfllaafEEvT3_20rocsparse_direction_NS_24const_host_device_scalarIT1_EES1_PKS1_PKT2_SA_S7_PKT4_PKT5_S5_PT6_21rocsparse_index_base_b,"axG",@progbits,_ZN9rocsparseL18bsrxmvn_3x3_kernelILj256ELj64EfllaafEEvT3_20rocsparse_direction_NS_24const_host_device_scalarIT1_EES1_PKS1_PKT2_SA_S7_PKT4_PKT5_S5_PT6_21rocsparse_index_base_b,comdat
.Lfunc_end89:
	.size	_ZN9rocsparseL18bsrxmvn_3x3_kernelILj256ELj64EfllaafEEvT3_20rocsparse_direction_NS_24const_host_device_scalarIT1_EES1_PKS1_PKT2_SA_S7_PKT4_PKT5_S5_PT6_21rocsparse_index_base_b, .Lfunc_end89-_ZN9rocsparseL18bsrxmvn_3x3_kernelILj256ELj64EfllaafEEvT3_20rocsparse_direction_NS_24const_host_device_scalarIT1_EES1_PKS1_PKT2_SA_S7_PKT4_PKT5_S5_PT6_21rocsparse_index_base_b
                                        ; -- End function
	.set _ZN9rocsparseL18bsrxmvn_3x3_kernelILj256ELj64EfllaafEEvT3_20rocsparse_direction_NS_24const_host_device_scalarIT1_EES1_PKS1_PKT2_SA_S7_PKT4_PKT5_S5_PT6_21rocsparse_index_base_b.num_vgpr, 32
	.set _ZN9rocsparseL18bsrxmvn_3x3_kernelILj256ELj64EfllaafEEvT3_20rocsparse_direction_NS_24const_host_device_scalarIT1_EES1_PKS1_PKT2_SA_S7_PKT4_PKT5_S5_PT6_21rocsparse_index_base_b.num_agpr, 0
	.set _ZN9rocsparseL18bsrxmvn_3x3_kernelILj256ELj64EfllaafEEvT3_20rocsparse_direction_NS_24const_host_device_scalarIT1_EES1_PKS1_PKT2_SA_S7_PKT4_PKT5_S5_PT6_21rocsparse_index_base_b.numbered_sgpr, 18
	.set _ZN9rocsparseL18bsrxmvn_3x3_kernelILj256ELj64EfllaafEEvT3_20rocsparse_direction_NS_24const_host_device_scalarIT1_EES1_PKS1_PKT2_SA_S7_PKT4_PKT5_S5_PT6_21rocsparse_index_base_b.num_named_barrier, 0
	.set _ZN9rocsparseL18bsrxmvn_3x3_kernelILj256ELj64EfllaafEEvT3_20rocsparse_direction_NS_24const_host_device_scalarIT1_EES1_PKS1_PKT2_SA_S7_PKT4_PKT5_S5_PT6_21rocsparse_index_base_b.private_seg_size, 0
	.set _ZN9rocsparseL18bsrxmvn_3x3_kernelILj256ELj64EfllaafEEvT3_20rocsparse_direction_NS_24const_host_device_scalarIT1_EES1_PKS1_PKT2_SA_S7_PKT4_PKT5_S5_PT6_21rocsparse_index_base_b.uses_vcc, 1
	.set _ZN9rocsparseL18bsrxmvn_3x3_kernelILj256ELj64EfllaafEEvT3_20rocsparse_direction_NS_24const_host_device_scalarIT1_EES1_PKS1_PKT2_SA_S7_PKT4_PKT5_S5_PT6_21rocsparse_index_base_b.uses_flat_scratch, 0
	.set _ZN9rocsparseL18bsrxmvn_3x3_kernelILj256ELj64EfllaafEEvT3_20rocsparse_direction_NS_24const_host_device_scalarIT1_EES1_PKS1_PKT2_SA_S7_PKT4_PKT5_S5_PT6_21rocsparse_index_base_b.has_dyn_sized_stack, 0
	.set _ZN9rocsparseL18bsrxmvn_3x3_kernelILj256ELj64EfllaafEEvT3_20rocsparse_direction_NS_24const_host_device_scalarIT1_EES1_PKS1_PKT2_SA_S7_PKT4_PKT5_S5_PT6_21rocsparse_index_base_b.has_recursion, 0
	.set _ZN9rocsparseL18bsrxmvn_3x3_kernelILj256ELj64EfllaafEEvT3_20rocsparse_direction_NS_24const_host_device_scalarIT1_EES1_PKS1_PKT2_SA_S7_PKT4_PKT5_S5_PT6_21rocsparse_index_base_b.has_indirect_call, 0
	.section	.AMDGPU.csdata,"",@progbits
; Kernel info:
; codeLenInByte = 2204
; TotalNumSgprs: 20
; NumVgprs: 32
; ScratchSize: 0
; MemoryBound: 0
; FloatMode: 240
; IeeeMode: 1
; LDSByteSize: 0 bytes/workgroup (compile time only)
; SGPRBlocks: 0
; VGPRBlocks: 3
; NumSGPRsForWavesPerEU: 20
; NumVGPRsForWavesPerEU: 32
; Occupancy: 16
; WaveLimiterHint : 1
; COMPUTE_PGM_RSRC2:SCRATCH_EN: 0
; COMPUTE_PGM_RSRC2:USER_SGPR: 2
; COMPUTE_PGM_RSRC2:TRAP_HANDLER: 0
; COMPUTE_PGM_RSRC2:TGID_X_EN: 1
; COMPUTE_PGM_RSRC2:TGID_Y_EN: 0
; COMPUTE_PGM_RSRC2:TGID_Z_EN: 0
; COMPUTE_PGM_RSRC2:TIDIG_COMP_CNT: 0
	.section	.text._ZN9rocsparseL18bsrxmvn_3x3_kernelILj256ELj4EfiiDF16_DF16_fEEvT3_20rocsparse_direction_NS_24const_host_device_scalarIT1_EES1_PKS1_PKT2_SA_S7_PKT4_PKT5_S5_PT6_21rocsparse_index_base_b,"axG",@progbits,_ZN9rocsparseL18bsrxmvn_3x3_kernelILj256ELj4EfiiDF16_DF16_fEEvT3_20rocsparse_direction_NS_24const_host_device_scalarIT1_EES1_PKS1_PKT2_SA_S7_PKT4_PKT5_S5_PT6_21rocsparse_index_base_b,comdat
	.globl	_ZN9rocsparseL18bsrxmvn_3x3_kernelILj256ELj4EfiiDF16_DF16_fEEvT3_20rocsparse_direction_NS_24const_host_device_scalarIT1_EES1_PKS1_PKT2_SA_S7_PKT4_PKT5_S5_PT6_21rocsparse_index_base_b ; -- Begin function _ZN9rocsparseL18bsrxmvn_3x3_kernelILj256ELj4EfiiDF16_DF16_fEEvT3_20rocsparse_direction_NS_24const_host_device_scalarIT1_EES1_PKS1_PKT2_SA_S7_PKT4_PKT5_S5_PT6_21rocsparse_index_base_b
	.p2align	8
	.type	_ZN9rocsparseL18bsrxmvn_3x3_kernelILj256ELj4EfiiDF16_DF16_fEEvT3_20rocsparse_direction_NS_24const_host_device_scalarIT1_EES1_PKS1_PKT2_SA_S7_PKT4_PKT5_S5_PT6_21rocsparse_index_base_b,@function
_ZN9rocsparseL18bsrxmvn_3x3_kernelILj256ELj4EfiiDF16_DF16_fEEvT3_20rocsparse_direction_NS_24const_host_device_scalarIT1_EES1_PKS1_PKT2_SA_S7_PKT4_PKT5_S5_PT6_21rocsparse_index_base_b: ; @_ZN9rocsparseL18bsrxmvn_3x3_kernelILj256ELj4EfiiDF16_DF16_fEEvT3_20rocsparse_direction_NS_24const_host_device_scalarIT1_EES1_PKS1_PKT2_SA_S7_PKT4_PKT5_S5_PT6_21rocsparse_index_base_b
; %bb.0:
	s_clause 0x2
	s_load_b64 s[16:17], s[0:1], 0x58
	s_load_b64 s[14:15], s[0:1], 0x8
	;; [unrolled: 1-line block ×3, first 2 shown]
	s_wait_kmcnt 0x0
	s_bitcmp1_b32 s17, 0
	s_cselect_b32 s2, -1, 0
	s_delay_alu instid0(SALU_CYCLE_1)
	s_and_b32 vcc_lo, exec_lo, s2
	s_xor_b32 s2, s2, -1
	s_cbranch_vccnz .LBB90_2
; %bb.1:
	s_load_b32 s14, s[14:15], 0x0
.LBB90_2:
	s_and_not1_b32 vcc_lo, exec_lo, s2
	s_cbranch_vccnz .LBB90_4
; %bb.3:
	s_load_b32 s12, s[12:13], 0x0
.LBB90_4:
	s_wait_kmcnt 0x0
	s_cmp_neq_f32 s14, 0
	s_mov_b32 s6, 0
	s_cselect_b32 s2, -1, 0
	s_cmp_neq_f32 s12, 1.0
	s_cselect_b32 s3, -1, 0
	s_delay_alu instid0(SALU_CYCLE_1) | instskip(NEXT) | instid1(SALU_CYCLE_1)
	s_or_b32 s2, s2, s3
	s_and_not1_b32 vcc_lo, exec_lo, s2
	s_cbranch_vccnz .LBB90_10
; %bb.5:
	s_clause 0x1
	s_load_b64 s[4:5], s[0:1], 0x18
	s_load_b64 s[2:3], s[0:1], 0x0
	v_lshrrev_b32_e32 v1, 2, v0
	s_delay_alu instid0(VALU_DEP_1)
	v_lshl_or_b32 v1, ttmp9, 6, v1
	s_wait_kmcnt 0x0
	s_cmp_lg_u64 s[4:5], 0
	s_cbranch_scc0 .LBB90_11
; %bb.6:
	s_load_b32 s6, s[0:1], 0x10
	s_mov_b32 s7, 0
                                        ; implicit-def: $vgpr2
	s_wait_kmcnt 0x0
	v_cmp_gt_i32_e32 vcc_lo, s6, v1
	s_mov_b32 s6, 0
	s_and_saveexec_b32 s8, vcc_lo
	s_delay_alu instid0(SALU_CYCLE_1)
	s_xor_b32 s8, exec_lo, s8
	s_cbranch_execz .LBB90_8
; %bb.7:
	v_ashrrev_i32_e32 v2, 31, v1
	s_mov_b32 s6, exec_lo
	s_delay_alu instid0(VALU_DEP_1) | instskip(NEXT) | instid1(VALU_DEP_1)
	v_lshlrev_b64_e32 v[2:3], 2, v[1:2]
	v_add_co_u32 v2, vcc_lo, s4, v2
	s_delay_alu instid0(VALU_DEP_1)
	v_add_co_ci_u32_e64 v3, null, s5, v3, vcc_lo
	global_load_b32 v2, v[2:3], off
	s_wait_loadcnt 0x0
	v_subrev_nc_u32_e32 v2, s16, v2
.LBB90_8:
	s_or_b32 exec_lo, exec_lo, s8
	s_delay_alu instid0(SALU_CYCLE_1)
	s_and_b32 vcc_lo, exec_lo, s7
	s_wait_alu 0xfffe
	s_cbranch_vccz .LBB90_12
.LBB90_9:
	v_cmp_gt_i32_e32 vcc_lo, s2, v1
	s_and_not1_b32 s2, s6, exec_lo
	s_and_b32 s4, vcc_lo, exec_lo
	s_wait_alu 0xfffe
	s_or_b32 s6, s2, s4
	s_wait_alu 0xfffe
	s_and_saveexec_b32 s2, s6
	s_cbranch_execnz .LBB90_13
.LBB90_10:
	s_endpgm
.LBB90_11:
                                        ; implicit-def: $vgpr2
	s_cbranch_execnz .LBB90_9
.LBB90_12:
	v_mov_b32_e32 v1, v2
	s_and_saveexec_b32 s2, s6
	s_cbranch_execz .LBB90_10
.LBB90_13:
	s_load_b256 s[4:11], s[0:1], 0x20
	s_delay_alu instid0(VALU_DEP_1) | instskip(SKIP_1) | instid1(VALU_DEP_2)
	v_ashrrev_i32_e32 v2, 31, v1
	v_and_b32_e32 v0, 3, v0
	v_lshlrev_b64_e32 v[2:3], 2, v[1:2]
	s_wait_kmcnt 0x0
	s_delay_alu instid0(VALU_DEP_1) | instskip(SKIP_1) | instid1(VALU_DEP_2)
	v_add_co_u32 v4, vcc_lo, s4, v2
	s_wait_alu 0xfffd
	v_add_co_ci_u32_e64 v5, null, s5, v3, vcc_lo
	v_add_co_u32 v2, vcc_lo, s6, v2
	s_wait_alu 0xfffd
	v_add_co_ci_u32_e64 v3, null, s7, v3, vcc_lo
	;; [unrolled: 3-line block ×3, first 2 shown]
	s_cmp_eq_u64 s[6:7], 0
	global_load_b32 v4, v[4:5], off
	s_cselect_b32 vcc_lo, -1, 0
	s_load_b64 s[4:5], s[0:1], 0x40
	v_dual_cndmask_b32 v3, v3, v7 :: v_dual_cndmask_b32 v2, v2, v6
	s_cmp_eq_u32 s3, 1
	global_load_b32 v3, v[2:3], off
	s_wait_loadcnt 0x1
	v_subrev_nc_u32_e32 v2, s16, v4
	s_delay_alu instid0(VALU_DEP_1) | instskip(SKIP_2) | instid1(VALU_DEP_2)
	v_add_nc_u32_e32 v2, v2, v0
	s_wait_loadcnt 0x0
	v_subrev_nc_u32_e32 v11, s16, v3
	v_mad_co_i64_i32 v[4:5], null, v2, 18, s[10:11]
	s_delay_alu instid0(VALU_DEP_2)
	v_cmp_lt_i32_e64 s2, v2, v11
	s_cbranch_scc1 .LBB90_19
; %bb.14:
	v_dual_mov_b32 v10, 0 :: v_dual_mov_b32 v13, 0
	v_mov_b32_e32 v12, 0
	s_and_saveexec_b32 s3, s2
	s_cbranch_execz .LBB90_18
; %bb.15:
	v_dual_mov_b32 v10, 0 :: v_dual_mov_b32 v7, v5
	v_dual_mov_b32 v6, v4 :: v_dual_mov_b32 v13, 0
	v_mov_b32_e32 v8, v2
	v_mov_b32_e32 v12, 0
	s_mov_b32 s6, 0
.LBB90_16:                              ; =>This Inner Loop Header: Depth=1
	s_delay_alu instid0(VALU_DEP_2) | instskip(NEXT) | instid1(VALU_DEP_1)
	v_ashrrev_i32_e32 v9, 31, v8
	v_lshlrev_b64_e32 v[14:15], 2, v[8:9]
	v_add_nc_u32_e32 v8, 4, v8
	s_delay_alu instid0(VALU_DEP_2) | instskip(SKIP_1) | instid1(VALU_DEP_3)
	v_add_co_u32 v14, vcc_lo, s8, v14
	s_wait_alu 0xfffd
	v_add_co_ci_u32_e64 v15, null, s9, v15, vcc_lo
	global_load_b32 v3, v[14:15], off
	s_wait_loadcnt 0x0
	v_subrev_nc_u32_e32 v3, s16, v3
	s_delay_alu instid0(VALU_DEP_1) | instskip(NEXT) | instid1(VALU_DEP_1)
	v_lshl_add_u32 v14, v3, 1, v3
	v_ashrrev_i32_e32 v15, 31, v14
	s_delay_alu instid0(VALU_DEP_1) | instskip(SKIP_1) | instid1(VALU_DEP_1)
	v_lshlrev_b64_e32 v[14:15], 1, v[14:15]
	s_wait_kmcnt 0x0
	v_add_co_u32 v18, vcc_lo, s4, v14
	s_wait_alu 0xfffd
	s_delay_alu instid0(VALU_DEP_2)
	v_add_co_ci_u32_e64 v19, null, s5, v15, vcc_lo
	global_load_b128 v[14:17], v[6:7], off
	s_clause 0x1
	global_load_b32 v3, v[18:19], off
	global_load_u16 v9, v[18:19], off offset:4
	global_load_u16 v18, v[6:7], off offset:16
	v_add_co_u32 v6, vcc_lo, 0x48, v6
	s_wait_alu 0xfffd
	v_add_co_ci_u32_e64 v7, null, 0, v7, vcc_lo
	v_cmp_ge_i32_e32 vcc_lo, v8, v11
	s_wait_alu 0xfffe
	s_or_b32 s6, vcc_lo, s6
	s_wait_loadcnt 0x2
	v_fma_mix_f32 v13, v14, v3, v13 op_sel_hi:[1,1,0]
	v_fma_mix_f32 v12, v15, v3, v12 op_sel:[1,0,0] op_sel_hi:[1,1,0]
	v_fma_mix_f32 v10, v17, v3, v10 op_sel_hi:[1,1,0]
	s_delay_alu instid0(VALU_DEP_3) | instskip(NEXT) | instid1(VALU_DEP_3)
	v_fma_mix_f32 v13, v14, v3, v13 op_sel:[1,1,0] op_sel_hi:[1,1,0]
	v_fma_mix_f32 v12, v16, v3, v12 op_sel:[0,1,0] op_sel_hi:[1,1,0]
	s_delay_alu instid0(VALU_DEP_3) | instskip(SKIP_1) | instid1(VALU_DEP_3)
	v_fma_mix_f32 v3, v17, v3, v10 op_sel:[1,1,0] op_sel_hi:[1,1,0]
	s_wait_loadcnt 0x1
	v_fma_mix_f32 v13, v15, v9, v13 op_sel_hi:[1,1,0]
	s_delay_alu instid0(VALU_DEP_3)
	v_fma_mix_f32 v12, v16, v9, v12 op_sel:[1,0,0] op_sel_hi:[1,1,0]
	s_wait_loadcnt 0x0
	v_fma_mix_f32 v10, v18, v9, v3 op_sel_hi:[1,1,0]
	s_wait_alu 0xfffe
	s_and_not1_b32 exec_lo, exec_lo, s6
	s_cbranch_execnz .LBB90_16
; %bb.17:
	s_or_b32 exec_lo, exec_lo, s6
.LBB90_18:
	s_wait_alu 0xfffe
	s_or_b32 exec_lo, exec_lo, s3
	s_cbranch_execz .LBB90_20
	s_branch .LBB90_25
.LBB90_19:
                                        ; implicit-def: $vgpr10
                                        ; implicit-def: $vgpr12
                                        ; implicit-def: $vgpr13
.LBB90_20:
	v_dual_mov_b32 v10, 0 :: v_dual_mov_b32 v13, 0
	v_mov_b32_e32 v12, 0
	s_and_saveexec_b32 s3, s2
	s_cbranch_execz .LBB90_24
; %bb.21:
	v_dual_mov_b32 v10, 0 :: v_dual_mov_b32 v13, 0
	v_mov_b32_e32 v12, 0
	s_mov_b32 s2, 0
.LBB90_22:                              ; =>This Inner Loop Header: Depth=1
	v_ashrrev_i32_e32 v3, 31, v2
	s_delay_alu instid0(VALU_DEP_1) | instskip(SKIP_1) | instid1(VALU_DEP_2)
	v_lshlrev_b64_e32 v[6:7], 2, v[2:3]
	v_add_nc_u32_e32 v2, 4, v2
	v_add_co_u32 v6, vcc_lo, s8, v6
	s_wait_alu 0xfffd
	s_delay_alu instid0(VALU_DEP_3) | instskip(SKIP_3) | instid1(VALU_DEP_1)
	v_add_co_ci_u32_e64 v7, null, s9, v7, vcc_lo
	global_load_b32 v3, v[6:7], off
	s_wait_loadcnt 0x0
	v_subrev_nc_u32_e32 v3, s16, v3
	v_lshl_add_u32 v6, v3, 1, v3
	s_delay_alu instid0(VALU_DEP_1) | instskip(NEXT) | instid1(VALU_DEP_1)
	v_ashrrev_i32_e32 v7, 31, v6
	v_lshlrev_b64_e32 v[6:7], 1, v[6:7]
	s_wait_kmcnt 0x0
	s_delay_alu instid0(VALU_DEP_1) | instskip(SKIP_1) | instid1(VALU_DEP_2)
	v_add_co_u32 v14, vcc_lo, s4, v6
	s_wait_alu 0xfffd
	v_add_co_ci_u32_e64 v15, null, s5, v7, vcc_lo
	global_load_b128 v[6:9], v[4:5], off
	s_clause 0x1
	global_load_b32 v3, v[14:15], off
	global_load_u16 v14, v[14:15], off offset:4
	global_load_u16 v15, v[4:5], off offset:16
	v_add_co_u32 v4, vcc_lo, 0x48, v4
	s_wait_alu 0xfffd
	v_add_co_ci_u32_e64 v5, null, 0, v5, vcc_lo
	v_cmp_ge_i32_e32 vcc_lo, v2, v11
	s_wait_alu 0xfffe
	s_or_b32 s2, vcc_lo, s2
	s_wait_loadcnt 0x2
	v_fma_mix_f32 v13, v6, v3, v13 op_sel_hi:[1,1,0]
	v_fma_mix_f32 v6, v6, v3, v12 op_sel:[1,0,0] op_sel_hi:[1,1,0]
	v_fma_mix_f32 v10, v7, v3, v10 op_sel_hi:[1,1,0]
	s_delay_alu instid0(VALU_DEP_3) | instskip(NEXT) | instid1(VALU_DEP_3)
	v_fma_mix_f32 v7, v7, v3, v13 op_sel:[1,1,0] op_sel_hi:[1,1,0]
	v_fma_mix_f32 v6, v8, v3, v6 op_sel:[0,1,0] op_sel_hi:[1,1,0]
	s_delay_alu instid0(VALU_DEP_3) | instskip(SKIP_1) | instid1(VALU_DEP_3)
	v_fma_mix_f32 v3, v8, v3, v10 op_sel:[1,1,0] op_sel_hi:[1,1,0]
	s_wait_loadcnt 0x1
	v_fma_mix_f32 v13, v9, v14, v7 op_sel_hi:[1,1,0]
	s_delay_alu instid0(VALU_DEP_3)
	v_fma_mix_f32 v12, v9, v14, v6 op_sel:[1,0,0] op_sel_hi:[1,1,0]
	s_wait_loadcnt 0x0
	v_fma_mix_f32 v10, v15, v14, v3 op_sel_hi:[1,1,0]
	s_wait_alu 0xfffe
	s_and_not1_b32 exec_lo, exec_lo, s2
	s_cbranch_execnz .LBB90_22
; %bb.23:
	s_or_b32 exec_lo, exec_lo, s2
.LBB90_24:
	s_wait_alu 0xfffe
	s_or_b32 exec_lo, exec_lo, s3
.LBB90_25:
	v_mbcnt_lo_u32_b32 v2, -1, 0
	s_mov_b32 s2, -1
	s_delay_alu instid0(VALU_DEP_1) | instskip(NEXT) | instid1(VALU_DEP_1)
	v_xor_b32_e32 v3, 2, v2
	v_cmp_gt_i32_e32 vcc_lo, 32, v3
	s_wait_alu 0xfffd
	v_cndmask_b32_e32 v3, v2, v3, vcc_lo
	s_delay_alu instid0(VALU_DEP_1) | instskip(SKIP_4) | instid1(VALU_DEP_1)
	v_lshlrev_b32_e32 v3, 2, v3
	ds_bpermute_b32 v4, v3, v13
	ds_bpermute_b32 v5, v3, v12
	;; [unrolled: 1-line block ×3, first 2 shown]
	v_xor_b32_e32 v3, 1, v2
	v_cmp_gt_i32_e32 vcc_lo, 32, v3
	s_wait_alu 0xfffd
	v_cndmask_b32_e32 v2, v2, v3, vcc_lo
	v_cmp_eq_u32_e32 vcc_lo, 3, v0
	s_wait_dscnt 0x1
	v_add_f32_e32 v3, v12, v5
	s_delay_alu instid0(VALU_DEP_3)
	v_dual_add_f32 v2, v13, v4 :: v_dual_lshlrev_b32 v7, 2, v2
	s_wait_dscnt 0x0
	v_add_f32_e32 v4, v10, v6
	ds_bpermute_b32 v6, v7, v3
	ds_bpermute_b32 v5, v7, v2
	;; [unrolled: 1-line block ×3, first 2 shown]
	s_and_b32 exec_lo, exec_lo, vcc_lo
	s_cbranch_execz .LBB90_10
; %bb.26:
	s_load_b64 s[0:1], s[0:1], 0x50
	s_wait_dscnt 0x1
	v_add_f32_e32 v0, v2, v5
	v_add_f32_e32 v2, v3, v6
	s_wait_dscnt 0x0
	v_add_f32_e32 v4, v4, v7
	v_lshl_add_u32 v3, v1, 1, v1
	s_cmp_eq_f32 s12, 0
	v_dual_mul_f32 v1, s14, v2 :: v_dual_mul_f32 v0, s14, v0
	s_delay_alu instid0(VALU_DEP_3) | instskip(NEXT) | instid1(VALU_DEP_3)
	v_mul_f32_e32 v2, s14, v4
	v_ashrrev_i32_e32 v4, 31, v3
	s_cbranch_scc0 .LBB90_28
; %bb.27:
	s_delay_alu instid0(VALU_DEP_1) | instskip(SKIP_2) | instid1(VALU_DEP_1)
	v_lshlrev_b64_e32 v[5:6], 2, v[3:4]
	s_mov_b32 s2, 0
	s_wait_kmcnt 0x0
	v_add_co_u32 v5, vcc_lo, s0, v5
	s_wait_alu 0xfffd
	s_delay_alu instid0(VALU_DEP_2)
	v_add_co_ci_u32_e64 v6, null, s1, v6, vcc_lo
	global_store_b96 v[5:6], v[0:2], off
.LBB90_28:
	s_wait_alu 0xfffe
	s_and_not1_b32 vcc_lo, exec_lo, s2
	s_wait_alu 0xfffe
	s_cbranch_vccnz .LBB90_10
; %bb.29:
	v_lshlrev_b64_e32 v[3:4], 2, v[3:4]
	s_wait_kmcnt 0x0
	s_delay_alu instid0(VALU_DEP_1) | instskip(SKIP_1) | instid1(VALU_DEP_2)
	v_add_co_u32 v6, vcc_lo, s0, v3
	s_wait_alu 0xfffd
	v_add_co_ci_u32_e64 v7, null, s1, v4, vcc_lo
	global_load_b96 v[3:5], v[6:7], off
	s_wait_loadcnt 0x0
	v_dual_fmac_f32 v0, s12, v3 :: v_dual_fmac_f32 v1, s12, v4
	v_fmac_f32_e32 v2, s12, v5
	global_store_b96 v[6:7], v[0:2], off
	s_endpgm
	.section	.rodata,"a",@progbits
	.p2align	6, 0x0
	.amdhsa_kernel _ZN9rocsparseL18bsrxmvn_3x3_kernelILj256ELj4EfiiDF16_DF16_fEEvT3_20rocsparse_direction_NS_24const_host_device_scalarIT1_EES1_PKS1_PKT2_SA_S7_PKT4_PKT5_S5_PT6_21rocsparse_index_base_b
		.amdhsa_group_segment_fixed_size 0
		.amdhsa_private_segment_fixed_size 0
		.amdhsa_kernarg_size 96
		.amdhsa_user_sgpr_count 2
		.amdhsa_user_sgpr_dispatch_ptr 0
		.amdhsa_user_sgpr_queue_ptr 0
		.amdhsa_user_sgpr_kernarg_segment_ptr 1
		.amdhsa_user_sgpr_dispatch_id 0
		.amdhsa_user_sgpr_private_segment_size 0
		.amdhsa_wavefront_size32 1
		.amdhsa_uses_dynamic_stack 0
		.amdhsa_enable_private_segment 0
		.amdhsa_system_sgpr_workgroup_id_x 1
		.amdhsa_system_sgpr_workgroup_id_y 0
		.amdhsa_system_sgpr_workgroup_id_z 0
		.amdhsa_system_sgpr_workgroup_info 0
		.amdhsa_system_vgpr_workitem_id 0
		.amdhsa_next_free_vgpr 20
		.amdhsa_next_free_sgpr 18
		.amdhsa_reserve_vcc 1
		.amdhsa_float_round_mode_32 0
		.amdhsa_float_round_mode_16_64 0
		.amdhsa_float_denorm_mode_32 3
		.amdhsa_float_denorm_mode_16_64 3
		.amdhsa_fp16_overflow 0
		.amdhsa_workgroup_processor_mode 1
		.amdhsa_memory_ordered 1
		.amdhsa_forward_progress 1
		.amdhsa_inst_pref_size 13
		.amdhsa_round_robin_scheduling 0
		.amdhsa_exception_fp_ieee_invalid_op 0
		.amdhsa_exception_fp_denorm_src 0
		.amdhsa_exception_fp_ieee_div_zero 0
		.amdhsa_exception_fp_ieee_overflow 0
		.amdhsa_exception_fp_ieee_underflow 0
		.amdhsa_exception_fp_ieee_inexact 0
		.amdhsa_exception_int_div_zero 0
	.end_amdhsa_kernel
	.section	.text._ZN9rocsparseL18bsrxmvn_3x3_kernelILj256ELj4EfiiDF16_DF16_fEEvT3_20rocsparse_direction_NS_24const_host_device_scalarIT1_EES1_PKS1_PKT2_SA_S7_PKT4_PKT5_S5_PT6_21rocsparse_index_base_b,"axG",@progbits,_ZN9rocsparseL18bsrxmvn_3x3_kernelILj256ELj4EfiiDF16_DF16_fEEvT3_20rocsparse_direction_NS_24const_host_device_scalarIT1_EES1_PKS1_PKT2_SA_S7_PKT4_PKT5_S5_PT6_21rocsparse_index_base_b,comdat
.Lfunc_end90:
	.size	_ZN9rocsparseL18bsrxmvn_3x3_kernelILj256ELj4EfiiDF16_DF16_fEEvT3_20rocsparse_direction_NS_24const_host_device_scalarIT1_EES1_PKS1_PKT2_SA_S7_PKT4_PKT5_S5_PT6_21rocsparse_index_base_b, .Lfunc_end90-_ZN9rocsparseL18bsrxmvn_3x3_kernelILj256ELj4EfiiDF16_DF16_fEEvT3_20rocsparse_direction_NS_24const_host_device_scalarIT1_EES1_PKS1_PKT2_SA_S7_PKT4_PKT5_S5_PT6_21rocsparse_index_base_b
                                        ; -- End function
	.set _ZN9rocsparseL18bsrxmvn_3x3_kernelILj256ELj4EfiiDF16_DF16_fEEvT3_20rocsparse_direction_NS_24const_host_device_scalarIT1_EES1_PKS1_PKT2_SA_S7_PKT4_PKT5_S5_PT6_21rocsparse_index_base_b.num_vgpr, 20
	.set _ZN9rocsparseL18bsrxmvn_3x3_kernelILj256ELj4EfiiDF16_DF16_fEEvT3_20rocsparse_direction_NS_24const_host_device_scalarIT1_EES1_PKS1_PKT2_SA_S7_PKT4_PKT5_S5_PT6_21rocsparse_index_base_b.num_agpr, 0
	.set _ZN9rocsparseL18bsrxmvn_3x3_kernelILj256ELj4EfiiDF16_DF16_fEEvT3_20rocsparse_direction_NS_24const_host_device_scalarIT1_EES1_PKS1_PKT2_SA_S7_PKT4_PKT5_S5_PT6_21rocsparse_index_base_b.numbered_sgpr, 18
	.set _ZN9rocsparseL18bsrxmvn_3x3_kernelILj256ELj4EfiiDF16_DF16_fEEvT3_20rocsparse_direction_NS_24const_host_device_scalarIT1_EES1_PKS1_PKT2_SA_S7_PKT4_PKT5_S5_PT6_21rocsparse_index_base_b.num_named_barrier, 0
	.set _ZN9rocsparseL18bsrxmvn_3x3_kernelILj256ELj4EfiiDF16_DF16_fEEvT3_20rocsparse_direction_NS_24const_host_device_scalarIT1_EES1_PKS1_PKT2_SA_S7_PKT4_PKT5_S5_PT6_21rocsparse_index_base_b.private_seg_size, 0
	.set _ZN9rocsparseL18bsrxmvn_3x3_kernelILj256ELj4EfiiDF16_DF16_fEEvT3_20rocsparse_direction_NS_24const_host_device_scalarIT1_EES1_PKS1_PKT2_SA_S7_PKT4_PKT5_S5_PT6_21rocsparse_index_base_b.uses_vcc, 1
	.set _ZN9rocsparseL18bsrxmvn_3x3_kernelILj256ELj4EfiiDF16_DF16_fEEvT3_20rocsparse_direction_NS_24const_host_device_scalarIT1_EES1_PKS1_PKT2_SA_S7_PKT4_PKT5_S5_PT6_21rocsparse_index_base_b.uses_flat_scratch, 0
	.set _ZN9rocsparseL18bsrxmvn_3x3_kernelILj256ELj4EfiiDF16_DF16_fEEvT3_20rocsparse_direction_NS_24const_host_device_scalarIT1_EES1_PKS1_PKT2_SA_S7_PKT4_PKT5_S5_PT6_21rocsparse_index_base_b.has_dyn_sized_stack, 0
	.set _ZN9rocsparseL18bsrxmvn_3x3_kernelILj256ELj4EfiiDF16_DF16_fEEvT3_20rocsparse_direction_NS_24const_host_device_scalarIT1_EES1_PKS1_PKT2_SA_S7_PKT4_PKT5_S5_PT6_21rocsparse_index_base_b.has_recursion, 0
	.set _ZN9rocsparseL18bsrxmvn_3x3_kernelILj256ELj4EfiiDF16_DF16_fEEvT3_20rocsparse_direction_NS_24const_host_device_scalarIT1_EES1_PKS1_PKT2_SA_S7_PKT4_PKT5_S5_PT6_21rocsparse_index_base_b.has_indirect_call, 0
	.section	.AMDGPU.csdata,"",@progbits
; Kernel info:
; codeLenInByte = 1608
; TotalNumSgprs: 20
; NumVgprs: 20
; ScratchSize: 0
; MemoryBound: 0
; FloatMode: 240
; IeeeMode: 1
; LDSByteSize: 0 bytes/workgroup (compile time only)
; SGPRBlocks: 0
; VGPRBlocks: 2
; NumSGPRsForWavesPerEU: 20
; NumVGPRsForWavesPerEU: 20
; Occupancy: 16
; WaveLimiterHint : 1
; COMPUTE_PGM_RSRC2:SCRATCH_EN: 0
; COMPUTE_PGM_RSRC2:USER_SGPR: 2
; COMPUTE_PGM_RSRC2:TRAP_HANDLER: 0
; COMPUTE_PGM_RSRC2:TGID_X_EN: 1
; COMPUTE_PGM_RSRC2:TGID_Y_EN: 0
; COMPUTE_PGM_RSRC2:TGID_Z_EN: 0
; COMPUTE_PGM_RSRC2:TIDIG_COMP_CNT: 0
	.section	.text._ZN9rocsparseL18bsrxmvn_3x3_kernelILj256ELj8EfiiDF16_DF16_fEEvT3_20rocsparse_direction_NS_24const_host_device_scalarIT1_EES1_PKS1_PKT2_SA_S7_PKT4_PKT5_S5_PT6_21rocsparse_index_base_b,"axG",@progbits,_ZN9rocsparseL18bsrxmvn_3x3_kernelILj256ELj8EfiiDF16_DF16_fEEvT3_20rocsparse_direction_NS_24const_host_device_scalarIT1_EES1_PKS1_PKT2_SA_S7_PKT4_PKT5_S5_PT6_21rocsparse_index_base_b,comdat
	.globl	_ZN9rocsparseL18bsrxmvn_3x3_kernelILj256ELj8EfiiDF16_DF16_fEEvT3_20rocsparse_direction_NS_24const_host_device_scalarIT1_EES1_PKS1_PKT2_SA_S7_PKT4_PKT5_S5_PT6_21rocsparse_index_base_b ; -- Begin function _ZN9rocsparseL18bsrxmvn_3x3_kernelILj256ELj8EfiiDF16_DF16_fEEvT3_20rocsparse_direction_NS_24const_host_device_scalarIT1_EES1_PKS1_PKT2_SA_S7_PKT4_PKT5_S5_PT6_21rocsparse_index_base_b
	.p2align	8
	.type	_ZN9rocsparseL18bsrxmvn_3x3_kernelILj256ELj8EfiiDF16_DF16_fEEvT3_20rocsparse_direction_NS_24const_host_device_scalarIT1_EES1_PKS1_PKT2_SA_S7_PKT4_PKT5_S5_PT6_21rocsparse_index_base_b,@function
_ZN9rocsparseL18bsrxmvn_3x3_kernelILj256ELj8EfiiDF16_DF16_fEEvT3_20rocsparse_direction_NS_24const_host_device_scalarIT1_EES1_PKS1_PKT2_SA_S7_PKT4_PKT5_S5_PT6_21rocsparse_index_base_b: ; @_ZN9rocsparseL18bsrxmvn_3x3_kernelILj256ELj8EfiiDF16_DF16_fEEvT3_20rocsparse_direction_NS_24const_host_device_scalarIT1_EES1_PKS1_PKT2_SA_S7_PKT4_PKT5_S5_PT6_21rocsparse_index_base_b
; %bb.0:
	s_clause 0x2
	s_load_b64 s[16:17], s[0:1], 0x58
	s_load_b64 s[14:15], s[0:1], 0x8
	;; [unrolled: 1-line block ×3, first 2 shown]
	s_wait_kmcnt 0x0
	s_bitcmp1_b32 s17, 0
	s_cselect_b32 s2, -1, 0
	s_delay_alu instid0(SALU_CYCLE_1)
	s_and_b32 vcc_lo, exec_lo, s2
	s_xor_b32 s2, s2, -1
	s_cbranch_vccnz .LBB91_2
; %bb.1:
	s_load_b32 s14, s[14:15], 0x0
.LBB91_2:
	s_and_not1_b32 vcc_lo, exec_lo, s2
	s_cbranch_vccnz .LBB91_4
; %bb.3:
	s_load_b32 s12, s[12:13], 0x0
.LBB91_4:
	s_wait_kmcnt 0x0
	s_cmp_neq_f32 s14, 0
	s_mov_b32 s6, 0
	s_cselect_b32 s2, -1, 0
	s_cmp_neq_f32 s12, 1.0
	s_cselect_b32 s3, -1, 0
	s_delay_alu instid0(SALU_CYCLE_1) | instskip(NEXT) | instid1(SALU_CYCLE_1)
	s_or_b32 s2, s2, s3
	s_and_not1_b32 vcc_lo, exec_lo, s2
	s_cbranch_vccnz .LBB91_10
; %bb.5:
	s_clause 0x1
	s_load_b64 s[4:5], s[0:1], 0x18
	s_load_b64 s[2:3], s[0:1], 0x0
	v_lshrrev_b32_e32 v1, 3, v0
	s_delay_alu instid0(VALU_DEP_1)
	v_lshl_or_b32 v1, ttmp9, 5, v1
	s_wait_kmcnt 0x0
	s_cmp_lg_u64 s[4:5], 0
	s_cbranch_scc0 .LBB91_11
; %bb.6:
	s_load_b32 s6, s[0:1], 0x10
	s_mov_b32 s7, 0
                                        ; implicit-def: $vgpr2
	s_wait_kmcnt 0x0
	v_cmp_gt_i32_e32 vcc_lo, s6, v1
	s_mov_b32 s6, 0
	s_and_saveexec_b32 s8, vcc_lo
	s_delay_alu instid0(SALU_CYCLE_1)
	s_xor_b32 s8, exec_lo, s8
	s_cbranch_execz .LBB91_8
; %bb.7:
	v_ashrrev_i32_e32 v2, 31, v1
	s_mov_b32 s6, exec_lo
	s_delay_alu instid0(VALU_DEP_1) | instskip(NEXT) | instid1(VALU_DEP_1)
	v_lshlrev_b64_e32 v[2:3], 2, v[1:2]
	v_add_co_u32 v2, vcc_lo, s4, v2
	s_delay_alu instid0(VALU_DEP_1)
	v_add_co_ci_u32_e64 v3, null, s5, v3, vcc_lo
	global_load_b32 v2, v[2:3], off
	s_wait_loadcnt 0x0
	v_subrev_nc_u32_e32 v2, s16, v2
.LBB91_8:
	s_or_b32 exec_lo, exec_lo, s8
	s_delay_alu instid0(SALU_CYCLE_1)
	s_and_b32 vcc_lo, exec_lo, s7
	s_wait_alu 0xfffe
	s_cbranch_vccz .LBB91_12
.LBB91_9:
	v_cmp_gt_i32_e32 vcc_lo, s2, v1
	s_and_not1_b32 s2, s6, exec_lo
	s_and_b32 s4, vcc_lo, exec_lo
	s_wait_alu 0xfffe
	s_or_b32 s6, s2, s4
	s_wait_alu 0xfffe
	s_and_saveexec_b32 s2, s6
	s_cbranch_execnz .LBB91_13
.LBB91_10:
	s_endpgm
.LBB91_11:
                                        ; implicit-def: $vgpr2
	s_cbranch_execnz .LBB91_9
.LBB91_12:
	v_mov_b32_e32 v1, v2
	s_and_saveexec_b32 s2, s6
	s_cbranch_execz .LBB91_10
.LBB91_13:
	s_load_b256 s[4:11], s[0:1], 0x20
	s_delay_alu instid0(VALU_DEP_1) | instskip(SKIP_1) | instid1(VALU_DEP_2)
	v_ashrrev_i32_e32 v2, 31, v1
	v_and_b32_e32 v0, 7, v0
	v_lshlrev_b64_e32 v[2:3], 2, v[1:2]
	s_wait_kmcnt 0x0
	s_delay_alu instid0(VALU_DEP_1) | instskip(SKIP_1) | instid1(VALU_DEP_2)
	v_add_co_u32 v4, vcc_lo, s4, v2
	s_wait_alu 0xfffd
	v_add_co_ci_u32_e64 v5, null, s5, v3, vcc_lo
	v_add_co_u32 v2, vcc_lo, s6, v2
	s_wait_alu 0xfffd
	v_add_co_ci_u32_e64 v3, null, s7, v3, vcc_lo
	;; [unrolled: 3-line block ×3, first 2 shown]
	s_cmp_eq_u64 s[6:7], 0
	global_load_b32 v4, v[4:5], off
	s_cselect_b32 vcc_lo, -1, 0
	s_load_b64 s[4:5], s[0:1], 0x40
	v_dual_cndmask_b32 v3, v3, v7 :: v_dual_cndmask_b32 v2, v2, v6
	s_cmp_eq_u32 s3, 1
	global_load_b32 v3, v[2:3], off
	s_wait_loadcnt 0x1
	v_subrev_nc_u32_e32 v2, s16, v4
	s_delay_alu instid0(VALU_DEP_1) | instskip(SKIP_2) | instid1(VALU_DEP_2)
	v_add_nc_u32_e32 v2, v2, v0
	s_wait_loadcnt 0x0
	v_subrev_nc_u32_e32 v11, s16, v3
	v_mad_co_i64_i32 v[4:5], null, v2, 18, s[10:11]
	s_delay_alu instid0(VALU_DEP_2)
	v_cmp_lt_i32_e64 s2, v2, v11
	s_cbranch_scc1 .LBB91_19
; %bb.14:
	v_dual_mov_b32 v10, 0 :: v_dual_mov_b32 v13, 0
	v_mov_b32_e32 v12, 0
	s_and_saveexec_b32 s3, s2
	s_cbranch_execz .LBB91_18
; %bb.15:
	v_dual_mov_b32 v10, 0 :: v_dual_mov_b32 v7, v5
	v_dual_mov_b32 v6, v4 :: v_dual_mov_b32 v13, 0
	v_mov_b32_e32 v8, v2
	v_mov_b32_e32 v12, 0
	s_mov_b32 s6, 0
.LBB91_16:                              ; =>This Inner Loop Header: Depth=1
	s_delay_alu instid0(VALU_DEP_2) | instskip(NEXT) | instid1(VALU_DEP_1)
	v_ashrrev_i32_e32 v9, 31, v8
	v_lshlrev_b64_e32 v[14:15], 2, v[8:9]
	v_add_nc_u32_e32 v8, 8, v8
	s_delay_alu instid0(VALU_DEP_2) | instskip(SKIP_1) | instid1(VALU_DEP_3)
	v_add_co_u32 v14, vcc_lo, s8, v14
	s_wait_alu 0xfffd
	v_add_co_ci_u32_e64 v15, null, s9, v15, vcc_lo
	global_load_b32 v3, v[14:15], off
	s_wait_loadcnt 0x0
	v_subrev_nc_u32_e32 v3, s16, v3
	s_delay_alu instid0(VALU_DEP_1) | instskip(NEXT) | instid1(VALU_DEP_1)
	v_lshl_add_u32 v14, v3, 1, v3
	v_ashrrev_i32_e32 v15, 31, v14
	s_delay_alu instid0(VALU_DEP_1) | instskip(SKIP_1) | instid1(VALU_DEP_1)
	v_lshlrev_b64_e32 v[14:15], 1, v[14:15]
	s_wait_kmcnt 0x0
	v_add_co_u32 v18, vcc_lo, s4, v14
	s_wait_alu 0xfffd
	s_delay_alu instid0(VALU_DEP_2)
	v_add_co_ci_u32_e64 v19, null, s5, v15, vcc_lo
	global_load_b128 v[14:17], v[6:7], off
	s_clause 0x1
	global_load_b32 v3, v[18:19], off
	global_load_u16 v9, v[18:19], off offset:4
	global_load_u16 v18, v[6:7], off offset:16
	v_add_co_u32 v6, vcc_lo, 0x90, v6
	s_wait_alu 0xfffd
	v_add_co_ci_u32_e64 v7, null, 0, v7, vcc_lo
	v_cmp_ge_i32_e32 vcc_lo, v8, v11
	s_wait_alu 0xfffe
	s_or_b32 s6, vcc_lo, s6
	s_wait_loadcnt 0x2
	v_fma_mix_f32 v13, v14, v3, v13 op_sel_hi:[1,1,0]
	v_fma_mix_f32 v12, v15, v3, v12 op_sel:[1,0,0] op_sel_hi:[1,1,0]
	v_fma_mix_f32 v10, v17, v3, v10 op_sel_hi:[1,1,0]
	s_delay_alu instid0(VALU_DEP_3) | instskip(NEXT) | instid1(VALU_DEP_3)
	v_fma_mix_f32 v13, v14, v3, v13 op_sel:[1,1,0] op_sel_hi:[1,1,0]
	v_fma_mix_f32 v12, v16, v3, v12 op_sel:[0,1,0] op_sel_hi:[1,1,0]
	s_delay_alu instid0(VALU_DEP_3) | instskip(SKIP_1) | instid1(VALU_DEP_3)
	v_fma_mix_f32 v3, v17, v3, v10 op_sel:[1,1,0] op_sel_hi:[1,1,0]
	s_wait_loadcnt 0x1
	v_fma_mix_f32 v13, v15, v9, v13 op_sel_hi:[1,1,0]
	s_delay_alu instid0(VALU_DEP_3)
	v_fma_mix_f32 v12, v16, v9, v12 op_sel:[1,0,0] op_sel_hi:[1,1,0]
	s_wait_loadcnt 0x0
	v_fma_mix_f32 v10, v18, v9, v3 op_sel_hi:[1,1,0]
	s_wait_alu 0xfffe
	s_and_not1_b32 exec_lo, exec_lo, s6
	s_cbranch_execnz .LBB91_16
; %bb.17:
	s_or_b32 exec_lo, exec_lo, s6
.LBB91_18:
	s_wait_alu 0xfffe
	s_or_b32 exec_lo, exec_lo, s3
	s_cbranch_execz .LBB91_20
	s_branch .LBB91_25
.LBB91_19:
                                        ; implicit-def: $vgpr10
                                        ; implicit-def: $vgpr12
                                        ; implicit-def: $vgpr13
.LBB91_20:
	v_dual_mov_b32 v10, 0 :: v_dual_mov_b32 v13, 0
	v_mov_b32_e32 v12, 0
	s_and_saveexec_b32 s3, s2
	s_cbranch_execz .LBB91_24
; %bb.21:
	v_dual_mov_b32 v10, 0 :: v_dual_mov_b32 v13, 0
	v_mov_b32_e32 v12, 0
	s_mov_b32 s2, 0
.LBB91_22:                              ; =>This Inner Loop Header: Depth=1
	v_ashrrev_i32_e32 v3, 31, v2
	s_delay_alu instid0(VALU_DEP_1) | instskip(SKIP_1) | instid1(VALU_DEP_2)
	v_lshlrev_b64_e32 v[6:7], 2, v[2:3]
	v_add_nc_u32_e32 v2, 8, v2
	v_add_co_u32 v6, vcc_lo, s8, v6
	s_wait_alu 0xfffd
	s_delay_alu instid0(VALU_DEP_3) | instskip(SKIP_3) | instid1(VALU_DEP_1)
	v_add_co_ci_u32_e64 v7, null, s9, v7, vcc_lo
	global_load_b32 v3, v[6:7], off
	s_wait_loadcnt 0x0
	v_subrev_nc_u32_e32 v3, s16, v3
	v_lshl_add_u32 v6, v3, 1, v3
	s_delay_alu instid0(VALU_DEP_1) | instskip(NEXT) | instid1(VALU_DEP_1)
	v_ashrrev_i32_e32 v7, 31, v6
	v_lshlrev_b64_e32 v[6:7], 1, v[6:7]
	s_wait_kmcnt 0x0
	s_delay_alu instid0(VALU_DEP_1) | instskip(SKIP_1) | instid1(VALU_DEP_2)
	v_add_co_u32 v14, vcc_lo, s4, v6
	s_wait_alu 0xfffd
	v_add_co_ci_u32_e64 v15, null, s5, v7, vcc_lo
	global_load_b128 v[6:9], v[4:5], off
	s_clause 0x1
	global_load_b32 v3, v[14:15], off
	global_load_u16 v14, v[14:15], off offset:4
	global_load_u16 v15, v[4:5], off offset:16
	v_add_co_u32 v4, vcc_lo, 0x90, v4
	s_wait_alu 0xfffd
	v_add_co_ci_u32_e64 v5, null, 0, v5, vcc_lo
	v_cmp_ge_i32_e32 vcc_lo, v2, v11
	s_wait_alu 0xfffe
	s_or_b32 s2, vcc_lo, s2
	s_wait_loadcnt 0x2
	v_fma_mix_f32 v13, v6, v3, v13 op_sel_hi:[1,1,0]
	v_fma_mix_f32 v6, v6, v3, v12 op_sel:[1,0,0] op_sel_hi:[1,1,0]
	v_fma_mix_f32 v10, v7, v3, v10 op_sel_hi:[1,1,0]
	s_delay_alu instid0(VALU_DEP_3) | instskip(NEXT) | instid1(VALU_DEP_3)
	v_fma_mix_f32 v7, v7, v3, v13 op_sel:[1,1,0] op_sel_hi:[1,1,0]
	v_fma_mix_f32 v6, v8, v3, v6 op_sel:[0,1,0] op_sel_hi:[1,1,0]
	s_delay_alu instid0(VALU_DEP_3) | instskip(SKIP_1) | instid1(VALU_DEP_3)
	v_fma_mix_f32 v3, v8, v3, v10 op_sel:[1,1,0] op_sel_hi:[1,1,0]
	s_wait_loadcnt 0x1
	v_fma_mix_f32 v13, v9, v14, v7 op_sel_hi:[1,1,0]
	s_delay_alu instid0(VALU_DEP_3)
	v_fma_mix_f32 v12, v9, v14, v6 op_sel:[1,0,0] op_sel_hi:[1,1,0]
	s_wait_loadcnt 0x0
	v_fma_mix_f32 v10, v15, v14, v3 op_sel_hi:[1,1,0]
	s_wait_alu 0xfffe
	s_and_not1_b32 exec_lo, exec_lo, s2
	s_cbranch_execnz .LBB91_22
; %bb.23:
	s_or_b32 exec_lo, exec_lo, s2
.LBB91_24:
	s_wait_alu 0xfffe
	s_or_b32 exec_lo, exec_lo, s3
.LBB91_25:
	v_mbcnt_lo_u32_b32 v2, -1, 0
	s_mov_b32 s2, -1
	s_delay_alu instid0(VALU_DEP_1) | instskip(SKIP_2) | instid1(VALU_DEP_3)
	v_xor_b32_e32 v3, 4, v2
	v_xor_b32_e32 v6, 2, v2
	;; [unrolled: 1-line block ×3, first 2 shown]
	v_cmp_gt_i32_e32 vcc_lo, 32, v3
	s_wait_alu 0xfffd
	v_cndmask_b32_e32 v3, v2, v3, vcc_lo
	v_cmp_gt_i32_e32 vcc_lo, 32, v6
	s_wait_alu 0xfffd
	v_cndmask_b32_e32 v6, v2, v6, vcc_lo
	v_cmp_gt_i32_e32 vcc_lo, 32, v9
	s_delay_alu instid0(VALU_DEP_2)
	v_lshlrev_b32_e32 v6, 2, v6
	v_lshlrev_b32_e32 v3, 2, v3
	ds_bpermute_b32 v4, v3, v13
	s_wait_dscnt 0x0
	v_add_f32_e32 v4, v13, v4
	ds_bpermute_b32 v5, v3, v12
	ds_bpermute_b32 v3, v3, v10
	s_wait_dscnt 0x1
	v_add_f32_e32 v5, v12, v5
	s_wait_dscnt 0x0
	v_add_f32_e32 v7, v10, v3
	ds_bpermute_b32 v3, v6, v4
	ds_bpermute_b32 v8, v6, v5
	;; [unrolled: 1-line block ×3, first 2 shown]
	s_wait_alu 0xfffd
	v_cndmask_b32_e32 v2, v2, v9, vcc_lo
	v_cmp_eq_u32_e32 vcc_lo, 7, v0
	s_wait_dscnt 0x2
	s_delay_alu instid0(VALU_DEP_2)
	v_dual_add_f32 v2, v4, v3 :: v_dual_lshlrev_b32 v9, 2, v2
	s_wait_dscnt 0x0
	v_dual_add_f32 v3, v5, v8 :: v_dual_add_f32 v4, v7, v6
	ds_bpermute_b32 v5, v9, v2
	ds_bpermute_b32 v6, v9, v3
	;; [unrolled: 1-line block ×3, first 2 shown]
	s_and_b32 exec_lo, exec_lo, vcc_lo
	s_cbranch_execz .LBB91_10
; %bb.26:
	s_load_b64 s[0:1], s[0:1], 0x50
	s_wait_dscnt 0x2
	v_add_f32_e32 v0, v2, v5
	s_wait_dscnt 0x1
	v_add_f32_e32 v2, v3, v6
	;; [unrolled: 2-line block ×3, first 2 shown]
	v_lshl_add_u32 v3, v1, 1, v1
	s_cmp_eq_f32 s12, 0
	v_dual_mul_f32 v1, s14, v2 :: v_dual_mul_f32 v0, s14, v0
	s_delay_alu instid0(VALU_DEP_3) | instskip(NEXT) | instid1(VALU_DEP_3)
	v_mul_f32_e32 v2, s14, v4
	v_ashrrev_i32_e32 v4, 31, v3
	s_cbranch_scc0 .LBB91_28
; %bb.27:
	s_delay_alu instid0(VALU_DEP_1) | instskip(SKIP_2) | instid1(VALU_DEP_1)
	v_lshlrev_b64_e32 v[5:6], 2, v[3:4]
	s_mov_b32 s2, 0
	s_wait_kmcnt 0x0
	v_add_co_u32 v5, vcc_lo, s0, v5
	s_wait_alu 0xfffd
	s_delay_alu instid0(VALU_DEP_2)
	v_add_co_ci_u32_e64 v6, null, s1, v6, vcc_lo
	global_store_b96 v[5:6], v[0:2], off
.LBB91_28:
	s_wait_alu 0xfffe
	s_and_not1_b32 vcc_lo, exec_lo, s2
	s_wait_alu 0xfffe
	s_cbranch_vccnz .LBB91_10
; %bb.29:
	v_lshlrev_b64_e32 v[3:4], 2, v[3:4]
	s_wait_kmcnt 0x0
	s_delay_alu instid0(VALU_DEP_1) | instskip(SKIP_1) | instid1(VALU_DEP_2)
	v_add_co_u32 v6, vcc_lo, s0, v3
	s_wait_alu 0xfffd
	v_add_co_ci_u32_e64 v7, null, s1, v4, vcc_lo
	global_load_b96 v[3:5], v[6:7], off
	s_wait_loadcnt 0x0
	v_dual_fmac_f32 v0, s12, v3 :: v_dual_fmac_f32 v1, s12, v4
	v_fmac_f32_e32 v2, s12, v5
	global_store_b96 v[6:7], v[0:2], off
	s_endpgm
	.section	.rodata,"a",@progbits
	.p2align	6, 0x0
	.amdhsa_kernel _ZN9rocsparseL18bsrxmvn_3x3_kernelILj256ELj8EfiiDF16_DF16_fEEvT3_20rocsparse_direction_NS_24const_host_device_scalarIT1_EES1_PKS1_PKT2_SA_S7_PKT4_PKT5_S5_PT6_21rocsparse_index_base_b
		.amdhsa_group_segment_fixed_size 0
		.amdhsa_private_segment_fixed_size 0
		.amdhsa_kernarg_size 96
		.amdhsa_user_sgpr_count 2
		.amdhsa_user_sgpr_dispatch_ptr 0
		.amdhsa_user_sgpr_queue_ptr 0
		.amdhsa_user_sgpr_kernarg_segment_ptr 1
		.amdhsa_user_sgpr_dispatch_id 0
		.amdhsa_user_sgpr_private_segment_size 0
		.amdhsa_wavefront_size32 1
		.amdhsa_uses_dynamic_stack 0
		.amdhsa_enable_private_segment 0
		.amdhsa_system_sgpr_workgroup_id_x 1
		.amdhsa_system_sgpr_workgroup_id_y 0
		.amdhsa_system_sgpr_workgroup_id_z 0
		.amdhsa_system_sgpr_workgroup_info 0
		.amdhsa_system_vgpr_workitem_id 0
		.amdhsa_next_free_vgpr 20
		.amdhsa_next_free_sgpr 18
		.amdhsa_reserve_vcc 1
		.amdhsa_float_round_mode_32 0
		.amdhsa_float_round_mode_16_64 0
		.amdhsa_float_denorm_mode_32 3
		.amdhsa_float_denorm_mode_16_64 3
		.amdhsa_fp16_overflow 0
		.amdhsa_workgroup_processor_mode 1
		.amdhsa_memory_ordered 1
		.amdhsa_forward_progress 1
		.amdhsa_inst_pref_size 14
		.amdhsa_round_robin_scheduling 0
		.amdhsa_exception_fp_ieee_invalid_op 0
		.amdhsa_exception_fp_denorm_src 0
		.amdhsa_exception_fp_ieee_div_zero 0
		.amdhsa_exception_fp_ieee_overflow 0
		.amdhsa_exception_fp_ieee_underflow 0
		.amdhsa_exception_fp_ieee_inexact 0
		.amdhsa_exception_int_div_zero 0
	.end_amdhsa_kernel
	.section	.text._ZN9rocsparseL18bsrxmvn_3x3_kernelILj256ELj8EfiiDF16_DF16_fEEvT3_20rocsparse_direction_NS_24const_host_device_scalarIT1_EES1_PKS1_PKT2_SA_S7_PKT4_PKT5_S5_PT6_21rocsparse_index_base_b,"axG",@progbits,_ZN9rocsparseL18bsrxmvn_3x3_kernelILj256ELj8EfiiDF16_DF16_fEEvT3_20rocsparse_direction_NS_24const_host_device_scalarIT1_EES1_PKS1_PKT2_SA_S7_PKT4_PKT5_S5_PT6_21rocsparse_index_base_b,comdat
.Lfunc_end91:
	.size	_ZN9rocsparseL18bsrxmvn_3x3_kernelILj256ELj8EfiiDF16_DF16_fEEvT3_20rocsparse_direction_NS_24const_host_device_scalarIT1_EES1_PKS1_PKT2_SA_S7_PKT4_PKT5_S5_PT6_21rocsparse_index_base_b, .Lfunc_end91-_ZN9rocsparseL18bsrxmvn_3x3_kernelILj256ELj8EfiiDF16_DF16_fEEvT3_20rocsparse_direction_NS_24const_host_device_scalarIT1_EES1_PKS1_PKT2_SA_S7_PKT4_PKT5_S5_PT6_21rocsparse_index_base_b
                                        ; -- End function
	.set _ZN9rocsparseL18bsrxmvn_3x3_kernelILj256ELj8EfiiDF16_DF16_fEEvT3_20rocsparse_direction_NS_24const_host_device_scalarIT1_EES1_PKS1_PKT2_SA_S7_PKT4_PKT5_S5_PT6_21rocsparse_index_base_b.num_vgpr, 20
	.set _ZN9rocsparseL18bsrxmvn_3x3_kernelILj256ELj8EfiiDF16_DF16_fEEvT3_20rocsparse_direction_NS_24const_host_device_scalarIT1_EES1_PKS1_PKT2_SA_S7_PKT4_PKT5_S5_PT6_21rocsparse_index_base_b.num_agpr, 0
	.set _ZN9rocsparseL18bsrxmvn_3x3_kernelILj256ELj8EfiiDF16_DF16_fEEvT3_20rocsparse_direction_NS_24const_host_device_scalarIT1_EES1_PKS1_PKT2_SA_S7_PKT4_PKT5_S5_PT6_21rocsparse_index_base_b.numbered_sgpr, 18
	.set _ZN9rocsparseL18bsrxmvn_3x3_kernelILj256ELj8EfiiDF16_DF16_fEEvT3_20rocsparse_direction_NS_24const_host_device_scalarIT1_EES1_PKS1_PKT2_SA_S7_PKT4_PKT5_S5_PT6_21rocsparse_index_base_b.num_named_barrier, 0
	.set _ZN9rocsparseL18bsrxmvn_3x3_kernelILj256ELj8EfiiDF16_DF16_fEEvT3_20rocsparse_direction_NS_24const_host_device_scalarIT1_EES1_PKS1_PKT2_SA_S7_PKT4_PKT5_S5_PT6_21rocsparse_index_base_b.private_seg_size, 0
	.set _ZN9rocsparseL18bsrxmvn_3x3_kernelILj256ELj8EfiiDF16_DF16_fEEvT3_20rocsparse_direction_NS_24const_host_device_scalarIT1_EES1_PKS1_PKT2_SA_S7_PKT4_PKT5_S5_PT6_21rocsparse_index_base_b.uses_vcc, 1
	.set _ZN9rocsparseL18bsrxmvn_3x3_kernelILj256ELj8EfiiDF16_DF16_fEEvT3_20rocsparse_direction_NS_24const_host_device_scalarIT1_EES1_PKS1_PKT2_SA_S7_PKT4_PKT5_S5_PT6_21rocsparse_index_base_b.uses_flat_scratch, 0
	.set _ZN9rocsparseL18bsrxmvn_3x3_kernelILj256ELj8EfiiDF16_DF16_fEEvT3_20rocsparse_direction_NS_24const_host_device_scalarIT1_EES1_PKS1_PKT2_SA_S7_PKT4_PKT5_S5_PT6_21rocsparse_index_base_b.has_dyn_sized_stack, 0
	.set _ZN9rocsparseL18bsrxmvn_3x3_kernelILj256ELj8EfiiDF16_DF16_fEEvT3_20rocsparse_direction_NS_24const_host_device_scalarIT1_EES1_PKS1_PKT2_SA_S7_PKT4_PKT5_S5_PT6_21rocsparse_index_base_b.has_recursion, 0
	.set _ZN9rocsparseL18bsrxmvn_3x3_kernelILj256ELj8EfiiDF16_DF16_fEEvT3_20rocsparse_direction_NS_24const_host_device_scalarIT1_EES1_PKS1_PKT2_SA_S7_PKT4_PKT5_S5_PT6_21rocsparse_index_base_b.has_indirect_call, 0
	.section	.AMDGPU.csdata,"",@progbits
; Kernel info:
; codeLenInByte = 1680
; TotalNumSgprs: 20
; NumVgprs: 20
; ScratchSize: 0
; MemoryBound: 0
; FloatMode: 240
; IeeeMode: 1
; LDSByteSize: 0 bytes/workgroup (compile time only)
; SGPRBlocks: 0
; VGPRBlocks: 2
; NumSGPRsForWavesPerEU: 20
; NumVGPRsForWavesPerEU: 20
; Occupancy: 16
; WaveLimiterHint : 1
; COMPUTE_PGM_RSRC2:SCRATCH_EN: 0
; COMPUTE_PGM_RSRC2:USER_SGPR: 2
; COMPUTE_PGM_RSRC2:TRAP_HANDLER: 0
; COMPUTE_PGM_RSRC2:TGID_X_EN: 1
; COMPUTE_PGM_RSRC2:TGID_Y_EN: 0
; COMPUTE_PGM_RSRC2:TGID_Z_EN: 0
; COMPUTE_PGM_RSRC2:TIDIG_COMP_CNT: 0
	.section	.text._ZN9rocsparseL18bsrxmvn_3x3_kernelILj256ELj16EfiiDF16_DF16_fEEvT3_20rocsparse_direction_NS_24const_host_device_scalarIT1_EES1_PKS1_PKT2_SA_S7_PKT4_PKT5_S5_PT6_21rocsparse_index_base_b,"axG",@progbits,_ZN9rocsparseL18bsrxmvn_3x3_kernelILj256ELj16EfiiDF16_DF16_fEEvT3_20rocsparse_direction_NS_24const_host_device_scalarIT1_EES1_PKS1_PKT2_SA_S7_PKT4_PKT5_S5_PT6_21rocsparse_index_base_b,comdat
	.globl	_ZN9rocsparseL18bsrxmvn_3x3_kernelILj256ELj16EfiiDF16_DF16_fEEvT3_20rocsparse_direction_NS_24const_host_device_scalarIT1_EES1_PKS1_PKT2_SA_S7_PKT4_PKT5_S5_PT6_21rocsparse_index_base_b ; -- Begin function _ZN9rocsparseL18bsrxmvn_3x3_kernelILj256ELj16EfiiDF16_DF16_fEEvT3_20rocsparse_direction_NS_24const_host_device_scalarIT1_EES1_PKS1_PKT2_SA_S7_PKT4_PKT5_S5_PT6_21rocsparse_index_base_b
	.p2align	8
	.type	_ZN9rocsparseL18bsrxmvn_3x3_kernelILj256ELj16EfiiDF16_DF16_fEEvT3_20rocsparse_direction_NS_24const_host_device_scalarIT1_EES1_PKS1_PKT2_SA_S7_PKT4_PKT5_S5_PT6_21rocsparse_index_base_b,@function
_ZN9rocsparseL18bsrxmvn_3x3_kernelILj256ELj16EfiiDF16_DF16_fEEvT3_20rocsparse_direction_NS_24const_host_device_scalarIT1_EES1_PKS1_PKT2_SA_S7_PKT4_PKT5_S5_PT6_21rocsparse_index_base_b: ; @_ZN9rocsparseL18bsrxmvn_3x3_kernelILj256ELj16EfiiDF16_DF16_fEEvT3_20rocsparse_direction_NS_24const_host_device_scalarIT1_EES1_PKS1_PKT2_SA_S7_PKT4_PKT5_S5_PT6_21rocsparse_index_base_b
; %bb.0:
	s_clause 0x2
	s_load_b64 s[16:17], s[0:1], 0x58
	s_load_b64 s[14:15], s[0:1], 0x8
	;; [unrolled: 1-line block ×3, first 2 shown]
	s_wait_kmcnt 0x0
	s_bitcmp1_b32 s17, 0
	s_cselect_b32 s2, -1, 0
	s_delay_alu instid0(SALU_CYCLE_1)
	s_and_b32 vcc_lo, exec_lo, s2
	s_xor_b32 s2, s2, -1
	s_cbranch_vccnz .LBB92_2
; %bb.1:
	s_load_b32 s14, s[14:15], 0x0
.LBB92_2:
	s_and_not1_b32 vcc_lo, exec_lo, s2
	s_cbranch_vccnz .LBB92_4
; %bb.3:
	s_load_b32 s12, s[12:13], 0x0
.LBB92_4:
	s_wait_kmcnt 0x0
	s_cmp_neq_f32 s14, 0
	s_mov_b32 s6, 0
	s_cselect_b32 s2, -1, 0
	s_cmp_neq_f32 s12, 1.0
	s_cselect_b32 s3, -1, 0
	s_delay_alu instid0(SALU_CYCLE_1) | instskip(NEXT) | instid1(SALU_CYCLE_1)
	s_or_b32 s2, s2, s3
	s_and_not1_b32 vcc_lo, exec_lo, s2
	s_cbranch_vccnz .LBB92_10
; %bb.5:
	s_clause 0x1
	s_load_b64 s[4:5], s[0:1], 0x18
	s_load_b64 s[2:3], s[0:1], 0x0
	v_lshrrev_b32_e32 v1, 4, v0
	s_delay_alu instid0(VALU_DEP_1)
	v_lshl_or_b32 v1, ttmp9, 4, v1
	s_wait_kmcnt 0x0
	s_cmp_lg_u64 s[4:5], 0
	s_cbranch_scc0 .LBB92_11
; %bb.6:
	s_load_b32 s6, s[0:1], 0x10
	s_mov_b32 s7, 0
                                        ; implicit-def: $vgpr2
	s_wait_kmcnt 0x0
	v_cmp_gt_i32_e32 vcc_lo, s6, v1
	s_mov_b32 s6, 0
	s_and_saveexec_b32 s8, vcc_lo
	s_delay_alu instid0(SALU_CYCLE_1)
	s_xor_b32 s8, exec_lo, s8
	s_cbranch_execz .LBB92_8
; %bb.7:
	v_ashrrev_i32_e32 v2, 31, v1
	s_mov_b32 s6, exec_lo
	s_delay_alu instid0(VALU_DEP_1) | instskip(NEXT) | instid1(VALU_DEP_1)
	v_lshlrev_b64_e32 v[2:3], 2, v[1:2]
	v_add_co_u32 v2, vcc_lo, s4, v2
	s_delay_alu instid0(VALU_DEP_1)
	v_add_co_ci_u32_e64 v3, null, s5, v3, vcc_lo
	global_load_b32 v2, v[2:3], off
	s_wait_loadcnt 0x0
	v_subrev_nc_u32_e32 v2, s16, v2
.LBB92_8:
	s_or_b32 exec_lo, exec_lo, s8
	s_delay_alu instid0(SALU_CYCLE_1)
	s_and_b32 vcc_lo, exec_lo, s7
	s_wait_alu 0xfffe
	s_cbranch_vccz .LBB92_12
.LBB92_9:
	v_cmp_gt_i32_e32 vcc_lo, s2, v1
	s_and_not1_b32 s2, s6, exec_lo
	s_and_b32 s4, vcc_lo, exec_lo
	s_wait_alu 0xfffe
	s_or_b32 s6, s2, s4
	s_wait_alu 0xfffe
	s_and_saveexec_b32 s2, s6
	s_cbranch_execnz .LBB92_13
.LBB92_10:
	s_endpgm
.LBB92_11:
                                        ; implicit-def: $vgpr2
	s_cbranch_execnz .LBB92_9
.LBB92_12:
	v_mov_b32_e32 v1, v2
	s_and_saveexec_b32 s2, s6
	s_cbranch_execz .LBB92_10
.LBB92_13:
	s_load_b256 s[4:11], s[0:1], 0x20
	s_delay_alu instid0(VALU_DEP_1) | instskip(SKIP_1) | instid1(VALU_DEP_2)
	v_ashrrev_i32_e32 v2, 31, v1
	v_and_b32_e32 v0, 15, v0
	v_lshlrev_b64_e32 v[2:3], 2, v[1:2]
	s_wait_kmcnt 0x0
	s_delay_alu instid0(VALU_DEP_1) | instskip(SKIP_1) | instid1(VALU_DEP_2)
	v_add_co_u32 v4, vcc_lo, s4, v2
	s_wait_alu 0xfffd
	v_add_co_ci_u32_e64 v5, null, s5, v3, vcc_lo
	v_add_co_u32 v2, vcc_lo, s6, v2
	s_wait_alu 0xfffd
	v_add_co_ci_u32_e64 v3, null, s7, v3, vcc_lo
	;; [unrolled: 3-line block ×3, first 2 shown]
	s_cmp_eq_u64 s[6:7], 0
	global_load_b32 v4, v[4:5], off
	s_cselect_b32 vcc_lo, -1, 0
	s_load_b64 s[4:5], s[0:1], 0x40
	v_dual_cndmask_b32 v3, v3, v7 :: v_dual_cndmask_b32 v2, v2, v6
	s_cmp_eq_u32 s3, 1
	global_load_b32 v3, v[2:3], off
	s_wait_loadcnt 0x1
	v_subrev_nc_u32_e32 v2, s16, v4
	s_delay_alu instid0(VALU_DEP_1) | instskip(SKIP_2) | instid1(VALU_DEP_2)
	v_add_nc_u32_e32 v2, v2, v0
	s_wait_loadcnt 0x0
	v_subrev_nc_u32_e32 v12, s16, v3
	v_mad_co_i64_i32 v[4:5], null, v2, 18, s[10:11]
	s_delay_alu instid0(VALU_DEP_2)
	v_cmp_lt_i32_e64 s2, v2, v12
	s_cbranch_scc1 .LBB92_19
; %bb.14:
	v_dual_mov_b32 v10, 0 :: v_dual_mov_b32 v11, 0
	v_mov_b32_e32 v13, 0
	s_and_saveexec_b32 s3, s2
	s_cbranch_execz .LBB92_18
; %bb.15:
	v_dual_mov_b32 v10, 0 :: v_dual_mov_b32 v7, v5
	v_dual_mov_b32 v6, v4 :: v_dual_mov_b32 v11, 0
	v_dual_mov_b32 v8, v2 :: v_dual_mov_b32 v13, 0
	s_mov_b32 s6, 0
.LBB92_16:                              ; =>This Inner Loop Header: Depth=1
	s_delay_alu instid0(VALU_DEP_1) | instskip(NEXT) | instid1(VALU_DEP_1)
	v_ashrrev_i32_e32 v9, 31, v8
	v_lshlrev_b64_e32 v[14:15], 2, v[8:9]
	v_add_nc_u32_e32 v8, 16, v8
	s_delay_alu instid0(VALU_DEP_2) | instskip(SKIP_1) | instid1(VALU_DEP_3)
	v_add_co_u32 v14, vcc_lo, s8, v14
	s_wait_alu 0xfffd
	v_add_co_ci_u32_e64 v15, null, s9, v15, vcc_lo
	global_load_b32 v3, v[14:15], off
	s_wait_loadcnt 0x0
	v_subrev_nc_u32_e32 v3, s16, v3
	s_delay_alu instid0(VALU_DEP_1) | instskip(NEXT) | instid1(VALU_DEP_1)
	v_lshl_add_u32 v14, v3, 1, v3
	v_ashrrev_i32_e32 v15, 31, v14
	s_delay_alu instid0(VALU_DEP_1) | instskip(SKIP_1) | instid1(VALU_DEP_1)
	v_lshlrev_b64_e32 v[14:15], 1, v[14:15]
	s_wait_kmcnt 0x0
	v_add_co_u32 v18, vcc_lo, s4, v14
	s_wait_alu 0xfffd
	s_delay_alu instid0(VALU_DEP_2)
	v_add_co_ci_u32_e64 v19, null, s5, v15, vcc_lo
	global_load_b128 v[14:17], v[6:7], off
	s_clause 0x1
	global_load_b32 v3, v[18:19], off
	global_load_u16 v9, v[18:19], off offset:4
	global_load_u16 v18, v[6:7], off offset:16
	v_add_co_u32 v6, vcc_lo, 0x120, v6
	s_wait_alu 0xfffd
	v_add_co_ci_u32_e64 v7, null, 0, v7, vcc_lo
	v_cmp_ge_i32_e32 vcc_lo, v8, v12
	s_wait_alu 0xfffe
	s_or_b32 s6, vcc_lo, s6
	s_wait_loadcnt 0x2
	v_fma_mix_f32 v13, v14, v3, v13 op_sel_hi:[1,1,0]
	v_fma_mix_f32 v11, v15, v3, v11 op_sel:[1,0,0] op_sel_hi:[1,1,0]
	v_fma_mix_f32 v10, v17, v3, v10 op_sel_hi:[1,1,0]
	s_delay_alu instid0(VALU_DEP_3) | instskip(NEXT) | instid1(VALU_DEP_3)
	v_fma_mix_f32 v13, v14, v3, v13 op_sel:[1,1,0] op_sel_hi:[1,1,0]
	v_fma_mix_f32 v11, v16, v3, v11 op_sel:[0,1,0] op_sel_hi:[1,1,0]
	s_delay_alu instid0(VALU_DEP_3) | instskip(SKIP_1) | instid1(VALU_DEP_3)
	v_fma_mix_f32 v3, v17, v3, v10 op_sel:[1,1,0] op_sel_hi:[1,1,0]
	s_wait_loadcnt 0x1
	v_fma_mix_f32 v13, v15, v9, v13 op_sel_hi:[1,1,0]
	s_delay_alu instid0(VALU_DEP_3)
	v_fma_mix_f32 v11, v16, v9, v11 op_sel:[1,0,0] op_sel_hi:[1,1,0]
	s_wait_loadcnt 0x0
	v_fma_mix_f32 v10, v18, v9, v3 op_sel_hi:[1,1,0]
	s_wait_alu 0xfffe
	s_and_not1_b32 exec_lo, exec_lo, s6
	s_cbranch_execnz .LBB92_16
; %bb.17:
	s_or_b32 exec_lo, exec_lo, s6
.LBB92_18:
	s_wait_alu 0xfffe
	s_or_b32 exec_lo, exec_lo, s3
	s_cbranch_execz .LBB92_20
	s_branch .LBB92_25
.LBB92_19:
                                        ; implicit-def: $vgpr10
                                        ; implicit-def: $vgpr11
                                        ; implicit-def: $vgpr13
.LBB92_20:
	v_dual_mov_b32 v10, 0 :: v_dual_mov_b32 v11, 0
	v_mov_b32_e32 v13, 0
	s_and_saveexec_b32 s3, s2
	s_cbranch_execz .LBB92_24
; %bb.21:
	v_dual_mov_b32 v10, 0 :: v_dual_mov_b32 v11, 0
	v_mov_b32_e32 v13, 0
	s_mov_b32 s2, 0
.LBB92_22:                              ; =>This Inner Loop Header: Depth=1
	v_ashrrev_i32_e32 v3, 31, v2
	s_delay_alu instid0(VALU_DEP_1) | instskip(SKIP_1) | instid1(VALU_DEP_2)
	v_lshlrev_b64_e32 v[6:7], 2, v[2:3]
	v_add_nc_u32_e32 v2, 16, v2
	v_add_co_u32 v6, vcc_lo, s8, v6
	s_wait_alu 0xfffd
	s_delay_alu instid0(VALU_DEP_3) | instskip(SKIP_3) | instid1(VALU_DEP_1)
	v_add_co_ci_u32_e64 v7, null, s9, v7, vcc_lo
	global_load_b32 v3, v[6:7], off
	s_wait_loadcnt 0x0
	v_subrev_nc_u32_e32 v3, s16, v3
	v_lshl_add_u32 v6, v3, 1, v3
	s_delay_alu instid0(VALU_DEP_1) | instskip(NEXT) | instid1(VALU_DEP_1)
	v_ashrrev_i32_e32 v7, 31, v6
	v_lshlrev_b64_e32 v[6:7], 1, v[6:7]
	s_wait_kmcnt 0x0
	s_delay_alu instid0(VALU_DEP_1) | instskip(SKIP_1) | instid1(VALU_DEP_2)
	v_add_co_u32 v14, vcc_lo, s4, v6
	s_wait_alu 0xfffd
	v_add_co_ci_u32_e64 v15, null, s5, v7, vcc_lo
	global_load_b128 v[6:9], v[4:5], off
	s_clause 0x1
	global_load_b32 v3, v[14:15], off
	global_load_u16 v14, v[14:15], off offset:4
	global_load_u16 v15, v[4:5], off offset:16
	v_add_co_u32 v4, vcc_lo, 0x120, v4
	s_wait_alu 0xfffd
	v_add_co_ci_u32_e64 v5, null, 0, v5, vcc_lo
	v_cmp_ge_i32_e32 vcc_lo, v2, v12
	s_wait_alu 0xfffe
	s_or_b32 s2, vcc_lo, s2
	s_wait_loadcnt 0x2
	v_fma_mix_f32 v13, v6, v3, v13 op_sel_hi:[1,1,0]
	v_fma_mix_f32 v6, v6, v3, v11 op_sel:[1,0,0] op_sel_hi:[1,1,0]
	v_fma_mix_f32 v10, v7, v3, v10 op_sel_hi:[1,1,0]
	s_delay_alu instid0(VALU_DEP_3) | instskip(NEXT) | instid1(VALU_DEP_3)
	v_fma_mix_f32 v7, v7, v3, v13 op_sel:[1,1,0] op_sel_hi:[1,1,0]
	v_fma_mix_f32 v6, v8, v3, v6 op_sel:[0,1,0] op_sel_hi:[1,1,0]
	s_delay_alu instid0(VALU_DEP_3) | instskip(SKIP_1) | instid1(VALU_DEP_3)
	v_fma_mix_f32 v3, v8, v3, v10 op_sel:[1,1,0] op_sel_hi:[1,1,0]
	s_wait_loadcnt 0x1
	v_fma_mix_f32 v13, v9, v14, v7 op_sel_hi:[1,1,0]
	s_delay_alu instid0(VALU_DEP_3)
	v_fma_mix_f32 v11, v9, v14, v6 op_sel:[1,0,0] op_sel_hi:[1,1,0]
	s_wait_loadcnt 0x0
	v_fma_mix_f32 v10, v15, v14, v3 op_sel_hi:[1,1,0]
	s_wait_alu 0xfffe
	s_and_not1_b32 exec_lo, exec_lo, s2
	s_cbranch_execnz .LBB92_22
; %bb.23:
	s_or_b32 exec_lo, exec_lo, s2
.LBB92_24:
	s_wait_alu 0xfffe
	s_or_b32 exec_lo, exec_lo, s3
.LBB92_25:
	v_mbcnt_lo_u32_b32 v2, -1, 0
	s_mov_b32 s2, -1
	s_delay_alu instid0(VALU_DEP_1) | instskip(SKIP_2) | instid1(VALU_DEP_3)
	v_xor_b32_e32 v3, 8, v2
	v_xor_b32_e32 v6, 4, v2
	;; [unrolled: 1-line block ×3, first 2 shown]
	v_cmp_gt_i32_e32 vcc_lo, 32, v3
	s_wait_alu 0xfffd
	v_cndmask_b32_e32 v3, v2, v3, vcc_lo
	v_cmp_gt_i32_e32 vcc_lo, 32, v6
	s_wait_alu 0xfffd
	v_cndmask_b32_e32 v6, v2, v6, vcc_lo
	v_cmp_gt_i32_e32 vcc_lo, 32, v9
	s_delay_alu instid0(VALU_DEP_2)
	v_lshlrev_b32_e32 v6, 2, v6
	v_lshlrev_b32_e32 v3, 2, v3
	ds_bpermute_b32 v4, v3, v13
	s_wait_dscnt 0x0
	v_add_f32_e32 v4, v13, v4
	ds_bpermute_b32 v5, v3, v11
	ds_bpermute_b32 v3, v3, v10
	;; [unrolled: 1-line block ×3, first 2 shown]
	s_wait_alu 0xfffd
	v_cndmask_b32_e32 v9, v2, v9, vcc_lo
	s_wait_dscnt 0x2
	v_add_f32_e32 v5, v11, v5
	s_wait_dscnt 0x1
	v_add_f32_e32 v3, v10, v3
	;; [unrolled: 2-line block ×3, first 2 shown]
	ds_bpermute_b32 v8, v6, v5
	ds_bpermute_b32 v6, v6, v3
	v_lshlrev_b32_e32 v9, 2, v9
	s_wait_dscnt 0x0
	v_dual_add_f32 v5, v5, v8 :: v_dual_add_f32 v6, v3, v6
	ds_bpermute_b32 v3, v9, v4
	ds_bpermute_b32 v7, v9, v5
	;; [unrolled: 1-line block ×3, first 2 shown]
	v_xor_b32_e32 v9, 1, v2
	s_delay_alu instid0(VALU_DEP_1) | instskip(SKIP_4) | instid1(VALU_DEP_2)
	v_cmp_gt_i32_e32 vcc_lo, 32, v9
	s_wait_alu 0xfffd
	v_cndmask_b32_e32 v2, v2, v9, vcc_lo
	v_cmp_eq_u32_e32 vcc_lo, 15, v0
	s_wait_dscnt 0x2
	v_dual_add_f32 v2, v4, v3 :: v_dual_lshlrev_b32 v9, 2, v2
	s_wait_dscnt 0x0
	v_dual_add_f32 v3, v5, v7 :: v_dual_add_f32 v4, v6, v8
	ds_bpermute_b32 v5, v9, v2
	ds_bpermute_b32 v6, v9, v3
	;; [unrolled: 1-line block ×3, first 2 shown]
	s_and_b32 exec_lo, exec_lo, vcc_lo
	s_cbranch_execz .LBB92_10
; %bb.26:
	s_load_b64 s[0:1], s[0:1], 0x50
	s_wait_dscnt 0x2
	v_add_f32_e32 v0, v2, v5
	s_wait_dscnt 0x1
	v_add_f32_e32 v2, v3, v6
	;; [unrolled: 2-line block ×3, first 2 shown]
	v_lshl_add_u32 v3, v1, 1, v1
	s_cmp_eq_f32 s12, 0
	v_dual_mul_f32 v1, s14, v2 :: v_dual_mul_f32 v0, s14, v0
	s_delay_alu instid0(VALU_DEP_3) | instskip(NEXT) | instid1(VALU_DEP_3)
	v_mul_f32_e32 v2, s14, v4
	v_ashrrev_i32_e32 v4, 31, v3
	s_cbranch_scc0 .LBB92_28
; %bb.27:
	s_delay_alu instid0(VALU_DEP_1) | instskip(SKIP_2) | instid1(VALU_DEP_1)
	v_lshlrev_b64_e32 v[5:6], 2, v[3:4]
	s_mov_b32 s2, 0
	s_wait_kmcnt 0x0
	v_add_co_u32 v5, vcc_lo, s0, v5
	s_wait_alu 0xfffd
	s_delay_alu instid0(VALU_DEP_2)
	v_add_co_ci_u32_e64 v6, null, s1, v6, vcc_lo
	global_store_b96 v[5:6], v[0:2], off
.LBB92_28:
	s_wait_alu 0xfffe
	s_and_not1_b32 vcc_lo, exec_lo, s2
	s_wait_alu 0xfffe
	s_cbranch_vccnz .LBB92_10
; %bb.29:
	v_lshlrev_b64_e32 v[3:4], 2, v[3:4]
	s_wait_kmcnt 0x0
	s_delay_alu instid0(VALU_DEP_1) | instskip(SKIP_1) | instid1(VALU_DEP_2)
	v_add_co_u32 v6, vcc_lo, s0, v3
	s_wait_alu 0xfffd
	v_add_co_ci_u32_e64 v7, null, s1, v4, vcc_lo
	global_load_b96 v[3:5], v[6:7], off
	s_wait_loadcnt 0x0
	v_dual_fmac_f32 v0, s12, v3 :: v_dual_fmac_f32 v1, s12, v4
	v_fmac_f32_e32 v2, s12, v5
	global_store_b96 v[6:7], v[0:2], off
	s_endpgm
	.section	.rodata,"a",@progbits
	.p2align	6, 0x0
	.amdhsa_kernel _ZN9rocsparseL18bsrxmvn_3x3_kernelILj256ELj16EfiiDF16_DF16_fEEvT3_20rocsparse_direction_NS_24const_host_device_scalarIT1_EES1_PKS1_PKT2_SA_S7_PKT4_PKT5_S5_PT6_21rocsparse_index_base_b
		.amdhsa_group_segment_fixed_size 0
		.amdhsa_private_segment_fixed_size 0
		.amdhsa_kernarg_size 96
		.amdhsa_user_sgpr_count 2
		.amdhsa_user_sgpr_dispatch_ptr 0
		.amdhsa_user_sgpr_queue_ptr 0
		.amdhsa_user_sgpr_kernarg_segment_ptr 1
		.amdhsa_user_sgpr_dispatch_id 0
		.amdhsa_user_sgpr_private_segment_size 0
		.amdhsa_wavefront_size32 1
		.amdhsa_uses_dynamic_stack 0
		.amdhsa_enable_private_segment 0
		.amdhsa_system_sgpr_workgroup_id_x 1
		.amdhsa_system_sgpr_workgroup_id_y 0
		.amdhsa_system_sgpr_workgroup_id_z 0
		.amdhsa_system_sgpr_workgroup_info 0
		.amdhsa_system_vgpr_workitem_id 0
		.amdhsa_next_free_vgpr 20
		.amdhsa_next_free_sgpr 18
		.amdhsa_reserve_vcc 1
		.amdhsa_float_round_mode_32 0
		.amdhsa_float_round_mode_16_64 0
		.amdhsa_float_denorm_mode_32 3
		.amdhsa_float_denorm_mode_16_64 3
		.amdhsa_fp16_overflow 0
		.amdhsa_workgroup_processor_mode 1
		.amdhsa_memory_ordered 1
		.amdhsa_forward_progress 1
		.amdhsa_inst_pref_size 14
		.amdhsa_round_robin_scheduling 0
		.amdhsa_exception_fp_ieee_invalid_op 0
		.amdhsa_exception_fp_denorm_src 0
		.amdhsa_exception_fp_ieee_div_zero 0
		.amdhsa_exception_fp_ieee_overflow 0
		.amdhsa_exception_fp_ieee_underflow 0
		.amdhsa_exception_fp_ieee_inexact 0
		.amdhsa_exception_int_div_zero 0
	.end_amdhsa_kernel
	.section	.text._ZN9rocsparseL18bsrxmvn_3x3_kernelILj256ELj16EfiiDF16_DF16_fEEvT3_20rocsparse_direction_NS_24const_host_device_scalarIT1_EES1_PKS1_PKT2_SA_S7_PKT4_PKT5_S5_PT6_21rocsparse_index_base_b,"axG",@progbits,_ZN9rocsparseL18bsrxmvn_3x3_kernelILj256ELj16EfiiDF16_DF16_fEEvT3_20rocsparse_direction_NS_24const_host_device_scalarIT1_EES1_PKS1_PKT2_SA_S7_PKT4_PKT5_S5_PT6_21rocsparse_index_base_b,comdat
.Lfunc_end92:
	.size	_ZN9rocsparseL18bsrxmvn_3x3_kernelILj256ELj16EfiiDF16_DF16_fEEvT3_20rocsparse_direction_NS_24const_host_device_scalarIT1_EES1_PKS1_PKT2_SA_S7_PKT4_PKT5_S5_PT6_21rocsparse_index_base_b, .Lfunc_end92-_ZN9rocsparseL18bsrxmvn_3x3_kernelILj256ELj16EfiiDF16_DF16_fEEvT3_20rocsparse_direction_NS_24const_host_device_scalarIT1_EES1_PKS1_PKT2_SA_S7_PKT4_PKT5_S5_PT6_21rocsparse_index_base_b
                                        ; -- End function
	.set _ZN9rocsparseL18bsrxmvn_3x3_kernelILj256ELj16EfiiDF16_DF16_fEEvT3_20rocsparse_direction_NS_24const_host_device_scalarIT1_EES1_PKS1_PKT2_SA_S7_PKT4_PKT5_S5_PT6_21rocsparse_index_base_b.num_vgpr, 20
	.set _ZN9rocsparseL18bsrxmvn_3x3_kernelILj256ELj16EfiiDF16_DF16_fEEvT3_20rocsparse_direction_NS_24const_host_device_scalarIT1_EES1_PKS1_PKT2_SA_S7_PKT4_PKT5_S5_PT6_21rocsparse_index_base_b.num_agpr, 0
	.set _ZN9rocsparseL18bsrxmvn_3x3_kernelILj256ELj16EfiiDF16_DF16_fEEvT3_20rocsparse_direction_NS_24const_host_device_scalarIT1_EES1_PKS1_PKT2_SA_S7_PKT4_PKT5_S5_PT6_21rocsparse_index_base_b.numbered_sgpr, 18
	.set _ZN9rocsparseL18bsrxmvn_3x3_kernelILj256ELj16EfiiDF16_DF16_fEEvT3_20rocsparse_direction_NS_24const_host_device_scalarIT1_EES1_PKS1_PKT2_SA_S7_PKT4_PKT5_S5_PT6_21rocsparse_index_base_b.num_named_barrier, 0
	.set _ZN9rocsparseL18bsrxmvn_3x3_kernelILj256ELj16EfiiDF16_DF16_fEEvT3_20rocsparse_direction_NS_24const_host_device_scalarIT1_EES1_PKS1_PKT2_SA_S7_PKT4_PKT5_S5_PT6_21rocsparse_index_base_b.private_seg_size, 0
	.set _ZN9rocsparseL18bsrxmvn_3x3_kernelILj256ELj16EfiiDF16_DF16_fEEvT3_20rocsparse_direction_NS_24const_host_device_scalarIT1_EES1_PKS1_PKT2_SA_S7_PKT4_PKT5_S5_PT6_21rocsparse_index_base_b.uses_vcc, 1
	.set _ZN9rocsparseL18bsrxmvn_3x3_kernelILj256ELj16EfiiDF16_DF16_fEEvT3_20rocsparse_direction_NS_24const_host_device_scalarIT1_EES1_PKS1_PKT2_SA_S7_PKT4_PKT5_S5_PT6_21rocsparse_index_base_b.uses_flat_scratch, 0
	.set _ZN9rocsparseL18bsrxmvn_3x3_kernelILj256ELj16EfiiDF16_DF16_fEEvT3_20rocsparse_direction_NS_24const_host_device_scalarIT1_EES1_PKS1_PKT2_SA_S7_PKT4_PKT5_S5_PT6_21rocsparse_index_base_b.has_dyn_sized_stack, 0
	.set _ZN9rocsparseL18bsrxmvn_3x3_kernelILj256ELj16EfiiDF16_DF16_fEEvT3_20rocsparse_direction_NS_24const_host_device_scalarIT1_EES1_PKS1_PKT2_SA_S7_PKT4_PKT5_S5_PT6_21rocsparse_index_base_b.has_recursion, 0
	.set _ZN9rocsparseL18bsrxmvn_3x3_kernelILj256ELj16EfiiDF16_DF16_fEEvT3_20rocsparse_direction_NS_24const_host_device_scalarIT1_EES1_PKS1_PKT2_SA_S7_PKT4_PKT5_S5_PT6_21rocsparse_index_base_b.has_indirect_call, 0
	.section	.AMDGPU.csdata,"",@progbits
; Kernel info:
; codeLenInByte = 1744
; TotalNumSgprs: 20
; NumVgprs: 20
; ScratchSize: 0
; MemoryBound: 0
; FloatMode: 240
; IeeeMode: 1
; LDSByteSize: 0 bytes/workgroup (compile time only)
; SGPRBlocks: 0
; VGPRBlocks: 2
; NumSGPRsForWavesPerEU: 20
; NumVGPRsForWavesPerEU: 20
; Occupancy: 16
; WaveLimiterHint : 1
; COMPUTE_PGM_RSRC2:SCRATCH_EN: 0
; COMPUTE_PGM_RSRC2:USER_SGPR: 2
; COMPUTE_PGM_RSRC2:TRAP_HANDLER: 0
; COMPUTE_PGM_RSRC2:TGID_X_EN: 1
; COMPUTE_PGM_RSRC2:TGID_Y_EN: 0
; COMPUTE_PGM_RSRC2:TGID_Z_EN: 0
; COMPUTE_PGM_RSRC2:TIDIG_COMP_CNT: 0
	.section	.text._ZN9rocsparseL18bsrxmvn_3x3_kernelILj256ELj32EfiiDF16_DF16_fEEvT3_20rocsparse_direction_NS_24const_host_device_scalarIT1_EES1_PKS1_PKT2_SA_S7_PKT4_PKT5_S5_PT6_21rocsparse_index_base_b,"axG",@progbits,_ZN9rocsparseL18bsrxmvn_3x3_kernelILj256ELj32EfiiDF16_DF16_fEEvT3_20rocsparse_direction_NS_24const_host_device_scalarIT1_EES1_PKS1_PKT2_SA_S7_PKT4_PKT5_S5_PT6_21rocsparse_index_base_b,comdat
	.globl	_ZN9rocsparseL18bsrxmvn_3x3_kernelILj256ELj32EfiiDF16_DF16_fEEvT3_20rocsparse_direction_NS_24const_host_device_scalarIT1_EES1_PKS1_PKT2_SA_S7_PKT4_PKT5_S5_PT6_21rocsparse_index_base_b ; -- Begin function _ZN9rocsparseL18bsrxmvn_3x3_kernelILj256ELj32EfiiDF16_DF16_fEEvT3_20rocsparse_direction_NS_24const_host_device_scalarIT1_EES1_PKS1_PKT2_SA_S7_PKT4_PKT5_S5_PT6_21rocsparse_index_base_b
	.p2align	8
	.type	_ZN9rocsparseL18bsrxmvn_3x3_kernelILj256ELj32EfiiDF16_DF16_fEEvT3_20rocsparse_direction_NS_24const_host_device_scalarIT1_EES1_PKS1_PKT2_SA_S7_PKT4_PKT5_S5_PT6_21rocsparse_index_base_b,@function
_ZN9rocsparseL18bsrxmvn_3x3_kernelILj256ELj32EfiiDF16_DF16_fEEvT3_20rocsparse_direction_NS_24const_host_device_scalarIT1_EES1_PKS1_PKT2_SA_S7_PKT4_PKT5_S5_PT6_21rocsparse_index_base_b: ; @_ZN9rocsparseL18bsrxmvn_3x3_kernelILj256ELj32EfiiDF16_DF16_fEEvT3_20rocsparse_direction_NS_24const_host_device_scalarIT1_EES1_PKS1_PKT2_SA_S7_PKT4_PKT5_S5_PT6_21rocsparse_index_base_b
; %bb.0:
	s_clause 0x2
	s_load_b64 s[16:17], s[0:1], 0x58
	s_load_b64 s[14:15], s[0:1], 0x8
	;; [unrolled: 1-line block ×3, first 2 shown]
	s_wait_kmcnt 0x0
	s_bitcmp1_b32 s17, 0
	s_cselect_b32 s2, -1, 0
	s_delay_alu instid0(SALU_CYCLE_1)
	s_and_b32 vcc_lo, exec_lo, s2
	s_xor_b32 s2, s2, -1
	s_cbranch_vccnz .LBB93_2
; %bb.1:
	s_load_b32 s14, s[14:15], 0x0
.LBB93_2:
	s_and_not1_b32 vcc_lo, exec_lo, s2
	s_cbranch_vccnz .LBB93_4
; %bb.3:
	s_load_b32 s12, s[12:13], 0x0
.LBB93_4:
	s_wait_kmcnt 0x0
	s_cmp_neq_f32 s14, 0
	s_mov_b32 s6, 0
	s_cselect_b32 s2, -1, 0
	s_cmp_neq_f32 s12, 1.0
	s_cselect_b32 s3, -1, 0
	s_delay_alu instid0(SALU_CYCLE_1) | instskip(NEXT) | instid1(SALU_CYCLE_1)
	s_or_b32 s2, s2, s3
	s_and_not1_b32 vcc_lo, exec_lo, s2
	s_cbranch_vccnz .LBB93_10
; %bb.5:
	s_clause 0x1
	s_load_b64 s[4:5], s[0:1], 0x18
	s_load_b64 s[2:3], s[0:1], 0x0
	v_lshrrev_b32_e32 v1, 5, v0
	s_delay_alu instid0(VALU_DEP_1)
	v_lshl_or_b32 v1, ttmp9, 3, v1
	s_wait_kmcnt 0x0
	s_cmp_lg_u64 s[4:5], 0
	s_cbranch_scc0 .LBB93_11
; %bb.6:
	s_load_b32 s6, s[0:1], 0x10
	s_mov_b32 s7, 0
                                        ; implicit-def: $vgpr2
	s_wait_kmcnt 0x0
	v_cmp_gt_i32_e32 vcc_lo, s6, v1
	s_mov_b32 s6, 0
	s_and_saveexec_b32 s8, vcc_lo
	s_delay_alu instid0(SALU_CYCLE_1)
	s_xor_b32 s8, exec_lo, s8
	s_cbranch_execz .LBB93_8
; %bb.7:
	v_ashrrev_i32_e32 v2, 31, v1
	s_mov_b32 s6, exec_lo
	s_delay_alu instid0(VALU_DEP_1) | instskip(NEXT) | instid1(VALU_DEP_1)
	v_lshlrev_b64_e32 v[2:3], 2, v[1:2]
	v_add_co_u32 v2, vcc_lo, s4, v2
	s_delay_alu instid0(VALU_DEP_1)
	v_add_co_ci_u32_e64 v3, null, s5, v3, vcc_lo
	global_load_b32 v2, v[2:3], off
	s_wait_loadcnt 0x0
	v_subrev_nc_u32_e32 v2, s16, v2
.LBB93_8:
	s_or_b32 exec_lo, exec_lo, s8
	s_delay_alu instid0(SALU_CYCLE_1)
	s_and_b32 vcc_lo, exec_lo, s7
	s_wait_alu 0xfffe
	s_cbranch_vccz .LBB93_12
.LBB93_9:
	v_cmp_gt_i32_e32 vcc_lo, s2, v1
	s_and_not1_b32 s2, s6, exec_lo
	s_and_b32 s4, vcc_lo, exec_lo
	s_wait_alu 0xfffe
	s_or_b32 s6, s2, s4
	s_wait_alu 0xfffe
	s_and_saveexec_b32 s2, s6
	s_cbranch_execnz .LBB93_13
.LBB93_10:
	s_endpgm
.LBB93_11:
                                        ; implicit-def: $vgpr2
	s_cbranch_execnz .LBB93_9
.LBB93_12:
	v_mov_b32_e32 v1, v2
	s_and_saveexec_b32 s2, s6
	s_cbranch_execz .LBB93_10
.LBB93_13:
	s_load_b256 s[4:11], s[0:1], 0x20
	s_delay_alu instid0(VALU_DEP_1) | instskip(SKIP_1) | instid1(VALU_DEP_2)
	v_ashrrev_i32_e32 v2, 31, v1
	v_and_b32_e32 v0, 31, v0
	v_lshlrev_b64_e32 v[2:3], 2, v[1:2]
	s_wait_kmcnt 0x0
	s_delay_alu instid0(VALU_DEP_1) | instskip(SKIP_1) | instid1(VALU_DEP_2)
	v_add_co_u32 v4, vcc_lo, s4, v2
	s_wait_alu 0xfffd
	v_add_co_ci_u32_e64 v5, null, s5, v3, vcc_lo
	v_add_co_u32 v2, vcc_lo, s6, v2
	s_wait_alu 0xfffd
	v_add_co_ci_u32_e64 v3, null, s7, v3, vcc_lo
	v_add_co_u32 v6, vcc_lo, v4, 4
	s_wait_alu 0xfffd
	v_add_co_ci_u32_e64 v7, null, 0, v5, vcc_lo
	s_cmp_eq_u64 s[6:7], 0
	global_load_b32 v4, v[4:5], off
	s_cselect_b32 vcc_lo, -1, 0
	s_load_b64 s[4:5], s[0:1], 0x40
	v_dual_cndmask_b32 v3, v3, v7 :: v_dual_cndmask_b32 v2, v2, v6
	s_cmp_eq_u32 s3, 1
	global_load_b32 v3, v[2:3], off
	s_wait_loadcnt 0x1
	v_subrev_nc_u32_e32 v2, s16, v4
	s_delay_alu instid0(VALU_DEP_1) | instskip(SKIP_2) | instid1(VALU_DEP_2)
	v_add_nc_u32_e32 v2, v2, v0
	s_wait_loadcnt 0x0
	v_subrev_nc_u32_e32 v13, s16, v3
	v_mad_co_i64_i32 v[4:5], null, v2, 18, s[10:11]
	s_delay_alu instid0(VALU_DEP_2)
	v_cmp_lt_i32_e64 s2, v2, v13
	s_cbranch_scc1 .LBB93_19
; %bb.14:
	v_dual_mov_b32 v10, 0 :: v_dual_mov_b32 v11, 0
	v_mov_b32_e32 v12, 0
	s_and_saveexec_b32 s3, s2
	s_cbranch_execz .LBB93_18
; %bb.15:
	v_dual_mov_b32 v10, 0 :: v_dual_mov_b32 v7, v5
	v_dual_mov_b32 v6, v4 :: v_dual_mov_b32 v11, 0
	v_mov_b32_e32 v8, v2
	v_mov_b32_e32 v12, 0
	s_mov_b32 s6, 0
.LBB93_16:                              ; =>This Inner Loop Header: Depth=1
	s_delay_alu instid0(VALU_DEP_2) | instskip(NEXT) | instid1(VALU_DEP_1)
	v_ashrrev_i32_e32 v9, 31, v8
	v_lshlrev_b64_e32 v[14:15], 2, v[8:9]
	v_add_nc_u32_e32 v8, 32, v8
	s_delay_alu instid0(VALU_DEP_2) | instskip(SKIP_1) | instid1(VALU_DEP_3)
	v_add_co_u32 v14, vcc_lo, s8, v14
	s_wait_alu 0xfffd
	v_add_co_ci_u32_e64 v15, null, s9, v15, vcc_lo
	global_load_b32 v3, v[14:15], off
	s_wait_loadcnt 0x0
	v_subrev_nc_u32_e32 v3, s16, v3
	s_delay_alu instid0(VALU_DEP_1) | instskip(NEXT) | instid1(VALU_DEP_1)
	v_lshl_add_u32 v14, v3, 1, v3
	v_ashrrev_i32_e32 v15, 31, v14
	s_delay_alu instid0(VALU_DEP_1) | instskip(SKIP_1) | instid1(VALU_DEP_1)
	v_lshlrev_b64_e32 v[14:15], 1, v[14:15]
	s_wait_kmcnt 0x0
	v_add_co_u32 v18, vcc_lo, s4, v14
	s_wait_alu 0xfffd
	s_delay_alu instid0(VALU_DEP_2)
	v_add_co_ci_u32_e64 v19, null, s5, v15, vcc_lo
	global_load_b128 v[14:17], v[6:7], off
	s_clause 0x1
	global_load_b32 v3, v[18:19], off
	global_load_u16 v9, v[18:19], off offset:4
	global_load_u16 v18, v[6:7], off offset:16
	v_add_co_u32 v6, vcc_lo, 0x240, v6
	s_wait_alu 0xfffd
	v_add_co_ci_u32_e64 v7, null, 0, v7, vcc_lo
	v_cmp_ge_i32_e32 vcc_lo, v8, v13
	s_wait_alu 0xfffe
	s_or_b32 s6, vcc_lo, s6
	s_wait_loadcnt 0x2
	v_fma_mix_f32 v12, v14, v3, v12 op_sel_hi:[1,1,0]
	v_fma_mix_f32 v11, v15, v3, v11 op_sel:[1,0,0] op_sel_hi:[1,1,0]
	v_fma_mix_f32 v10, v17, v3, v10 op_sel_hi:[1,1,0]
	s_delay_alu instid0(VALU_DEP_3) | instskip(NEXT) | instid1(VALU_DEP_3)
	v_fma_mix_f32 v12, v14, v3, v12 op_sel:[1,1,0] op_sel_hi:[1,1,0]
	v_fma_mix_f32 v11, v16, v3, v11 op_sel:[0,1,0] op_sel_hi:[1,1,0]
	s_delay_alu instid0(VALU_DEP_3) | instskip(SKIP_1) | instid1(VALU_DEP_3)
	v_fma_mix_f32 v3, v17, v3, v10 op_sel:[1,1,0] op_sel_hi:[1,1,0]
	s_wait_loadcnt 0x1
	v_fma_mix_f32 v12, v15, v9, v12 op_sel_hi:[1,1,0]
	s_delay_alu instid0(VALU_DEP_3)
	v_fma_mix_f32 v11, v16, v9, v11 op_sel:[1,0,0] op_sel_hi:[1,1,0]
	s_wait_loadcnt 0x0
	v_fma_mix_f32 v10, v18, v9, v3 op_sel_hi:[1,1,0]
	s_wait_alu 0xfffe
	s_and_not1_b32 exec_lo, exec_lo, s6
	s_cbranch_execnz .LBB93_16
; %bb.17:
	s_or_b32 exec_lo, exec_lo, s6
.LBB93_18:
	s_wait_alu 0xfffe
	s_or_b32 exec_lo, exec_lo, s3
	s_cbranch_execz .LBB93_20
	s_branch .LBB93_25
.LBB93_19:
                                        ; implicit-def: $vgpr10
                                        ; implicit-def: $vgpr11
                                        ; implicit-def: $vgpr12
.LBB93_20:
	v_dual_mov_b32 v10, 0 :: v_dual_mov_b32 v11, 0
	v_mov_b32_e32 v12, 0
	s_and_saveexec_b32 s3, s2
	s_cbranch_execz .LBB93_24
; %bb.21:
	v_dual_mov_b32 v10, 0 :: v_dual_mov_b32 v11, 0
	v_mov_b32_e32 v12, 0
	s_mov_b32 s2, 0
.LBB93_22:                              ; =>This Inner Loop Header: Depth=1
	v_ashrrev_i32_e32 v3, 31, v2
	s_delay_alu instid0(VALU_DEP_1) | instskip(SKIP_1) | instid1(VALU_DEP_2)
	v_lshlrev_b64_e32 v[6:7], 2, v[2:3]
	v_add_nc_u32_e32 v2, 32, v2
	v_add_co_u32 v6, vcc_lo, s8, v6
	s_wait_alu 0xfffd
	s_delay_alu instid0(VALU_DEP_3) | instskip(SKIP_3) | instid1(VALU_DEP_1)
	v_add_co_ci_u32_e64 v7, null, s9, v7, vcc_lo
	global_load_b32 v3, v[6:7], off
	s_wait_loadcnt 0x0
	v_subrev_nc_u32_e32 v3, s16, v3
	v_lshl_add_u32 v6, v3, 1, v3
	s_delay_alu instid0(VALU_DEP_1) | instskip(NEXT) | instid1(VALU_DEP_1)
	v_ashrrev_i32_e32 v7, 31, v6
	v_lshlrev_b64_e32 v[6:7], 1, v[6:7]
	s_wait_kmcnt 0x0
	s_delay_alu instid0(VALU_DEP_1) | instskip(SKIP_1) | instid1(VALU_DEP_2)
	v_add_co_u32 v14, vcc_lo, s4, v6
	s_wait_alu 0xfffd
	v_add_co_ci_u32_e64 v15, null, s5, v7, vcc_lo
	global_load_b128 v[6:9], v[4:5], off
	s_clause 0x1
	global_load_b32 v3, v[14:15], off
	global_load_u16 v14, v[14:15], off offset:4
	global_load_u16 v15, v[4:5], off offset:16
	v_add_co_u32 v4, vcc_lo, 0x240, v4
	s_wait_alu 0xfffd
	v_add_co_ci_u32_e64 v5, null, 0, v5, vcc_lo
	v_cmp_ge_i32_e32 vcc_lo, v2, v13
	s_wait_alu 0xfffe
	s_or_b32 s2, vcc_lo, s2
	s_wait_loadcnt 0x2
	v_fma_mix_f32 v12, v6, v3, v12 op_sel_hi:[1,1,0]
	v_fma_mix_f32 v6, v6, v3, v11 op_sel:[1,0,0] op_sel_hi:[1,1,0]
	v_fma_mix_f32 v10, v7, v3, v10 op_sel_hi:[1,1,0]
	s_delay_alu instid0(VALU_DEP_3) | instskip(NEXT) | instid1(VALU_DEP_3)
	v_fma_mix_f32 v7, v7, v3, v12 op_sel:[1,1,0] op_sel_hi:[1,1,0]
	v_fma_mix_f32 v6, v8, v3, v6 op_sel:[0,1,0] op_sel_hi:[1,1,0]
	s_delay_alu instid0(VALU_DEP_3) | instskip(SKIP_1) | instid1(VALU_DEP_3)
	v_fma_mix_f32 v3, v8, v3, v10 op_sel:[1,1,0] op_sel_hi:[1,1,0]
	s_wait_loadcnt 0x1
	v_fma_mix_f32 v12, v9, v14, v7 op_sel_hi:[1,1,0]
	s_delay_alu instid0(VALU_DEP_3)
	v_fma_mix_f32 v11, v9, v14, v6 op_sel:[1,0,0] op_sel_hi:[1,1,0]
	s_wait_loadcnt 0x0
	v_fma_mix_f32 v10, v15, v14, v3 op_sel_hi:[1,1,0]
	s_wait_alu 0xfffe
	s_and_not1_b32 exec_lo, exec_lo, s2
	s_cbranch_execnz .LBB93_22
; %bb.23:
	s_or_b32 exec_lo, exec_lo, s2
.LBB93_24:
	s_wait_alu 0xfffe
	s_or_b32 exec_lo, exec_lo, s3
.LBB93_25:
	v_mbcnt_lo_u32_b32 v2, -1, 0
	s_mov_b32 s2, -1
	s_delay_alu instid0(VALU_DEP_1) | instskip(SKIP_2) | instid1(VALU_DEP_3)
	v_xor_b32_e32 v3, 16, v2
	v_xor_b32_e32 v6, 8, v2
	;; [unrolled: 1-line block ×3, first 2 shown]
	v_cmp_gt_i32_e32 vcc_lo, 32, v3
	s_wait_alu 0xfffd
	v_cndmask_b32_e32 v3, v2, v3, vcc_lo
	v_cmp_gt_i32_e32 vcc_lo, 32, v6
	s_wait_alu 0xfffd
	v_cndmask_b32_e32 v6, v2, v6, vcc_lo
	v_cmp_gt_i32_e32 vcc_lo, 32, v9
	s_delay_alu instid0(VALU_DEP_2)
	v_lshlrev_b32_e32 v6, 2, v6
	v_lshlrev_b32_e32 v3, 2, v3
	ds_bpermute_b32 v4, v3, v12
	s_wait_dscnt 0x0
	v_add_f32_e32 v4, v12, v4
	ds_bpermute_b32 v5, v3, v11
	ds_bpermute_b32 v3, v3, v10
	;; [unrolled: 1-line block ×3, first 2 shown]
	s_wait_alu 0xfffd
	v_cndmask_b32_e32 v9, v2, v9, vcc_lo
	s_wait_dscnt 0x0
	v_dual_add_f32 v5, v11, v5 :: v_dual_add_f32 v4, v4, v7
	v_add_f32_e32 v3, v10, v3
	ds_bpermute_b32 v8, v6, v5
	ds_bpermute_b32 v6, v6, v3
	s_wait_dscnt 0x1
	v_add_f32_e32 v5, v5, v8
	s_wait_dscnt 0x0
	v_add_f32_e32 v3, v3, v6
	v_lshlrev_b32_e32 v9, 2, v9
	ds_bpermute_b32 v6, v9, v4
	ds_bpermute_b32 v8, v9, v3
	s_wait_dscnt 0x1
	v_add_f32_e32 v4, v4, v6
	s_wait_dscnt 0x0
	v_add_f32_e32 v6, v3, v8
	ds_bpermute_b32 v7, v9, v5
	v_xor_b32_e32 v9, 2, v2
	s_delay_alu instid0(VALU_DEP_1) | instskip(SKIP_2) | instid1(VALU_DEP_1)
	v_cmp_gt_i32_e32 vcc_lo, 32, v9
	s_wait_alu 0xfffd
	v_cndmask_b32_e32 v9, v2, v9, vcc_lo
	v_lshlrev_b32_e32 v9, 2, v9
	s_wait_dscnt 0x0
	v_add_f32_e32 v5, v5, v7
	ds_bpermute_b32 v3, v9, v4
	ds_bpermute_b32 v8, v9, v6
	;; [unrolled: 1-line block ×3, first 2 shown]
	v_xor_b32_e32 v9, 1, v2
	s_delay_alu instid0(VALU_DEP_1) | instskip(SKIP_4) | instid1(VALU_DEP_2)
	v_cmp_gt_i32_e32 vcc_lo, 32, v9
	s_wait_alu 0xfffd
	v_cndmask_b32_e32 v2, v2, v9, vcc_lo
	v_cmp_eq_u32_e32 vcc_lo, 31, v0
	s_wait_dscnt 0x2
	v_dual_add_f32 v2, v4, v3 :: v_dual_lshlrev_b32 v9, 2, v2
	s_wait_dscnt 0x0
	v_dual_add_f32 v4, v6, v8 :: v_dual_add_f32 v3, v5, v7
	ds_bpermute_b32 v5, v9, v2
	ds_bpermute_b32 v7, v9, v4
	;; [unrolled: 1-line block ×3, first 2 shown]
	s_and_b32 exec_lo, exec_lo, vcc_lo
	s_cbranch_execz .LBB93_10
; %bb.26:
	s_load_b64 s[0:1], s[0:1], 0x50
	s_wait_dscnt 0x2
	v_add_f32_e32 v0, v2, v5
	s_wait_dscnt 0x0
	v_add_f32_e32 v2, v3, v6
	v_add_f32_e32 v4, v4, v7
	v_lshl_add_u32 v3, v1, 1, v1
	s_cmp_eq_f32 s12, 0
	s_delay_alu instid0(VALU_DEP_3) | instskip(NEXT) | instid1(VALU_DEP_3)
	v_dual_mul_f32 v1, s14, v2 :: v_dual_mul_f32 v0, s14, v0
	v_mul_f32_e32 v2, s14, v4
	s_delay_alu instid0(VALU_DEP_3)
	v_ashrrev_i32_e32 v4, 31, v3
	s_cbranch_scc0 .LBB93_28
; %bb.27:
	s_delay_alu instid0(VALU_DEP_1) | instskip(SKIP_2) | instid1(VALU_DEP_1)
	v_lshlrev_b64_e32 v[5:6], 2, v[3:4]
	s_mov_b32 s2, 0
	s_wait_kmcnt 0x0
	v_add_co_u32 v5, vcc_lo, s0, v5
	s_wait_alu 0xfffd
	s_delay_alu instid0(VALU_DEP_2)
	v_add_co_ci_u32_e64 v6, null, s1, v6, vcc_lo
	global_store_b96 v[5:6], v[0:2], off
.LBB93_28:
	s_wait_alu 0xfffe
	s_and_not1_b32 vcc_lo, exec_lo, s2
	s_wait_alu 0xfffe
	s_cbranch_vccnz .LBB93_10
; %bb.29:
	v_lshlrev_b64_e32 v[3:4], 2, v[3:4]
	s_wait_kmcnt 0x0
	s_delay_alu instid0(VALU_DEP_1) | instskip(SKIP_1) | instid1(VALU_DEP_2)
	v_add_co_u32 v6, vcc_lo, s0, v3
	s_wait_alu 0xfffd
	v_add_co_ci_u32_e64 v7, null, s1, v4, vcc_lo
	global_load_b96 v[3:5], v[6:7], off
	s_wait_loadcnt 0x0
	v_dual_fmac_f32 v0, s12, v3 :: v_dual_fmac_f32 v1, s12, v4
	v_fmac_f32_e32 v2, s12, v5
	global_store_b96 v[6:7], v[0:2], off
	s_endpgm
	.section	.rodata,"a",@progbits
	.p2align	6, 0x0
	.amdhsa_kernel _ZN9rocsparseL18bsrxmvn_3x3_kernelILj256ELj32EfiiDF16_DF16_fEEvT3_20rocsparse_direction_NS_24const_host_device_scalarIT1_EES1_PKS1_PKT2_SA_S7_PKT4_PKT5_S5_PT6_21rocsparse_index_base_b
		.amdhsa_group_segment_fixed_size 0
		.amdhsa_private_segment_fixed_size 0
		.amdhsa_kernarg_size 96
		.amdhsa_user_sgpr_count 2
		.amdhsa_user_sgpr_dispatch_ptr 0
		.amdhsa_user_sgpr_queue_ptr 0
		.amdhsa_user_sgpr_kernarg_segment_ptr 1
		.amdhsa_user_sgpr_dispatch_id 0
		.amdhsa_user_sgpr_private_segment_size 0
		.amdhsa_wavefront_size32 1
		.amdhsa_uses_dynamic_stack 0
		.amdhsa_enable_private_segment 0
		.amdhsa_system_sgpr_workgroup_id_x 1
		.amdhsa_system_sgpr_workgroup_id_y 0
		.amdhsa_system_sgpr_workgroup_id_z 0
		.amdhsa_system_sgpr_workgroup_info 0
		.amdhsa_system_vgpr_workitem_id 0
		.amdhsa_next_free_vgpr 20
		.amdhsa_next_free_sgpr 18
		.amdhsa_reserve_vcc 1
		.amdhsa_float_round_mode_32 0
		.amdhsa_float_round_mode_16_64 0
		.amdhsa_float_denorm_mode_32 3
		.amdhsa_float_denorm_mode_16_64 3
		.amdhsa_fp16_overflow 0
		.amdhsa_workgroup_processor_mode 1
		.amdhsa_memory_ordered 1
		.amdhsa_forward_progress 1
		.amdhsa_inst_pref_size 15
		.amdhsa_round_robin_scheduling 0
		.amdhsa_exception_fp_ieee_invalid_op 0
		.amdhsa_exception_fp_denorm_src 0
		.amdhsa_exception_fp_ieee_div_zero 0
		.amdhsa_exception_fp_ieee_overflow 0
		.amdhsa_exception_fp_ieee_underflow 0
		.amdhsa_exception_fp_ieee_inexact 0
		.amdhsa_exception_int_div_zero 0
	.end_amdhsa_kernel
	.section	.text._ZN9rocsparseL18bsrxmvn_3x3_kernelILj256ELj32EfiiDF16_DF16_fEEvT3_20rocsparse_direction_NS_24const_host_device_scalarIT1_EES1_PKS1_PKT2_SA_S7_PKT4_PKT5_S5_PT6_21rocsparse_index_base_b,"axG",@progbits,_ZN9rocsparseL18bsrxmvn_3x3_kernelILj256ELj32EfiiDF16_DF16_fEEvT3_20rocsparse_direction_NS_24const_host_device_scalarIT1_EES1_PKS1_PKT2_SA_S7_PKT4_PKT5_S5_PT6_21rocsparse_index_base_b,comdat
.Lfunc_end93:
	.size	_ZN9rocsparseL18bsrxmvn_3x3_kernelILj256ELj32EfiiDF16_DF16_fEEvT3_20rocsparse_direction_NS_24const_host_device_scalarIT1_EES1_PKS1_PKT2_SA_S7_PKT4_PKT5_S5_PT6_21rocsparse_index_base_b, .Lfunc_end93-_ZN9rocsparseL18bsrxmvn_3x3_kernelILj256ELj32EfiiDF16_DF16_fEEvT3_20rocsparse_direction_NS_24const_host_device_scalarIT1_EES1_PKS1_PKT2_SA_S7_PKT4_PKT5_S5_PT6_21rocsparse_index_base_b
                                        ; -- End function
	.set _ZN9rocsparseL18bsrxmvn_3x3_kernelILj256ELj32EfiiDF16_DF16_fEEvT3_20rocsparse_direction_NS_24const_host_device_scalarIT1_EES1_PKS1_PKT2_SA_S7_PKT4_PKT5_S5_PT6_21rocsparse_index_base_b.num_vgpr, 20
	.set _ZN9rocsparseL18bsrxmvn_3x3_kernelILj256ELj32EfiiDF16_DF16_fEEvT3_20rocsparse_direction_NS_24const_host_device_scalarIT1_EES1_PKS1_PKT2_SA_S7_PKT4_PKT5_S5_PT6_21rocsparse_index_base_b.num_agpr, 0
	.set _ZN9rocsparseL18bsrxmvn_3x3_kernelILj256ELj32EfiiDF16_DF16_fEEvT3_20rocsparse_direction_NS_24const_host_device_scalarIT1_EES1_PKS1_PKT2_SA_S7_PKT4_PKT5_S5_PT6_21rocsparse_index_base_b.numbered_sgpr, 18
	.set _ZN9rocsparseL18bsrxmvn_3x3_kernelILj256ELj32EfiiDF16_DF16_fEEvT3_20rocsparse_direction_NS_24const_host_device_scalarIT1_EES1_PKS1_PKT2_SA_S7_PKT4_PKT5_S5_PT6_21rocsparse_index_base_b.num_named_barrier, 0
	.set _ZN9rocsparseL18bsrxmvn_3x3_kernelILj256ELj32EfiiDF16_DF16_fEEvT3_20rocsparse_direction_NS_24const_host_device_scalarIT1_EES1_PKS1_PKT2_SA_S7_PKT4_PKT5_S5_PT6_21rocsparse_index_base_b.private_seg_size, 0
	.set _ZN9rocsparseL18bsrxmvn_3x3_kernelILj256ELj32EfiiDF16_DF16_fEEvT3_20rocsparse_direction_NS_24const_host_device_scalarIT1_EES1_PKS1_PKT2_SA_S7_PKT4_PKT5_S5_PT6_21rocsparse_index_base_b.uses_vcc, 1
	.set _ZN9rocsparseL18bsrxmvn_3x3_kernelILj256ELj32EfiiDF16_DF16_fEEvT3_20rocsparse_direction_NS_24const_host_device_scalarIT1_EES1_PKS1_PKT2_SA_S7_PKT4_PKT5_S5_PT6_21rocsparse_index_base_b.uses_flat_scratch, 0
	.set _ZN9rocsparseL18bsrxmvn_3x3_kernelILj256ELj32EfiiDF16_DF16_fEEvT3_20rocsparse_direction_NS_24const_host_device_scalarIT1_EES1_PKS1_PKT2_SA_S7_PKT4_PKT5_S5_PT6_21rocsparse_index_base_b.has_dyn_sized_stack, 0
	.set _ZN9rocsparseL18bsrxmvn_3x3_kernelILj256ELj32EfiiDF16_DF16_fEEvT3_20rocsparse_direction_NS_24const_host_device_scalarIT1_EES1_PKS1_PKT2_SA_S7_PKT4_PKT5_S5_PT6_21rocsparse_index_base_b.has_recursion, 0
	.set _ZN9rocsparseL18bsrxmvn_3x3_kernelILj256ELj32EfiiDF16_DF16_fEEvT3_20rocsparse_direction_NS_24const_host_device_scalarIT1_EES1_PKS1_PKT2_SA_S7_PKT4_PKT5_S5_PT6_21rocsparse_index_base_b.has_indirect_call, 0
	.section	.AMDGPU.csdata,"",@progbits
; Kernel info:
; codeLenInByte = 1812
; TotalNumSgprs: 20
; NumVgprs: 20
; ScratchSize: 0
; MemoryBound: 0
; FloatMode: 240
; IeeeMode: 1
; LDSByteSize: 0 bytes/workgroup (compile time only)
; SGPRBlocks: 0
; VGPRBlocks: 2
; NumSGPRsForWavesPerEU: 20
; NumVGPRsForWavesPerEU: 20
; Occupancy: 16
; WaveLimiterHint : 1
; COMPUTE_PGM_RSRC2:SCRATCH_EN: 0
; COMPUTE_PGM_RSRC2:USER_SGPR: 2
; COMPUTE_PGM_RSRC2:TRAP_HANDLER: 0
; COMPUTE_PGM_RSRC2:TGID_X_EN: 1
; COMPUTE_PGM_RSRC2:TGID_Y_EN: 0
; COMPUTE_PGM_RSRC2:TGID_Z_EN: 0
; COMPUTE_PGM_RSRC2:TIDIG_COMP_CNT: 0
	.section	.text._ZN9rocsparseL18bsrxmvn_3x3_kernelILj256ELj64EfiiDF16_DF16_fEEvT3_20rocsparse_direction_NS_24const_host_device_scalarIT1_EES1_PKS1_PKT2_SA_S7_PKT4_PKT5_S5_PT6_21rocsparse_index_base_b,"axG",@progbits,_ZN9rocsparseL18bsrxmvn_3x3_kernelILj256ELj64EfiiDF16_DF16_fEEvT3_20rocsparse_direction_NS_24const_host_device_scalarIT1_EES1_PKS1_PKT2_SA_S7_PKT4_PKT5_S5_PT6_21rocsparse_index_base_b,comdat
	.globl	_ZN9rocsparseL18bsrxmvn_3x3_kernelILj256ELj64EfiiDF16_DF16_fEEvT3_20rocsparse_direction_NS_24const_host_device_scalarIT1_EES1_PKS1_PKT2_SA_S7_PKT4_PKT5_S5_PT6_21rocsparse_index_base_b ; -- Begin function _ZN9rocsparseL18bsrxmvn_3x3_kernelILj256ELj64EfiiDF16_DF16_fEEvT3_20rocsparse_direction_NS_24const_host_device_scalarIT1_EES1_PKS1_PKT2_SA_S7_PKT4_PKT5_S5_PT6_21rocsparse_index_base_b
	.p2align	8
	.type	_ZN9rocsparseL18bsrxmvn_3x3_kernelILj256ELj64EfiiDF16_DF16_fEEvT3_20rocsparse_direction_NS_24const_host_device_scalarIT1_EES1_PKS1_PKT2_SA_S7_PKT4_PKT5_S5_PT6_21rocsparse_index_base_b,@function
_ZN9rocsparseL18bsrxmvn_3x3_kernelILj256ELj64EfiiDF16_DF16_fEEvT3_20rocsparse_direction_NS_24const_host_device_scalarIT1_EES1_PKS1_PKT2_SA_S7_PKT4_PKT5_S5_PT6_21rocsparse_index_base_b: ; @_ZN9rocsparseL18bsrxmvn_3x3_kernelILj256ELj64EfiiDF16_DF16_fEEvT3_20rocsparse_direction_NS_24const_host_device_scalarIT1_EES1_PKS1_PKT2_SA_S7_PKT4_PKT5_S5_PT6_21rocsparse_index_base_b
; %bb.0:
	s_clause 0x2
	s_load_b64 s[16:17], s[0:1], 0x58
	s_load_b64 s[14:15], s[0:1], 0x8
	;; [unrolled: 1-line block ×3, first 2 shown]
	s_wait_kmcnt 0x0
	s_bitcmp1_b32 s17, 0
	s_cselect_b32 s2, -1, 0
	s_delay_alu instid0(SALU_CYCLE_1)
	s_and_b32 vcc_lo, exec_lo, s2
	s_xor_b32 s2, s2, -1
	s_cbranch_vccnz .LBB94_2
; %bb.1:
	s_load_b32 s14, s[14:15], 0x0
.LBB94_2:
	s_and_not1_b32 vcc_lo, exec_lo, s2
	s_cbranch_vccnz .LBB94_4
; %bb.3:
	s_load_b32 s12, s[12:13], 0x0
.LBB94_4:
	s_wait_kmcnt 0x0
	s_cmp_neq_f32 s14, 0
	s_mov_b32 s6, 0
	s_cselect_b32 s2, -1, 0
	s_cmp_neq_f32 s12, 1.0
	s_cselect_b32 s3, -1, 0
	s_delay_alu instid0(SALU_CYCLE_1) | instskip(NEXT) | instid1(SALU_CYCLE_1)
	s_or_b32 s2, s2, s3
	s_and_not1_b32 vcc_lo, exec_lo, s2
	s_cbranch_vccnz .LBB94_10
; %bb.5:
	s_clause 0x1
	s_load_b64 s[4:5], s[0:1], 0x18
	s_load_b64 s[2:3], s[0:1], 0x0
	v_lshrrev_b32_e32 v1, 6, v0
	s_delay_alu instid0(VALU_DEP_1)
	v_lshl_or_b32 v1, ttmp9, 2, v1
	s_wait_kmcnt 0x0
	s_cmp_lg_u64 s[4:5], 0
	s_cbranch_scc0 .LBB94_11
; %bb.6:
	s_load_b32 s6, s[0:1], 0x10
	s_mov_b32 s7, 0
                                        ; implicit-def: $vgpr2
	s_wait_kmcnt 0x0
	v_cmp_gt_i32_e32 vcc_lo, s6, v1
	s_mov_b32 s6, 0
	s_and_saveexec_b32 s8, vcc_lo
	s_delay_alu instid0(SALU_CYCLE_1)
	s_xor_b32 s8, exec_lo, s8
	s_cbranch_execz .LBB94_8
; %bb.7:
	v_ashrrev_i32_e32 v2, 31, v1
	s_mov_b32 s6, exec_lo
	s_delay_alu instid0(VALU_DEP_1) | instskip(NEXT) | instid1(VALU_DEP_1)
	v_lshlrev_b64_e32 v[2:3], 2, v[1:2]
	v_add_co_u32 v2, vcc_lo, s4, v2
	s_delay_alu instid0(VALU_DEP_1)
	v_add_co_ci_u32_e64 v3, null, s5, v3, vcc_lo
	global_load_b32 v2, v[2:3], off
	s_wait_loadcnt 0x0
	v_subrev_nc_u32_e32 v2, s16, v2
.LBB94_8:
	s_or_b32 exec_lo, exec_lo, s8
	s_delay_alu instid0(SALU_CYCLE_1)
	s_and_b32 vcc_lo, exec_lo, s7
	s_wait_alu 0xfffe
	s_cbranch_vccz .LBB94_12
.LBB94_9:
	v_cmp_gt_i32_e32 vcc_lo, s2, v1
	s_and_not1_b32 s2, s6, exec_lo
	s_and_b32 s4, vcc_lo, exec_lo
	s_wait_alu 0xfffe
	s_or_b32 s6, s2, s4
	s_wait_alu 0xfffe
	s_and_saveexec_b32 s2, s6
	s_cbranch_execnz .LBB94_13
.LBB94_10:
	s_endpgm
.LBB94_11:
                                        ; implicit-def: $vgpr2
	s_cbranch_execnz .LBB94_9
.LBB94_12:
	v_mov_b32_e32 v1, v2
	s_and_saveexec_b32 s2, s6
	s_cbranch_execz .LBB94_10
.LBB94_13:
	s_load_b256 s[4:11], s[0:1], 0x20
	s_delay_alu instid0(VALU_DEP_1) | instskip(SKIP_1) | instid1(VALU_DEP_2)
	v_ashrrev_i32_e32 v2, 31, v1
	v_and_b32_e32 v0, 63, v0
	v_lshlrev_b64_e32 v[2:3], 2, v[1:2]
	s_wait_kmcnt 0x0
	s_delay_alu instid0(VALU_DEP_1) | instskip(SKIP_1) | instid1(VALU_DEP_2)
	v_add_co_u32 v4, vcc_lo, s4, v2
	s_wait_alu 0xfffd
	v_add_co_ci_u32_e64 v5, null, s5, v3, vcc_lo
	v_add_co_u32 v2, vcc_lo, s6, v2
	s_wait_alu 0xfffd
	v_add_co_ci_u32_e64 v3, null, s7, v3, vcc_lo
	;; [unrolled: 3-line block ×3, first 2 shown]
	s_cmp_eq_u64 s[6:7], 0
	global_load_b32 v4, v[4:5], off
	s_cselect_b32 vcc_lo, -1, 0
	s_load_b64 s[4:5], s[0:1], 0x40
	v_dual_cndmask_b32 v3, v3, v7 :: v_dual_cndmask_b32 v2, v2, v6
	s_cmp_eq_u32 s3, 1
	global_load_b32 v3, v[2:3], off
	s_wait_loadcnt 0x1
	v_subrev_nc_u32_e32 v2, s16, v4
	s_delay_alu instid0(VALU_DEP_1) | instskip(SKIP_2) | instid1(VALU_DEP_2)
	v_add_nc_u32_e32 v2, v2, v0
	s_wait_loadcnt 0x0
	v_subrev_nc_u32_e32 v13, s16, v3
	v_mad_co_i64_i32 v[4:5], null, v2, 18, s[10:11]
	s_delay_alu instid0(VALU_DEP_2)
	v_cmp_lt_i32_e64 s2, v2, v13
	s_cbranch_scc1 .LBB94_19
; %bb.14:
	v_dual_mov_b32 v10, 0 :: v_dual_mov_b32 v11, 0
	v_mov_b32_e32 v12, 0
	s_and_saveexec_b32 s3, s2
	s_cbranch_execz .LBB94_18
; %bb.15:
	v_dual_mov_b32 v10, 0 :: v_dual_mov_b32 v7, v5
	v_dual_mov_b32 v6, v4 :: v_dual_mov_b32 v11, 0
	v_mov_b32_e32 v8, v2
	v_mov_b32_e32 v12, 0
	s_mov_b32 s6, 0
.LBB94_16:                              ; =>This Inner Loop Header: Depth=1
	s_delay_alu instid0(VALU_DEP_2) | instskip(NEXT) | instid1(VALU_DEP_1)
	v_ashrrev_i32_e32 v9, 31, v8
	v_lshlrev_b64_e32 v[14:15], 2, v[8:9]
	v_add_nc_u32_e32 v8, 64, v8
	s_delay_alu instid0(VALU_DEP_2) | instskip(SKIP_1) | instid1(VALU_DEP_3)
	v_add_co_u32 v14, vcc_lo, s8, v14
	s_wait_alu 0xfffd
	v_add_co_ci_u32_e64 v15, null, s9, v15, vcc_lo
	global_load_b32 v3, v[14:15], off
	s_wait_loadcnt 0x0
	v_subrev_nc_u32_e32 v3, s16, v3
	s_delay_alu instid0(VALU_DEP_1) | instskip(NEXT) | instid1(VALU_DEP_1)
	v_lshl_add_u32 v14, v3, 1, v3
	v_ashrrev_i32_e32 v15, 31, v14
	s_delay_alu instid0(VALU_DEP_1) | instskip(SKIP_1) | instid1(VALU_DEP_1)
	v_lshlrev_b64_e32 v[14:15], 1, v[14:15]
	s_wait_kmcnt 0x0
	v_add_co_u32 v18, vcc_lo, s4, v14
	s_wait_alu 0xfffd
	s_delay_alu instid0(VALU_DEP_2)
	v_add_co_ci_u32_e64 v19, null, s5, v15, vcc_lo
	global_load_b128 v[14:17], v[6:7], off
	s_clause 0x1
	global_load_b32 v3, v[18:19], off
	global_load_u16 v9, v[18:19], off offset:4
	global_load_u16 v18, v[6:7], off offset:16
	v_add_co_u32 v6, vcc_lo, 0x480, v6
	s_wait_alu 0xfffd
	v_add_co_ci_u32_e64 v7, null, 0, v7, vcc_lo
	v_cmp_ge_i32_e32 vcc_lo, v8, v13
	s_wait_alu 0xfffe
	s_or_b32 s6, vcc_lo, s6
	s_wait_loadcnt 0x2
	v_fma_mix_f32 v12, v14, v3, v12 op_sel_hi:[1,1,0]
	v_fma_mix_f32 v11, v15, v3, v11 op_sel:[1,0,0] op_sel_hi:[1,1,0]
	v_fma_mix_f32 v10, v17, v3, v10 op_sel_hi:[1,1,0]
	s_delay_alu instid0(VALU_DEP_3) | instskip(NEXT) | instid1(VALU_DEP_3)
	v_fma_mix_f32 v12, v14, v3, v12 op_sel:[1,1,0] op_sel_hi:[1,1,0]
	v_fma_mix_f32 v11, v16, v3, v11 op_sel:[0,1,0] op_sel_hi:[1,1,0]
	s_delay_alu instid0(VALU_DEP_3) | instskip(SKIP_1) | instid1(VALU_DEP_3)
	v_fma_mix_f32 v3, v17, v3, v10 op_sel:[1,1,0] op_sel_hi:[1,1,0]
	s_wait_loadcnt 0x1
	v_fma_mix_f32 v12, v15, v9, v12 op_sel_hi:[1,1,0]
	s_delay_alu instid0(VALU_DEP_3)
	v_fma_mix_f32 v11, v16, v9, v11 op_sel:[1,0,0] op_sel_hi:[1,1,0]
	s_wait_loadcnt 0x0
	v_fma_mix_f32 v10, v18, v9, v3 op_sel_hi:[1,1,0]
	s_wait_alu 0xfffe
	s_and_not1_b32 exec_lo, exec_lo, s6
	s_cbranch_execnz .LBB94_16
; %bb.17:
	s_or_b32 exec_lo, exec_lo, s6
.LBB94_18:
	s_wait_alu 0xfffe
	s_or_b32 exec_lo, exec_lo, s3
	s_cbranch_execz .LBB94_20
	s_branch .LBB94_25
.LBB94_19:
                                        ; implicit-def: $vgpr10
                                        ; implicit-def: $vgpr11
                                        ; implicit-def: $vgpr12
.LBB94_20:
	v_dual_mov_b32 v10, 0 :: v_dual_mov_b32 v11, 0
	v_mov_b32_e32 v12, 0
	s_and_saveexec_b32 s3, s2
	s_cbranch_execz .LBB94_24
; %bb.21:
	v_dual_mov_b32 v10, 0 :: v_dual_mov_b32 v11, 0
	v_mov_b32_e32 v12, 0
	s_mov_b32 s2, 0
.LBB94_22:                              ; =>This Inner Loop Header: Depth=1
	v_ashrrev_i32_e32 v3, 31, v2
	s_delay_alu instid0(VALU_DEP_1) | instskip(SKIP_1) | instid1(VALU_DEP_2)
	v_lshlrev_b64_e32 v[6:7], 2, v[2:3]
	v_add_nc_u32_e32 v2, 64, v2
	v_add_co_u32 v6, vcc_lo, s8, v6
	s_wait_alu 0xfffd
	s_delay_alu instid0(VALU_DEP_3) | instskip(SKIP_3) | instid1(VALU_DEP_1)
	v_add_co_ci_u32_e64 v7, null, s9, v7, vcc_lo
	global_load_b32 v3, v[6:7], off
	s_wait_loadcnt 0x0
	v_subrev_nc_u32_e32 v3, s16, v3
	v_lshl_add_u32 v6, v3, 1, v3
	s_delay_alu instid0(VALU_DEP_1) | instskip(NEXT) | instid1(VALU_DEP_1)
	v_ashrrev_i32_e32 v7, 31, v6
	v_lshlrev_b64_e32 v[6:7], 1, v[6:7]
	s_wait_kmcnt 0x0
	s_delay_alu instid0(VALU_DEP_1) | instskip(SKIP_1) | instid1(VALU_DEP_2)
	v_add_co_u32 v14, vcc_lo, s4, v6
	s_wait_alu 0xfffd
	v_add_co_ci_u32_e64 v15, null, s5, v7, vcc_lo
	global_load_b128 v[6:9], v[4:5], off
	s_clause 0x1
	global_load_b32 v3, v[14:15], off
	global_load_u16 v14, v[14:15], off offset:4
	global_load_u16 v15, v[4:5], off offset:16
	v_add_co_u32 v4, vcc_lo, 0x480, v4
	s_wait_alu 0xfffd
	v_add_co_ci_u32_e64 v5, null, 0, v5, vcc_lo
	v_cmp_ge_i32_e32 vcc_lo, v2, v13
	s_wait_alu 0xfffe
	s_or_b32 s2, vcc_lo, s2
	s_wait_loadcnt 0x2
	v_fma_mix_f32 v12, v6, v3, v12 op_sel_hi:[1,1,0]
	v_fma_mix_f32 v6, v6, v3, v11 op_sel:[1,0,0] op_sel_hi:[1,1,0]
	v_fma_mix_f32 v10, v7, v3, v10 op_sel_hi:[1,1,0]
	s_delay_alu instid0(VALU_DEP_3) | instskip(NEXT) | instid1(VALU_DEP_3)
	v_fma_mix_f32 v7, v7, v3, v12 op_sel:[1,1,0] op_sel_hi:[1,1,0]
	v_fma_mix_f32 v6, v8, v3, v6 op_sel:[0,1,0] op_sel_hi:[1,1,0]
	s_delay_alu instid0(VALU_DEP_3) | instskip(SKIP_1) | instid1(VALU_DEP_3)
	v_fma_mix_f32 v3, v8, v3, v10 op_sel:[1,1,0] op_sel_hi:[1,1,0]
	s_wait_loadcnt 0x1
	v_fma_mix_f32 v12, v9, v14, v7 op_sel_hi:[1,1,0]
	s_delay_alu instid0(VALU_DEP_3)
	v_fma_mix_f32 v11, v9, v14, v6 op_sel:[1,0,0] op_sel_hi:[1,1,0]
	s_wait_loadcnt 0x0
	v_fma_mix_f32 v10, v15, v14, v3 op_sel_hi:[1,1,0]
	s_wait_alu 0xfffe
	s_and_not1_b32 exec_lo, exec_lo, s2
	s_cbranch_execnz .LBB94_22
; %bb.23:
	s_or_b32 exec_lo, exec_lo, s2
.LBB94_24:
	s_wait_alu 0xfffe
	s_or_b32 exec_lo, exec_lo, s3
.LBB94_25:
	v_mbcnt_lo_u32_b32 v2, -1, 0
	s_mov_b32 s2, -1
	s_delay_alu instid0(VALU_DEP_1) | instskip(SKIP_2) | instid1(VALU_DEP_3)
	v_or_b32_e32 v3, 32, v2
	v_xor_b32_e32 v6, 16, v2
	v_xor_b32_e32 v9, 8, v2
	v_cmp_gt_i32_e32 vcc_lo, 32, v3
	s_wait_alu 0xfffd
	v_cndmask_b32_e32 v3, v2, v3, vcc_lo
	v_cmp_gt_i32_e32 vcc_lo, 32, v6
	s_wait_alu 0xfffd
	v_cndmask_b32_e32 v6, v2, v6, vcc_lo
	v_cmp_gt_i32_e32 vcc_lo, 32, v9
	s_delay_alu instid0(VALU_DEP_2)
	v_lshlrev_b32_e32 v6, 2, v6
	v_lshlrev_b32_e32 v3, 2, v3
	ds_bpermute_b32 v4, v3, v12
	s_wait_dscnt 0x0
	v_add_f32_e32 v4, v12, v4
	ds_bpermute_b32 v5, v3, v11
	ds_bpermute_b32 v3, v3, v10
	;; [unrolled: 1-line block ×3, first 2 shown]
	s_wait_alu 0xfffd
	v_cndmask_b32_e32 v9, v2, v9, vcc_lo
	s_wait_dscnt 0x0
	v_dual_add_f32 v5, v11, v5 :: v_dual_add_f32 v4, v4, v7
	v_add_f32_e32 v3, v10, v3
	ds_bpermute_b32 v8, v6, v5
	v_lshlrev_b32_e32 v9, 2, v9
	ds_bpermute_b32 v6, v6, v3
	s_wait_dscnt 0x1
	v_add_f32_e32 v5, v5, v8
	s_wait_dscnt 0x0
	v_add_f32_e32 v3, v3, v6
	ds_bpermute_b32 v6, v9, v4
	ds_bpermute_b32 v7, v9, v5
	ds_bpermute_b32 v8, v9, v3
	v_xor_b32_e32 v9, 4, v2
	s_delay_alu instid0(VALU_DEP_1)
	v_cmp_gt_i32_e32 vcc_lo, 32, v9
	s_wait_dscnt 0x1
	v_dual_add_f32 v4, v4, v6 :: v_dual_add_f32 v5, v5, v7
	s_wait_dscnt 0x0
	v_add_f32_e32 v3, v3, v8
	s_wait_alu 0xfffd
	v_cndmask_b32_e32 v9, v2, v9, vcc_lo
	s_delay_alu instid0(VALU_DEP_1) | instskip(SKIP_4) | instid1(VALU_DEP_1)
	v_lshlrev_b32_e32 v9, 2, v9
	ds_bpermute_b32 v6, v9, v4
	ds_bpermute_b32 v7, v9, v5
	;; [unrolled: 1-line block ×3, first 2 shown]
	v_xor_b32_e32 v9, 2, v2
	v_cmp_gt_i32_e32 vcc_lo, 32, v9
	s_wait_alu 0xfffd
	v_cndmask_b32_e32 v9, v2, v9, vcc_lo
	s_wait_dscnt 0x2
	s_delay_alu instid0(VALU_DEP_1)
	v_dual_add_f32 v4, v4, v6 :: v_dual_lshlrev_b32 v9, 2, v9
	s_wait_dscnt 0x0
	v_dual_add_f32 v5, v5, v7 :: v_dual_add_f32 v6, v3, v8
	ds_bpermute_b32 v3, v9, v4
	ds_bpermute_b32 v7, v9, v5
	;; [unrolled: 1-line block ×3, first 2 shown]
	v_xor_b32_e32 v9, 1, v2
	s_delay_alu instid0(VALU_DEP_1) | instskip(SKIP_4) | instid1(VALU_DEP_2)
	v_cmp_gt_i32_e32 vcc_lo, 32, v9
	s_wait_alu 0xfffd
	v_cndmask_b32_e32 v2, v2, v9, vcc_lo
	v_cmp_eq_u32_e32 vcc_lo, 63, v0
	s_wait_dscnt 0x2
	v_dual_add_f32 v2, v4, v3 :: v_dual_lshlrev_b32 v9, 2, v2
	s_wait_dscnt 0x0
	v_dual_add_f32 v3, v5, v7 :: v_dual_add_f32 v4, v6, v8
	ds_bpermute_b32 v5, v9, v2
	ds_bpermute_b32 v6, v9, v3
	;; [unrolled: 1-line block ×3, first 2 shown]
	s_and_b32 exec_lo, exec_lo, vcc_lo
	s_cbranch_execz .LBB94_10
; %bb.26:
	s_load_b64 s[0:1], s[0:1], 0x50
	s_wait_dscnt 0x2
	v_add_f32_e32 v0, v2, v5
	s_wait_dscnt 0x1
	v_add_f32_e32 v2, v3, v6
	;; [unrolled: 2-line block ×3, first 2 shown]
	v_lshl_add_u32 v3, v1, 1, v1
	s_cmp_eq_f32 s12, 0
	v_dual_mul_f32 v1, s14, v2 :: v_dual_mul_f32 v0, s14, v0
	s_delay_alu instid0(VALU_DEP_3) | instskip(NEXT) | instid1(VALU_DEP_3)
	v_mul_f32_e32 v2, s14, v4
	v_ashrrev_i32_e32 v4, 31, v3
	s_cbranch_scc0 .LBB94_28
; %bb.27:
	s_delay_alu instid0(VALU_DEP_1) | instskip(SKIP_2) | instid1(VALU_DEP_1)
	v_lshlrev_b64_e32 v[5:6], 2, v[3:4]
	s_mov_b32 s2, 0
	s_wait_kmcnt 0x0
	v_add_co_u32 v5, vcc_lo, s0, v5
	s_wait_alu 0xfffd
	s_delay_alu instid0(VALU_DEP_2)
	v_add_co_ci_u32_e64 v6, null, s1, v6, vcc_lo
	global_store_b96 v[5:6], v[0:2], off
.LBB94_28:
	s_wait_alu 0xfffe
	s_and_not1_b32 vcc_lo, exec_lo, s2
	s_wait_alu 0xfffe
	s_cbranch_vccnz .LBB94_10
; %bb.29:
	v_lshlrev_b64_e32 v[3:4], 2, v[3:4]
	s_wait_kmcnt 0x0
	s_delay_alu instid0(VALU_DEP_1) | instskip(SKIP_1) | instid1(VALU_DEP_2)
	v_add_co_u32 v6, vcc_lo, s0, v3
	s_wait_alu 0xfffd
	v_add_co_ci_u32_e64 v7, null, s1, v4, vcc_lo
	global_load_b96 v[3:5], v[6:7], off
	s_wait_loadcnt 0x0
	v_dual_fmac_f32 v0, s12, v3 :: v_dual_fmac_f32 v1, s12, v4
	v_fmac_f32_e32 v2, s12, v5
	global_store_b96 v[6:7], v[0:2], off
	s_endpgm
	.section	.rodata,"a",@progbits
	.p2align	6, 0x0
	.amdhsa_kernel _ZN9rocsparseL18bsrxmvn_3x3_kernelILj256ELj64EfiiDF16_DF16_fEEvT3_20rocsparse_direction_NS_24const_host_device_scalarIT1_EES1_PKS1_PKT2_SA_S7_PKT4_PKT5_S5_PT6_21rocsparse_index_base_b
		.amdhsa_group_segment_fixed_size 0
		.amdhsa_private_segment_fixed_size 0
		.amdhsa_kernarg_size 96
		.amdhsa_user_sgpr_count 2
		.amdhsa_user_sgpr_dispatch_ptr 0
		.amdhsa_user_sgpr_queue_ptr 0
		.amdhsa_user_sgpr_kernarg_segment_ptr 1
		.amdhsa_user_sgpr_dispatch_id 0
		.amdhsa_user_sgpr_private_segment_size 0
		.amdhsa_wavefront_size32 1
		.amdhsa_uses_dynamic_stack 0
		.amdhsa_enable_private_segment 0
		.amdhsa_system_sgpr_workgroup_id_x 1
		.amdhsa_system_sgpr_workgroup_id_y 0
		.amdhsa_system_sgpr_workgroup_id_z 0
		.amdhsa_system_sgpr_workgroup_info 0
		.amdhsa_system_vgpr_workitem_id 0
		.amdhsa_next_free_vgpr 20
		.amdhsa_next_free_sgpr 18
		.amdhsa_reserve_vcc 1
		.amdhsa_float_round_mode_32 0
		.amdhsa_float_round_mode_16_64 0
		.amdhsa_float_denorm_mode_32 3
		.amdhsa_float_denorm_mode_16_64 3
		.amdhsa_fp16_overflow 0
		.amdhsa_workgroup_processor_mode 1
		.amdhsa_memory_ordered 1
		.amdhsa_forward_progress 1
		.amdhsa_inst_pref_size 15
		.amdhsa_round_robin_scheduling 0
		.amdhsa_exception_fp_ieee_invalid_op 0
		.amdhsa_exception_fp_denorm_src 0
		.amdhsa_exception_fp_ieee_div_zero 0
		.amdhsa_exception_fp_ieee_overflow 0
		.amdhsa_exception_fp_ieee_underflow 0
		.amdhsa_exception_fp_ieee_inexact 0
		.amdhsa_exception_int_div_zero 0
	.end_amdhsa_kernel
	.section	.text._ZN9rocsparseL18bsrxmvn_3x3_kernelILj256ELj64EfiiDF16_DF16_fEEvT3_20rocsparse_direction_NS_24const_host_device_scalarIT1_EES1_PKS1_PKT2_SA_S7_PKT4_PKT5_S5_PT6_21rocsparse_index_base_b,"axG",@progbits,_ZN9rocsparseL18bsrxmvn_3x3_kernelILj256ELj64EfiiDF16_DF16_fEEvT3_20rocsparse_direction_NS_24const_host_device_scalarIT1_EES1_PKS1_PKT2_SA_S7_PKT4_PKT5_S5_PT6_21rocsparse_index_base_b,comdat
.Lfunc_end94:
	.size	_ZN9rocsparseL18bsrxmvn_3x3_kernelILj256ELj64EfiiDF16_DF16_fEEvT3_20rocsparse_direction_NS_24const_host_device_scalarIT1_EES1_PKS1_PKT2_SA_S7_PKT4_PKT5_S5_PT6_21rocsparse_index_base_b, .Lfunc_end94-_ZN9rocsparseL18bsrxmvn_3x3_kernelILj256ELj64EfiiDF16_DF16_fEEvT3_20rocsparse_direction_NS_24const_host_device_scalarIT1_EES1_PKS1_PKT2_SA_S7_PKT4_PKT5_S5_PT6_21rocsparse_index_base_b
                                        ; -- End function
	.set _ZN9rocsparseL18bsrxmvn_3x3_kernelILj256ELj64EfiiDF16_DF16_fEEvT3_20rocsparse_direction_NS_24const_host_device_scalarIT1_EES1_PKS1_PKT2_SA_S7_PKT4_PKT5_S5_PT6_21rocsparse_index_base_b.num_vgpr, 20
	.set _ZN9rocsparseL18bsrxmvn_3x3_kernelILj256ELj64EfiiDF16_DF16_fEEvT3_20rocsparse_direction_NS_24const_host_device_scalarIT1_EES1_PKS1_PKT2_SA_S7_PKT4_PKT5_S5_PT6_21rocsparse_index_base_b.num_agpr, 0
	.set _ZN9rocsparseL18bsrxmvn_3x3_kernelILj256ELj64EfiiDF16_DF16_fEEvT3_20rocsparse_direction_NS_24const_host_device_scalarIT1_EES1_PKS1_PKT2_SA_S7_PKT4_PKT5_S5_PT6_21rocsparse_index_base_b.numbered_sgpr, 18
	.set _ZN9rocsparseL18bsrxmvn_3x3_kernelILj256ELj64EfiiDF16_DF16_fEEvT3_20rocsparse_direction_NS_24const_host_device_scalarIT1_EES1_PKS1_PKT2_SA_S7_PKT4_PKT5_S5_PT6_21rocsparse_index_base_b.num_named_barrier, 0
	.set _ZN9rocsparseL18bsrxmvn_3x3_kernelILj256ELj64EfiiDF16_DF16_fEEvT3_20rocsparse_direction_NS_24const_host_device_scalarIT1_EES1_PKS1_PKT2_SA_S7_PKT4_PKT5_S5_PT6_21rocsparse_index_base_b.private_seg_size, 0
	.set _ZN9rocsparseL18bsrxmvn_3x3_kernelILj256ELj64EfiiDF16_DF16_fEEvT3_20rocsparse_direction_NS_24const_host_device_scalarIT1_EES1_PKS1_PKT2_SA_S7_PKT4_PKT5_S5_PT6_21rocsparse_index_base_b.uses_vcc, 1
	.set _ZN9rocsparseL18bsrxmvn_3x3_kernelILj256ELj64EfiiDF16_DF16_fEEvT3_20rocsparse_direction_NS_24const_host_device_scalarIT1_EES1_PKS1_PKT2_SA_S7_PKT4_PKT5_S5_PT6_21rocsparse_index_base_b.uses_flat_scratch, 0
	.set _ZN9rocsparseL18bsrxmvn_3x3_kernelILj256ELj64EfiiDF16_DF16_fEEvT3_20rocsparse_direction_NS_24const_host_device_scalarIT1_EES1_PKS1_PKT2_SA_S7_PKT4_PKT5_S5_PT6_21rocsparse_index_base_b.has_dyn_sized_stack, 0
	.set _ZN9rocsparseL18bsrxmvn_3x3_kernelILj256ELj64EfiiDF16_DF16_fEEvT3_20rocsparse_direction_NS_24const_host_device_scalarIT1_EES1_PKS1_PKT2_SA_S7_PKT4_PKT5_S5_PT6_21rocsparse_index_base_b.has_recursion, 0
	.set _ZN9rocsparseL18bsrxmvn_3x3_kernelILj256ELj64EfiiDF16_DF16_fEEvT3_20rocsparse_direction_NS_24const_host_device_scalarIT1_EES1_PKS1_PKT2_SA_S7_PKT4_PKT5_S5_PT6_21rocsparse_index_base_b.has_indirect_call, 0
	.section	.AMDGPU.csdata,"",@progbits
; Kernel info:
; codeLenInByte = 1880
; TotalNumSgprs: 20
; NumVgprs: 20
; ScratchSize: 0
; MemoryBound: 0
; FloatMode: 240
; IeeeMode: 1
; LDSByteSize: 0 bytes/workgroup (compile time only)
; SGPRBlocks: 0
; VGPRBlocks: 2
; NumSGPRsForWavesPerEU: 20
; NumVGPRsForWavesPerEU: 20
; Occupancy: 16
; WaveLimiterHint : 1
; COMPUTE_PGM_RSRC2:SCRATCH_EN: 0
; COMPUTE_PGM_RSRC2:USER_SGPR: 2
; COMPUTE_PGM_RSRC2:TRAP_HANDLER: 0
; COMPUTE_PGM_RSRC2:TGID_X_EN: 1
; COMPUTE_PGM_RSRC2:TGID_Y_EN: 0
; COMPUTE_PGM_RSRC2:TGID_Z_EN: 0
; COMPUTE_PGM_RSRC2:TIDIG_COMP_CNT: 0
	.section	.text._ZN9rocsparseL18bsrxmvn_3x3_kernelILj256ELj4EfliDF16_DF16_fEEvT3_20rocsparse_direction_NS_24const_host_device_scalarIT1_EES1_PKS1_PKT2_SA_S7_PKT4_PKT5_S5_PT6_21rocsparse_index_base_b,"axG",@progbits,_ZN9rocsparseL18bsrxmvn_3x3_kernelILj256ELj4EfliDF16_DF16_fEEvT3_20rocsparse_direction_NS_24const_host_device_scalarIT1_EES1_PKS1_PKT2_SA_S7_PKT4_PKT5_S5_PT6_21rocsparse_index_base_b,comdat
	.globl	_ZN9rocsparseL18bsrxmvn_3x3_kernelILj256ELj4EfliDF16_DF16_fEEvT3_20rocsparse_direction_NS_24const_host_device_scalarIT1_EES1_PKS1_PKT2_SA_S7_PKT4_PKT5_S5_PT6_21rocsparse_index_base_b ; -- Begin function _ZN9rocsparseL18bsrxmvn_3x3_kernelILj256ELj4EfliDF16_DF16_fEEvT3_20rocsparse_direction_NS_24const_host_device_scalarIT1_EES1_PKS1_PKT2_SA_S7_PKT4_PKT5_S5_PT6_21rocsparse_index_base_b
	.p2align	8
	.type	_ZN9rocsparseL18bsrxmvn_3x3_kernelILj256ELj4EfliDF16_DF16_fEEvT3_20rocsparse_direction_NS_24const_host_device_scalarIT1_EES1_PKS1_PKT2_SA_S7_PKT4_PKT5_S5_PT6_21rocsparse_index_base_b,@function
_ZN9rocsparseL18bsrxmvn_3x3_kernelILj256ELj4EfliDF16_DF16_fEEvT3_20rocsparse_direction_NS_24const_host_device_scalarIT1_EES1_PKS1_PKT2_SA_S7_PKT4_PKT5_S5_PT6_21rocsparse_index_base_b: ; @_ZN9rocsparseL18bsrxmvn_3x3_kernelILj256ELj4EfliDF16_DF16_fEEvT3_20rocsparse_direction_NS_24const_host_device_scalarIT1_EES1_PKS1_PKT2_SA_S7_PKT4_PKT5_S5_PT6_21rocsparse_index_base_b
; %bb.0:
	s_clause 0x2
	s_load_b64 s[16:17], s[0:1], 0x58
	s_load_b64 s[14:15], s[0:1], 0x8
	s_load_b64 s[12:13], s[0:1], 0x48
	s_wait_kmcnt 0x0
	s_bitcmp1_b32 s17, 0
	s_cselect_b32 s2, -1, 0
	s_delay_alu instid0(SALU_CYCLE_1)
	s_and_b32 vcc_lo, exec_lo, s2
	s_xor_b32 s2, s2, -1
	s_cbranch_vccnz .LBB95_2
; %bb.1:
	s_load_b32 s14, s[14:15], 0x0
.LBB95_2:
	s_and_not1_b32 vcc_lo, exec_lo, s2
	s_cbranch_vccnz .LBB95_4
; %bb.3:
	s_load_b32 s12, s[12:13], 0x0
.LBB95_4:
	s_wait_kmcnt 0x0
	s_cmp_neq_f32 s14, 0
	s_mov_b32 s6, 0
	s_cselect_b32 s2, -1, 0
	s_cmp_neq_f32 s12, 1.0
	s_cselect_b32 s3, -1, 0
	s_delay_alu instid0(SALU_CYCLE_1) | instskip(NEXT) | instid1(SALU_CYCLE_1)
	s_or_b32 s2, s2, s3
	s_and_not1_b32 vcc_lo, exec_lo, s2
	s_cbranch_vccnz .LBB95_10
; %bb.5:
	s_clause 0x1
	s_load_b64 s[4:5], s[0:1], 0x18
	s_load_b64 s[2:3], s[0:1], 0x0
	v_lshrrev_b32_e32 v1, 2, v0
	s_delay_alu instid0(VALU_DEP_1)
	v_lshl_or_b32 v1, ttmp9, 6, v1
	s_wait_kmcnt 0x0
	s_cmp_lg_u64 s[4:5], 0
	s_cbranch_scc0 .LBB95_11
; %bb.6:
	s_load_b32 s6, s[0:1], 0x10
	s_mov_b32 s7, 0
                                        ; implicit-def: $vgpr2
	s_wait_kmcnt 0x0
	v_cmp_gt_i32_e32 vcc_lo, s6, v1
	s_mov_b32 s6, 0
	s_and_saveexec_b32 s8, vcc_lo
	s_delay_alu instid0(SALU_CYCLE_1)
	s_xor_b32 s8, exec_lo, s8
	s_cbranch_execz .LBB95_8
; %bb.7:
	v_ashrrev_i32_e32 v2, 31, v1
	s_mov_b32 s6, exec_lo
	s_delay_alu instid0(VALU_DEP_1) | instskip(NEXT) | instid1(VALU_DEP_1)
	v_lshlrev_b64_e32 v[2:3], 2, v[1:2]
	v_add_co_u32 v2, vcc_lo, s4, v2
	s_delay_alu instid0(VALU_DEP_1)
	v_add_co_ci_u32_e64 v3, null, s5, v3, vcc_lo
	global_load_b32 v2, v[2:3], off
	s_wait_loadcnt 0x0
	v_subrev_nc_u32_e32 v2, s16, v2
.LBB95_8:
	s_or_b32 exec_lo, exec_lo, s8
	s_delay_alu instid0(SALU_CYCLE_1)
	s_and_b32 vcc_lo, exec_lo, s7
	s_wait_alu 0xfffe
	s_cbranch_vccz .LBB95_12
.LBB95_9:
	v_cmp_gt_i32_e32 vcc_lo, s2, v1
	s_and_not1_b32 s2, s6, exec_lo
	s_and_b32 s4, vcc_lo, exec_lo
	s_wait_alu 0xfffe
	s_or_b32 s6, s2, s4
	s_wait_alu 0xfffe
	s_and_saveexec_b32 s2, s6
	s_cbranch_execnz .LBB95_13
.LBB95_10:
	s_endpgm
.LBB95_11:
                                        ; implicit-def: $vgpr2
	s_cbranch_execnz .LBB95_9
.LBB95_12:
	v_mov_b32_e32 v1, v2
	s_and_saveexec_b32 s2, s6
	s_cbranch_execz .LBB95_10
.LBB95_13:
	s_load_b256 s[4:11], s[0:1], 0x20
	s_delay_alu instid0(VALU_DEP_1) | instskip(SKIP_2) | instid1(VALU_DEP_3)
	v_ashrrev_i32_e32 v2, 31, v1
	v_and_b32_e32 v0, 3, v0
	v_mov_b32_e32 v14, 0
	v_lshlrev_b64_e32 v[2:3], 3, v[1:2]
	s_wait_kmcnt 0x0
	s_delay_alu instid0(VALU_DEP_1) | instskip(SKIP_1) | instid1(VALU_DEP_2)
	v_add_co_u32 v4, vcc_lo, s4, v2
	s_wait_alu 0xfffd
	v_add_co_ci_u32_e64 v5, null, s5, v3, vcc_lo
	v_add_co_u32 v2, vcc_lo, s6, v2
	s_wait_alu 0xfffd
	v_add_co_ci_u32_e64 v3, null, s7, v3, vcc_lo
	global_load_b64 v[6:7], v[4:5], off
	v_add_co_u32 v4, vcc_lo, v4, 8
	s_wait_alu 0xfffd
	v_add_co_ci_u32_e64 v5, null, 0, v5, vcc_lo
	s_cmp_eq_u64 s[6:7], 0
	s_load_b64 s[4:5], s[0:1], 0x40
	s_cselect_b32 vcc_lo, -1, 0
	s_cmp_eq_u32 s3, 1
	s_wait_alu 0xfffe
	v_dual_cndmask_b32 v3, v3, v5 :: v_dual_cndmask_b32 v2, v2, v4
	global_load_b64 v[8:9], v[2:3], off
	s_wait_loadcnt 0x1
	v_sub_co_u32 v2, vcc_lo, v6, s16
	s_wait_alu 0xfffd
	v_subrev_co_ci_u32_e64 v3, null, 0, v7, vcc_lo
	s_delay_alu instid0(VALU_DEP_2) | instskip(SKIP_1) | instid1(VALU_DEP_2)
	v_add_co_u32 v2, vcc_lo, v2, v0
	s_wait_alu 0xfffd
	v_add_co_ci_u32_e64 v3, null, 0, v3, vcc_lo
	s_delay_alu instid0(VALU_DEP_2) | instskip(NEXT) | instid1(VALU_DEP_1)
	v_mad_co_u64_u32 v[4:5], null, v2, 18, s[10:11]
	v_mad_co_u64_u32 v[5:6], null, v3, 18, v[5:6]
	s_wait_loadcnt 0x0
	v_sub_co_u32 v6, vcc_lo, v8, s16
	s_wait_alu 0xfffd
	v_subrev_co_ci_u32_e64 v7, null, 0, v9, vcc_lo
	s_delay_alu instid0(VALU_DEP_1)
	v_cmp_lt_i64_e64 s2, v[2:3], v[6:7]
	s_cbranch_scc1 .LBB95_19
; %bb.14:
	v_dual_mov_b32 v15, 0 :: v_dual_mov_b32 v16, 0
	s_and_saveexec_b32 s6, s2
	s_cbranch_execz .LBB95_18
; %bb.15:
	v_lshlrev_b64_e32 v[10:11], 2, v[2:3]
	v_dual_mov_b32 v14, 0 :: v_dual_mov_b32 v9, v5
	v_dual_mov_b32 v8, v4 :: v_dual_mov_b32 v13, v3
	;; [unrolled: 1-line block ×3, first 2 shown]
	s_delay_alu instid0(VALU_DEP_4)
	v_add_co_u32 v10, vcc_lo, s8, v10
	s_wait_alu 0xfffd
	v_add_co_ci_u32_e64 v11, null, s9, v11, vcc_lo
	v_mov_b32_e32 v16, 0
	s_mov_b32 s7, 0
.LBB95_16:                              ; =>This Inner Loop Header: Depth=1
	global_load_b32 v17, v[10:11], off
	s_wait_loadcnt 0x0
	v_subrev_nc_u32_e32 v17, s16, v17
	s_delay_alu instid0(VALU_DEP_1) | instskip(NEXT) | instid1(VALU_DEP_1)
	v_lshl_add_u32 v17, v17, 1, v17
	v_ashrrev_i32_e32 v18, 31, v17
	s_delay_alu instid0(VALU_DEP_1) | instskip(SKIP_1) | instid1(VALU_DEP_1)
	v_lshlrev_b64_e32 v[17:18], 1, v[17:18]
	s_wait_kmcnt 0x0
	v_add_co_u32 v21, vcc_lo, s4, v17
	s_wait_alu 0xfffd
	s_delay_alu instid0(VALU_DEP_2)
	v_add_co_ci_u32_e64 v22, null, s5, v18, vcc_lo
	global_load_b128 v[17:20], v[8:9], off
	s_clause 0x1
	global_load_b32 v23, v[21:22], off
	global_load_u16 v21, v[21:22], off offset:4
	global_load_u16 v22, v[8:9], off offset:16
	v_add_co_u32 v8, vcc_lo, 0x48, v8
	s_wait_alu 0xfffd
	v_add_co_ci_u32_e64 v9, null, 0, v9, vcc_lo
	v_add_co_u32 v12, vcc_lo, v12, 4
	s_wait_alu 0xfffd
	v_add_co_ci_u32_e64 v13, null, 0, v13, vcc_lo
	;; [unrolled: 3-line block ×3, first 2 shown]
	s_delay_alu instid0(VALU_DEP_3)
	v_cmp_ge_i64_e64 s3, v[12:13], v[6:7]
	s_wait_alu 0xfffe
	s_or_b32 s7, s3, s7
	s_wait_loadcnt 0x2
	v_fma_mix_f32 v16, v17, v23, v16 op_sel_hi:[1,1,0]
	v_fma_mix_f32 v15, v18, v23, v15 op_sel:[1,0,0] op_sel_hi:[1,1,0]
	v_fma_mix_f32 v14, v20, v23, v14 op_sel_hi:[1,1,0]
	s_delay_alu instid0(VALU_DEP_3) | instskip(NEXT) | instid1(VALU_DEP_3)
	v_fma_mix_f32 v16, v17, v23, v16 op_sel:[1,1,0] op_sel_hi:[1,1,0]
	v_fma_mix_f32 v15, v19, v23, v15 op_sel:[0,1,0] op_sel_hi:[1,1,0]
	s_delay_alu instid0(VALU_DEP_3) | instskip(SKIP_1) | instid1(VALU_DEP_3)
	v_fma_mix_f32 v14, v20, v23, v14 op_sel:[1,1,0] op_sel_hi:[1,1,0]
	s_wait_loadcnt 0x1
	v_fma_mix_f32 v16, v18, v21, v16 op_sel_hi:[1,1,0]
	s_delay_alu instid0(VALU_DEP_3)
	v_fma_mix_f32 v15, v19, v21, v15 op_sel:[1,0,0] op_sel_hi:[1,1,0]
	s_wait_loadcnt 0x0
	v_fma_mix_f32 v14, v22, v21, v14 op_sel_hi:[1,1,0]
	s_wait_alu 0xfffe
	s_and_not1_b32 exec_lo, exec_lo, s7
	s_cbranch_execnz .LBB95_16
; %bb.17:
	s_or_b32 exec_lo, exec_lo, s7
.LBB95_18:
	s_wait_alu 0xfffe
	s_or_b32 exec_lo, exec_lo, s6
	s_cbranch_execz .LBB95_20
	s_branch .LBB95_25
.LBB95_19:
                                        ; implicit-def: $vgpr14
                                        ; implicit-def: $vgpr15
                                        ; implicit-def: $vgpr16
.LBB95_20:
	v_dual_mov_b32 v14, 0 :: v_dual_mov_b32 v15, 0
	v_mov_b32_e32 v16, 0
	s_and_saveexec_b32 s3, s2
	s_cbranch_execz .LBB95_24
; %bb.21:
	v_lshlrev_b64_e32 v[8:9], 2, v[2:3]
	v_dual_mov_b32 v14, 0 :: v_dual_mov_b32 v15, 0
	v_mov_b32_e32 v16, 0
	s_mov_b32 s6, 0
	s_delay_alu instid0(VALU_DEP_3)
	v_add_co_u32 v8, vcc_lo, s8, v8
	s_wait_alu 0xfffd
	v_add_co_ci_u32_e64 v9, null, s9, v9, vcc_lo
.LBB95_22:                              ; =>This Inner Loop Header: Depth=1
	global_load_b32 v10, v[8:9], off
	s_wait_loadcnt 0x0
	v_subrev_nc_u32_e32 v10, s16, v10
	s_delay_alu instid0(VALU_DEP_1) | instskip(NEXT) | instid1(VALU_DEP_1)
	v_lshl_add_u32 v10, v10, 1, v10
	v_ashrrev_i32_e32 v11, 31, v10
	s_delay_alu instid0(VALU_DEP_1) | instskip(SKIP_1) | instid1(VALU_DEP_1)
	v_lshlrev_b64_e32 v[10:11], 1, v[10:11]
	s_wait_kmcnt 0x0
	v_add_co_u32 v17, vcc_lo, s4, v10
	s_wait_alu 0xfffd
	s_delay_alu instid0(VALU_DEP_2)
	v_add_co_ci_u32_e64 v18, null, s5, v11, vcc_lo
	global_load_b128 v[10:13], v[4:5], off
	s_clause 0x1
	global_load_b32 v19, v[17:18], off
	global_load_u16 v17, v[17:18], off offset:4
	global_load_u16 v18, v[4:5], off offset:16
	v_add_co_u32 v4, vcc_lo, 0x48, v4
	s_wait_alu 0xfffd
	v_add_co_ci_u32_e64 v5, null, 0, v5, vcc_lo
	v_add_co_u32 v2, vcc_lo, v2, 4
	s_wait_alu 0xfffd
	v_add_co_ci_u32_e64 v3, null, 0, v3, vcc_lo
	;; [unrolled: 3-line block ×3, first 2 shown]
	s_delay_alu instid0(VALU_DEP_3)
	v_cmp_ge_i64_e64 s2, v[2:3], v[6:7]
	s_wait_alu 0xfffe
	s_or_b32 s6, s2, s6
	s_wait_loadcnt 0x2
	v_fma_mix_f32 v16, v10, v19, v16 op_sel_hi:[1,1,0]
	v_fma_mix_f32 v10, v10, v19, v15 op_sel:[1,0,0] op_sel_hi:[1,1,0]
	v_fma_mix_f32 v14, v11, v19, v14 op_sel_hi:[1,1,0]
	s_delay_alu instid0(VALU_DEP_3) | instskip(NEXT) | instid1(VALU_DEP_3)
	v_fma_mix_f32 v11, v11, v19, v16 op_sel:[1,1,0] op_sel_hi:[1,1,0]
	v_fma_mix_f32 v10, v12, v19, v10 op_sel:[0,1,0] op_sel_hi:[1,1,0]
	s_delay_alu instid0(VALU_DEP_3) | instskip(SKIP_1) | instid1(VALU_DEP_3)
	v_fma_mix_f32 v12, v12, v19, v14 op_sel:[1,1,0] op_sel_hi:[1,1,0]
	s_wait_loadcnt 0x1
	v_fma_mix_f32 v16, v13, v17, v11 op_sel_hi:[1,1,0]
	s_delay_alu instid0(VALU_DEP_3)
	v_fma_mix_f32 v15, v13, v17, v10 op_sel:[1,0,0] op_sel_hi:[1,1,0]
	s_wait_loadcnt 0x0
	v_fma_mix_f32 v14, v18, v17, v12 op_sel_hi:[1,1,0]
	s_wait_alu 0xfffe
	s_and_not1_b32 exec_lo, exec_lo, s6
	s_cbranch_execnz .LBB95_22
; %bb.23:
	s_or_b32 exec_lo, exec_lo, s6
.LBB95_24:
	s_wait_alu 0xfffe
	s_or_b32 exec_lo, exec_lo, s3
.LBB95_25:
	v_mbcnt_lo_u32_b32 v2, -1, 0
	s_mov_b32 s2, -1
	s_delay_alu instid0(VALU_DEP_1) | instskip(NEXT) | instid1(VALU_DEP_1)
	v_xor_b32_e32 v3, 2, v2
	v_cmp_gt_i32_e32 vcc_lo, 32, v3
	s_wait_alu 0xfffd
	v_cndmask_b32_e32 v3, v2, v3, vcc_lo
	s_delay_alu instid0(VALU_DEP_1) | instskip(SKIP_4) | instid1(VALU_DEP_1)
	v_lshlrev_b32_e32 v3, 2, v3
	ds_bpermute_b32 v4, v3, v16
	ds_bpermute_b32 v5, v3, v15
	;; [unrolled: 1-line block ×3, first 2 shown]
	v_xor_b32_e32 v3, 1, v2
	v_cmp_gt_i32_e32 vcc_lo, 32, v3
	s_wait_alu 0xfffd
	v_cndmask_b32_e32 v2, v2, v3, vcc_lo
	v_cmp_eq_u32_e32 vcc_lo, 3, v0
	s_wait_dscnt 0x1
	v_add_f32_e32 v3, v15, v5
	s_delay_alu instid0(VALU_DEP_3)
	v_dual_add_f32 v2, v16, v4 :: v_dual_lshlrev_b32 v7, 2, v2
	s_wait_dscnt 0x0
	v_add_f32_e32 v4, v14, v6
	ds_bpermute_b32 v6, v7, v3
	ds_bpermute_b32 v5, v7, v2
	;; [unrolled: 1-line block ×3, first 2 shown]
	s_and_b32 exec_lo, exec_lo, vcc_lo
	s_cbranch_execz .LBB95_10
; %bb.26:
	s_load_b64 s[0:1], s[0:1], 0x50
	s_wait_dscnt 0x1
	v_add_f32_e32 v0, v2, v5
	v_add_f32_e32 v2, v3, v6
	s_wait_dscnt 0x0
	v_add_f32_e32 v4, v4, v7
	v_lshl_add_u32 v3, v1, 1, v1
	s_cmp_eq_f32 s12, 0
	v_dual_mul_f32 v1, s14, v2 :: v_dual_mul_f32 v0, s14, v0
	s_delay_alu instid0(VALU_DEP_3) | instskip(NEXT) | instid1(VALU_DEP_3)
	v_mul_f32_e32 v2, s14, v4
	v_ashrrev_i32_e32 v4, 31, v3
	s_cbranch_scc0 .LBB95_28
; %bb.27:
	s_delay_alu instid0(VALU_DEP_1) | instskip(SKIP_2) | instid1(VALU_DEP_1)
	v_lshlrev_b64_e32 v[5:6], 2, v[3:4]
	s_mov_b32 s2, 0
	s_wait_kmcnt 0x0
	v_add_co_u32 v5, vcc_lo, s0, v5
	s_wait_alu 0xfffd
	s_delay_alu instid0(VALU_DEP_2)
	v_add_co_ci_u32_e64 v6, null, s1, v6, vcc_lo
	global_store_b96 v[5:6], v[0:2], off
.LBB95_28:
	s_wait_alu 0xfffe
	s_and_not1_b32 vcc_lo, exec_lo, s2
	s_wait_alu 0xfffe
	s_cbranch_vccnz .LBB95_10
; %bb.29:
	v_lshlrev_b64_e32 v[3:4], 2, v[3:4]
	s_wait_kmcnt 0x0
	s_delay_alu instid0(VALU_DEP_1) | instskip(SKIP_1) | instid1(VALU_DEP_2)
	v_add_co_u32 v6, vcc_lo, s0, v3
	s_wait_alu 0xfffd
	v_add_co_ci_u32_e64 v7, null, s1, v4, vcc_lo
	global_load_b96 v[3:5], v[6:7], off
	s_wait_loadcnt 0x0
	v_dual_fmac_f32 v0, s12, v3 :: v_dual_fmac_f32 v1, s12, v4
	v_fmac_f32_e32 v2, s12, v5
	global_store_b96 v[6:7], v[0:2], off
	s_endpgm
	.section	.rodata,"a",@progbits
	.p2align	6, 0x0
	.amdhsa_kernel _ZN9rocsparseL18bsrxmvn_3x3_kernelILj256ELj4EfliDF16_DF16_fEEvT3_20rocsparse_direction_NS_24const_host_device_scalarIT1_EES1_PKS1_PKT2_SA_S7_PKT4_PKT5_S5_PT6_21rocsparse_index_base_b
		.amdhsa_group_segment_fixed_size 0
		.amdhsa_private_segment_fixed_size 0
		.amdhsa_kernarg_size 96
		.amdhsa_user_sgpr_count 2
		.amdhsa_user_sgpr_dispatch_ptr 0
		.amdhsa_user_sgpr_queue_ptr 0
		.amdhsa_user_sgpr_kernarg_segment_ptr 1
		.amdhsa_user_sgpr_dispatch_id 0
		.amdhsa_user_sgpr_private_segment_size 0
		.amdhsa_wavefront_size32 1
		.amdhsa_uses_dynamic_stack 0
		.amdhsa_enable_private_segment 0
		.amdhsa_system_sgpr_workgroup_id_x 1
		.amdhsa_system_sgpr_workgroup_id_y 0
		.amdhsa_system_sgpr_workgroup_id_z 0
		.amdhsa_system_sgpr_workgroup_info 0
		.amdhsa_system_vgpr_workitem_id 0
		.amdhsa_next_free_vgpr 24
		.amdhsa_next_free_sgpr 18
		.amdhsa_reserve_vcc 1
		.amdhsa_float_round_mode_32 0
		.amdhsa_float_round_mode_16_64 0
		.amdhsa_float_denorm_mode_32 3
		.amdhsa_float_denorm_mode_16_64 3
		.amdhsa_fp16_overflow 0
		.amdhsa_workgroup_processor_mode 1
		.amdhsa_memory_ordered 1
		.amdhsa_forward_progress 1
		.amdhsa_inst_pref_size 14
		.amdhsa_round_robin_scheduling 0
		.amdhsa_exception_fp_ieee_invalid_op 0
		.amdhsa_exception_fp_denorm_src 0
		.amdhsa_exception_fp_ieee_div_zero 0
		.amdhsa_exception_fp_ieee_overflow 0
		.amdhsa_exception_fp_ieee_underflow 0
		.amdhsa_exception_fp_ieee_inexact 0
		.amdhsa_exception_int_div_zero 0
	.end_amdhsa_kernel
	.section	.text._ZN9rocsparseL18bsrxmvn_3x3_kernelILj256ELj4EfliDF16_DF16_fEEvT3_20rocsparse_direction_NS_24const_host_device_scalarIT1_EES1_PKS1_PKT2_SA_S7_PKT4_PKT5_S5_PT6_21rocsparse_index_base_b,"axG",@progbits,_ZN9rocsparseL18bsrxmvn_3x3_kernelILj256ELj4EfliDF16_DF16_fEEvT3_20rocsparse_direction_NS_24const_host_device_scalarIT1_EES1_PKS1_PKT2_SA_S7_PKT4_PKT5_S5_PT6_21rocsparse_index_base_b,comdat
.Lfunc_end95:
	.size	_ZN9rocsparseL18bsrxmvn_3x3_kernelILj256ELj4EfliDF16_DF16_fEEvT3_20rocsparse_direction_NS_24const_host_device_scalarIT1_EES1_PKS1_PKT2_SA_S7_PKT4_PKT5_S5_PT6_21rocsparse_index_base_b, .Lfunc_end95-_ZN9rocsparseL18bsrxmvn_3x3_kernelILj256ELj4EfliDF16_DF16_fEEvT3_20rocsparse_direction_NS_24const_host_device_scalarIT1_EES1_PKS1_PKT2_SA_S7_PKT4_PKT5_S5_PT6_21rocsparse_index_base_b
                                        ; -- End function
	.set _ZN9rocsparseL18bsrxmvn_3x3_kernelILj256ELj4EfliDF16_DF16_fEEvT3_20rocsparse_direction_NS_24const_host_device_scalarIT1_EES1_PKS1_PKT2_SA_S7_PKT4_PKT5_S5_PT6_21rocsparse_index_base_b.num_vgpr, 24
	.set _ZN9rocsparseL18bsrxmvn_3x3_kernelILj256ELj4EfliDF16_DF16_fEEvT3_20rocsparse_direction_NS_24const_host_device_scalarIT1_EES1_PKS1_PKT2_SA_S7_PKT4_PKT5_S5_PT6_21rocsparse_index_base_b.num_agpr, 0
	.set _ZN9rocsparseL18bsrxmvn_3x3_kernelILj256ELj4EfliDF16_DF16_fEEvT3_20rocsparse_direction_NS_24const_host_device_scalarIT1_EES1_PKS1_PKT2_SA_S7_PKT4_PKT5_S5_PT6_21rocsparse_index_base_b.numbered_sgpr, 18
	.set _ZN9rocsparseL18bsrxmvn_3x3_kernelILj256ELj4EfliDF16_DF16_fEEvT3_20rocsparse_direction_NS_24const_host_device_scalarIT1_EES1_PKS1_PKT2_SA_S7_PKT4_PKT5_S5_PT6_21rocsparse_index_base_b.num_named_barrier, 0
	.set _ZN9rocsparseL18bsrxmvn_3x3_kernelILj256ELj4EfliDF16_DF16_fEEvT3_20rocsparse_direction_NS_24const_host_device_scalarIT1_EES1_PKS1_PKT2_SA_S7_PKT4_PKT5_S5_PT6_21rocsparse_index_base_b.private_seg_size, 0
	.set _ZN9rocsparseL18bsrxmvn_3x3_kernelILj256ELj4EfliDF16_DF16_fEEvT3_20rocsparse_direction_NS_24const_host_device_scalarIT1_EES1_PKS1_PKT2_SA_S7_PKT4_PKT5_S5_PT6_21rocsparse_index_base_b.uses_vcc, 1
	.set _ZN9rocsparseL18bsrxmvn_3x3_kernelILj256ELj4EfliDF16_DF16_fEEvT3_20rocsparse_direction_NS_24const_host_device_scalarIT1_EES1_PKS1_PKT2_SA_S7_PKT4_PKT5_S5_PT6_21rocsparse_index_base_b.uses_flat_scratch, 0
	.set _ZN9rocsparseL18bsrxmvn_3x3_kernelILj256ELj4EfliDF16_DF16_fEEvT3_20rocsparse_direction_NS_24const_host_device_scalarIT1_EES1_PKS1_PKT2_SA_S7_PKT4_PKT5_S5_PT6_21rocsparse_index_base_b.has_dyn_sized_stack, 0
	.set _ZN9rocsparseL18bsrxmvn_3x3_kernelILj256ELj4EfliDF16_DF16_fEEvT3_20rocsparse_direction_NS_24const_host_device_scalarIT1_EES1_PKS1_PKT2_SA_S7_PKT4_PKT5_S5_PT6_21rocsparse_index_base_b.has_recursion, 0
	.set _ZN9rocsparseL18bsrxmvn_3x3_kernelILj256ELj4EfliDF16_DF16_fEEvT3_20rocsparse_direction_NS_24const_host_device_scalarIT1_EES1_PKS1_PKT2_SA_S7_PKT4_PKT5_S5_PT6_21rocsparse_index_base_b.has_indirect_call, 0
	.section	.AMDGPU.csdata,"",@progbits
; Kernel info:
; codeLenInByte = 1752
; TotalNumSgprs: 20
; NumVgprs: 24
; ScratchSize: 0
; MemoryBound: 0
; FloatMode: 240
; IeeeMode: 1
; LDSByteSize: 0 bytes/workgroup (compile time only)
; SGPRBlocks: 0
; VGPRBlocks: 2
; NumSGPRsForWavesPerEU: 20
; NumVGPRsForWavesPerEU: 24
; Occupancy: 16
; WaveLimiterHint : 1
; COMPUTE_PGM_RSRC2:SCRATCH_EN: 0
; COMPUTE_PGM_RSRC2:USER_SGPR: 2
; COMPUTE_PGM_RSRC2:TRAP_HANDLER: 0
; COMPUTE_PGM_RSRC2:TGID_X_EN: 1
; COMPUTE_PGM_RSRC2:TGID_Y_EN: 0
; COMPUTE_PGM_RSRC2:TGID_Z_EN: 0
; COMPUTE_PGM_RSRC2:TIDIG_COMP_CNT: 0
	.section	.text._ZN9rocsparseL18bsrxmvn_3x3_kernelILj256ELj8EfliDF16_DF16_fEEvT3_20rocsparse_direction_NS_24const_host_device_scalarIT1_EES1_PKS1_PKT2_SA_S7_PKT4_PKT5_S5_PT6_21rocsparse_index_base_b,"axG",@progbits,_ZN9rocsparseL18bsrxmvn_3x3_kernelILj256ELj8EfliDF16_DF16_fEEvT3_20rocsparse_direction_NS_24const_host_device_scalarIT1_EES1_PKS1_PKT2_SA_S7_PKT4_PKT5_S5_PT6_21rocsparse_index_base_b,comdat
	.globl	_ZN9rocsparseL18bsrxmvn_3x3_kernelILj256ELj8EfliDF16_DF16_fEEvT3_20rocsparse_direction_NS_24const_host_device_scalarIT1_EES1_PKS1_PKT2_SA_S7_PKT4_PKT5_S5_PT6_21rocsparse_index_base_b ; -- Begin function _ZN9rocsparseL18bsrxmvn_3x3_kernelILj256ELj8EfliDF16_DF16_fEEvT3_20rocsparse_direction_NS_24const_host_device_scalarIT1_EES1_PKS1_PKT2_SA_S7_PKT4_PKT5_S5_PT6_21rocsparse_index_base_b
	.p2align	8
	.type	_ZN9rocsparseL18bsrxmvn_3x3_kernelILj256ELj8EfliDF16_DF16_fEEvT3_20rocsparse_direction_NS_24const_host_device_scalarIT1_EES1_PKS1_PKT2_SA_S7_PKT4_PKT5_S5_PT6_21rocsparse_index_base_b,@function
_ZN9rocsparseL18bsrxmvn_3x3_kernelILj256ELj8EfliDF16_DF16_fEEvT3_20rocsparse_direction_NS_24const_host_device_scalarIT1_EES1_PKS1_PKT2_SA_S7_PKT4_PKT5_S5_PT6_21rocsparse_index_base_b: ; @_ZN9rocsparseL18bsrxmvn_3x3_kernelILj256ELj8EfliDF16_DF16_fEEvT3_20rocsparse_direction_NS_24const_host_device_scalarIT1_EES1_PKS1_PKT2_SA_S7_PKT4_PKT5_S5_PT6_21rocsparse_index_base_b
; %bb.0:
	s_clause 0x2
	s_load_b64 s[16:17], s[0:1], 0x58
	s_load_b64 s[14:15], s[0:1], 0x8
	;; [unrolled: 1-line block ×3, first 2 shown]
	s_wait_kmcnt 0x0
	s_bitcmp1_b32 s17, 0
	s_cselect_b32 s2, -1, 0
	s_delay_alu instid0(SALU_CYCLE_1)
	s_and_b32 vcc_lo, exec_lo, s2
	s_xor_b32 s2, s2, -1
	s_cbranch_vccnz .LBB96_2
; %bb.1:
	s_load_b32 s14, s[14:15], 0x0
.LBB96_2:
	s_and_not1_b32 vcc_lo, exec_lo, s2
	s_cbranch_vccnz .LBB96_4
; %bb.3:
	s_load_b32 s12, s[12:13], 0x0
.LBB96_4:
	s_wait_kmcnt 0x0
	s_cmp_neq_f32 s14, 0
	s_mov_b32 s6, 0
	s_cselect_b32 s2, -1, 0
	s_cmp_neq_f32 s12, 1.0
	s_cselect_b32 s3, -1, 0
	s_delay_alu instid0(SALU_CYCLE_1) | instskip(NEXT) | instid1(SALU_CYCLE_1)
	s_or_b32 s2, s2, s3
	s_and_not1_b32 vcc_lo, exec_lo, s2
	s_cbranch_vccnz .LBB96_10
; %bb.5:
	s_clause 0x1
	s_load_b64 s[4:5], s[0:1], 0x18
	s_load_b64 s[2:3], s[0:1], 0x0
	v_lshrrev_b32_e32 v1, 3, v0
	s_delay_alu instid0(VALU_DEP_1)
	v_lshl_or_b32 v1, ttmp9, 5, v1
	s_wait_kmcnt 0x0
	s_cmp_lg_u64 s[4:5], 0
	s_cbranch_scc0 .LBB96_11
; %bb.6:
	s_load_b32 s6, s[0:1], 0x10
	s_mov_b32 s7, 0
                                        ; implicit-def: $vgpr2
	s_wait_kmcnt 0x0
	v_cmp_gt_i32_e32 vcc_lo, s6, v1
	s_mov_b32 s6, 0
	s_and_saveexec_b32 s8, vcc_lo
	s_delay_alu instid0(SALU_CYCLE_1)
	s_xor_b32 s8, exec_lo, s8
	s_cbranch_execz .LBB96_8
; %bb.7:
	v_ashrrev_i32_e32 v2, 31, v1
	s_mov_b32 s6, exec_lo
	s_delay_alu instid0(VALU_DEP_1) | instskip(NEXT) | instid1(VALU_DEP_1)
	v_lshlrev_b64_e32 v[2:3], 2, v[1:2]
	v_add_co_u32 v2, vcc_lo, s4, v2
	s_delay_alu instid0(VALU_DEP_1)
	v_add_co_ci_u32_e64 v3, null, s5, v3, vcc_lo
	global_load_b32 v2, v[2:3], off
	s_wait_loadcnt 0x0
	v_subrev_nc_u32_e32 v2, s16, v2
.LBB96_8:
	s_or_b32 exec_lo, exec_lo, s8
	s_delay_alu instid0(SALU_CYCLE_1)
	s_and_b32 vcc_lo, exec_lo, s7
	s_wait_alu 0xfffe
	s_cbranch_vccz .LBB96_12
.LBB96_9:
	v_cmp_gt_i32_e32 vcc_lo, s2, v1
	s_and_not1_b32 s2, s6, exec_lo
	s_and_b32 s4, vcc_lo, exec_lo
	s_wait_alu 0xfffe
	s_or_b32 s6, s2, s4
	s_wait_alu 0xfffe
	s_and_saveexec_b32 s2, s6
	s_cbranch_execnz .LBB96_13
.LBB96_10:
	s_endpgm
.LBB96_11:
                                        ; implicit-def: $vgpr2
	s_cbranch_execnz .LBB96_9
.LBB96_12:
	v_mov_b32_e32 v1, v2
	s_and_saveexec_b32 s2, s6
	s_cbranch_execz .LBB96_10
.LBB96_13:
	s_load_b256 s[4:11], s[0:1], 0x20
	s_delay_alu instid0(VALU_DEP_1) | instskip(SKIP_2) | instid1(VALU_DEP_3)
	v_ashrrev_i32_e32 v2, 31, v1
	v_and_b32_e32 v0, 7, v0
	v_mov_b32_e32 v14, 0
	v_lshlrev_b64_e32 v[2:3], 3, v[1:2]
	s_wait_kmcnt 0x0
	s_delay_alu instid0(VALU_DEP_1) | instskip(SKIP_1) | instid1(VALU_DEP_2)
	v_add_co_u32 v4, vcc_lo, s4, v2
	s_wait_alu 0xfffd
	v_add_co_ci_u32_e64 v5, null, s5, v3, vcc_lo
	v_add_co_u32 v2, vcc_lo, s6, v2
	s_wait_alu 0xfffd
	v_add_co_ci_u32_e64 v3, null, s7, v3, vcc_lo
	global_load_b64 v[6:7], v[4:5], off
	v_add_co_u32 v4, vcc_lo, v4, 8
	s_wait_alu 0xfffd
	v_add_co_ci_u32_e64 v5, null, 0, v5, vcc_lo
	s_cmp_eq_u64 s[6:7], 0
	s_load_b64 s[4:5], s[0:1], 0x40
	s_cselect_b32 vcc_lo, -1, 0
	s_cmp_eq_u32 s3, 1
	s_wait_alu 0xfffe
	v_dual_cndmask_b32 v3, v3, v5 :: v_dual_cndmask_b32 v2, v2, v4
	global_load_b64 v[8:9], v[2:3], off
	s_wait_loadcnt 0x1
	v_sub_co_u32 v2, vcc_lo, v6, s16
	s_wait_alu 0xfffd
	v_subrev_co_ci_u32_e64 v3, null, 0, v7, vcc_lo
	s_delay_alu instid0(VALU_DEP_2) | instskip(SKIP_1) | instid1(VALU_DEP_2)
	v_add_co_u32 v2, vcc_lo, v2, v0
	s_wait_alu 0xfffd
	v_add_co_ci_u32_e64 v3, null, 0, v3, vcc_lo
	s_delay_alu instid0(VALU_DEP_2) | instskip(NEXT) | instid1(VALU_DEP_1)
	v_mad_co_u64_u32 v[4:5], null, v2, 18, s[10:11]
	v_mad_co_u64_u32 v[5:6], null, v3, 18, v[5:6]
	s_wait_loadcnt 0x0
	v_sub_co_u32 v6, vcc_lo, v8, s16
	s_wait_alu 0xfffd
	v_subrev_co_ci_u32_e64 v7, null, 0, v9, vcc_lo
	s_delay_alu instid0(VALU_DEP_1)
	v_cmp_lt_i64_e64 s2, v[2:3], v[6:7]
	s_cbranch_scc1 .LBB96_19
; %bb.14:
	v_dual_mov_b32 v15, 0 :: v_dual_mov_b32 v16, 0
	s_and_saveexec_b32 s6, s2
	s_cbranch_execz .LBB96_18
; %bb.15:
	v_lshlrev_b64_e32 v[10:11], 2, v[2:3]
	v_dual_mov_b32 v14, 0 :: v_dual_mov_b32 v9, v5
	v_dual_mov_b32 v8, v4 :: v_dual_mov_b32 v13, v3
	;; [unrolled: 1-line block ×3, first 2 shown]
	s_delay_alu instid0(VALU_DEP_4)
	v_add_co_u32 v10, vcc_lo, s8, v10
	s_wait_alu 0xfffd
	v_add_co_ci_u32_e64 v11, null, s9, v11, vcc_lo
	v_mov_b32_e32 v16, 0
	s_mov_b32 s7, 0
.LBB96_16:                              ; =>This Inner Loop Header: Depth=1
	global_load_b32 v17, v[10:11], off
	s_wait_loadcnt 0x0
	v_subrev_nc_u32_e32 v17, s16, v17
	s_delay_alu instid0(VALU_DEP_1) | instskip(NEXT) | instid1(VALU_DEP_1)
	v_lshl_add_u32 v17, v17, 1, v17
	v_ashrrev_i32_e32 v18, 31, v17
	s_delay_alu instid0(VALU_DEP_1) | instskip(SKIP_1) | instid1(VALU_DEP_1)
	v_lshlrev_b64_e32 v[17:18], 1, v[17:18]
	s_wait_kmcnt 0x0
	v_add_co_u32 v21, vcc_lo, s4, v17
	s_wait_alu 0xfffd
	s_delay_alu instid0(VALU_DEP_2)
	v_add_co_ci_u32_e64 v22, null, s5, v18, vcc_lo
	global_load_b128 v[17:20], v[8:9], off
	s_clause 0x1
	global_load_b32 v23, v[21:22], off
	global_load_u16 v21, v[21:22], off offset:4
	global_load_u16 v22, v[8:9], off offset:16
	v_add_co_u32 v8, vcc_lo, 0x90, v8
	s_wait_alu 0xfffd
	v_add_co_ci_u32_e64 v9, null, 0, v9, vcc_lo
	v_add_co_u32 v12, vcc_lo, v12, 8
	s_wait_alu 0xfffd
	v_add_co_ci_u32_e64 v13, null, 0, v13, vcc_lo
	;; [unrolled: 3-line block ×3, first 2 shown]
	s_delay_alu instid0(VALU_DEP_3)
	v_cmp_ge_i64_e64 s3, v[12:13], v[6:7]
	s_wait_alu 0xfffe
	s_or_b32 s7, s3, s7
	s_wait_loadcnt 0x2
	v_fma_mix_f32 v16, v17, v23, v16 op_sel_hi:[1,1,0]
	v_fma_mix_f32 v15, v18, v23, v15 op_sel:[1,0,0] op_sel_hi:[1,1,0]
	v_fma_mix_f32 v14, v20, v23, v14 op_sel_hi:[1,1,0]
	s_delay_alu instid0(VALU_DEP_3) | instskip(NEXT) | instid1(VALU_DEP_3)
	v_fma_mix_f32 v16, v17, v23, v16 op_sel:[1,1,0] op_sel_hi:[1,1,0]
	v_fma_mix_f32 v15, v19, v23, v15 op_sel:[0,1,0] op_sel_hi:[1,1,0]
	s_delay_alu instid0(VALU_DEP_3) | instskip(SKIP_1) | instid1(VALU_DEP_3)
	v_fma_mix_f32 v14, v20, v23, v14 op_sel:[1,1,0] op_sel_hi:[1,1,0]
	s_wait_loadcnt 0x1
	v_fma_mix_f32 v16, v18, v21, v16 op_sel_hi:[1,1,0]
	s_delay_alu instid0(VALU_DEP_3)
	v_fma_mix_f32 v15, v19, v21, v15 op_sel:[1,0,0] op_sel_hi:[1,1,0]
	s_wait_loadcnt 0x0
	v_fma_mix_f32 v14, v22, v21, v14 op_sel_hi:[1,1,0]
	s_wait_alu 0xfffe
	s_and_not1_b32 exec_lo, exec_lo, s7
	s_cbranch_execnz .LBB96_16
; %bb.17:
	s_or_b32 exec_lo, exec_lo, s7
.LBB96_18:
	s_wait_alu 0xfffe
	s_or_b32 exec_lo, exec_lo, s6
	s_cbranch_execz .LBB96_20
	s_branch .LBB96_25
.LBB96_19:
                                        ; implicit-def: $vgpr14
                                        ; implicit-def: $vgpr15
                                        ; implicit-def: $vgpr16
.LBB96_20:
	v_dual_mov_b32 v14, 0 :: v_dual_mov_b32 v15, 0
	v_mov_b32_e32 v16, 0
	s_and_saveexec_b32 s3, s2
	s_cbranch_execz .LBB96_24
; %bb.21:
	v_lshlrev_b64_e32 v[8:9], 2, v[2:3]
	v_dual_mov_b32 v14, 0 :: v_dual_mov_b32 v15, 0
	v_mov_b32_e32 v16, 0
	s_mov_b32 s6, 0
	s_delay_alu instid0(VALU_DEP_3)
	v_add_co_u32 v8, vcc_lo, s8, v8
	s_wait_alu 0xfffd
	v_add_co_ci_u32_e64 v9, null, s9, v9, vcc_lo
.LBB96_22:                              ; =>This Inner Loop Header: Depth=1
	global_load_b32 v10, v[8:9], off
	s_wait_loadcnt 0x0
	v_subrev_nc_u32_e32 v10, s16, v10
	s_delay_alu instid0(VALU_DEP_1) | instskip(NEXT) | instid1(VALU_DEP_1)
	v_lshl_add_u32 v10, v10, 1, v10
	v_ashrrev_i32_e32 v11, 31, v10
	s_delay_alu instid0(VALU_DEP_1) | instskip(SKIP_1) | instid1(VALU_DEP_1)
	v_lshlrev_b64_e32 v[10:11], 1, v[10:11]
	s_wait_kmcnt 0x0
	v_add_co_u32 v17, vcc_lo, s4, v10
	s_wait_alu 0xfffd
	s_delay_alu instid0(VALU_DEP_2)
	v_add_co_ci_u32_e64 v18, null, s5, v11, vcc_lo
	global_load_b128 v[10:13], v[4:5], off
	s_clause 0x1
	global_load_b32 v19, v[17:18], off
	global_load_u16 v17, v[17:18], off offset:4
	global_load_u16 v18, v[4:5], off offset:16
	v_add_co_u32 v4, vcc_lo, 0x90, v4
	s_wait_alu 0xfffd
	v_add_co_ci_u32_e64 v5, null, 0, v5, vcc_lo
	v_add_co_u32 v2, vcc_lo, v2, 8
	s_wait_alu 0xfffd
	v_add_co_ci_u32_e64 v3, null, 0, v3, vcc_lo
	v_add_co_u32 v8, vcc_lo, v8, 32
	s_wait_alu 0xfffd
	v_add_co_ci_u32_e64 v9, null, 0, v9, vcc_lo
	s_delay_alu instid0(VALU_DEP_3)
	v_cmp_ge_i64_e64 s2, v[2:3], v[6:7]
	s_wait_alu 0xfffe
	s_or_b32 s6, s2, s6
	s_wait_loadcnt 0x2
	v_fma_mix_f32 v16, v10, v19, v16 op_sel_hi:[1,1,0]
	v_fma_mix_f32 v10, v10, v19, v15 op_sel:[1,0,0] op_sel_hi:[1,1,0]
	v_fma_mix_f32 v14, v11, v19, v14 op_sel_hi:[1,1,0]
	s_delay_alu instid0(VALU_DEP_3) | instskip(NEXT) | instid1(VALU_DEP_3)
	v_fma_mix_f32 v11, v11, v19, v16 op_sel:[1,1,0] op_sel_hi:[1,1,0]
	v_fma_mix_f32 v10, v12, v19, v10 op_sel:[0,1,0] op_sel_hi:[1,1,0]
	s_delay_alu instid0(VALU_DEP_3) | instskip(SKIP_1) | instid1(VALU_DEP_3)
	v_fma_mix_f32 v12, v12, v19, v14 op_sel:[1,1,0] op_sel_hi:[1,1,0]
	s_wait_loadcnt 0x1
	v_fma_mix_f32 v16, v13, v17, v11 op_sel_hi:[1,1,0]
	s_delay_alu instid0(VALU_DEP_3)
	v_fma_mix_f32 v15, v13, v17, v10 op_sel:[1,0,0] op_sel_hi:[1,1,0]
	s_wait_loadcnt 0x0
	v_fma_mix_f32 v14, v18, v17, v12 op_sel_hi:[1,1,0]
	s_wait_alu 0xfffe
	s_and_not1_b32 exec_lo, exec_lo, s6
	s_cbranch_execnz .LBB96_22
; %bb.23:
	s_or_b32 exec_lo, exec_lo, s6
.LBB96_24:
	s_wait_alu 0xfffe
	s_or_b32 exec_lo, exec_lo, s3
.LBB96_25:
	v_mbcnt_lo_u32_b32 v2, -1, 0
	s_mov_b32 s2, -1
	s_delay_alu instid0(VALU_DEP_1) | instskip(SKIP_2) | instid1(VALU_DEP_3)
	v_xor_b32_e32 v3, 4, v2
	v_xor_b32_e32 v6, 2, v2
	;; [unrolled: 1-line block ×3, first 2 shown]
	v_cmp_gt_i32_e32 vcc_lo, 32, v3
	s_wait_alu 0xfffd
	v_cndmask_b32_e32 v3, v2, v3, vcc_lo
	v_cmp_gt_i32_e32 vcc_lo, 32, v6
	s_wait_alu 0xfffd
	v_cndmask_b32_e32 v6, v2, v6, vcc_lo
	v_cmp_gt_i32_e32 vcc_lo, 32, v9
	s_delay_alu instid0(VALU_DEP_2)
	v_lshlrev_b32_e32 v6, 2, v6
	v_lshlrev_b32_e32 v3, 2, v3
	ds_bpermute_b32 v4, v3, v16
	s_wait_dscnt 0x0
	v_add_f32_e32 v4, v16, v4
	ds_bpermute_b32 v5, v3, v15
	ds_bpermute_b32 v3, v3, v14
	s_wait_dscnt 0x1
	v_add_f32_e32 v5, v15, v5
	s_wait_dscnt 0x0
	v_add_f32_e32 v7, v14, v3
	ds_bpermute_b32 v3, v6, v4
	ds_bpermute_b32 v8, v6, v5
	;; [unrolled: 1-line block ×3, first 2 shown]
	s_wait_alu 0xfffd
	v_cndmask_b32_e32 v2, v2, v9, vcc_lo
	v_cmp_eq_u32_e32 vcc_lo, 7, v0
	s_wait_dscnt 0x2
	s_delay_alu instid0(VALU_DEP_2)
	v_dual_add_f32 v2, v4, v3 :: v_dual_lshlrev_b32 v9, 2, v2
	s_wait_dscnt 0x0
	v_dual_add_f32 v3, v5, v8 :: v_dual_add_f32 v4, v7, v6
	ds_bpermute_b32 v5, v9, v2
	ds_bpermute_b32 v6, v9, v3
	;; [unrolled: 1-line block ×3, first 2 shown]
	s_and_b32 exec_lo, exec_lo, vcc_lo
	s_cbranch_execz .LBB96_10
; %bb.26:
	s_load_b64 s[0:1], s[0:1], 0x50
	s_wait_dscnt 0x2
	v_add_f32_e32 v0, v2, v5
	s_wait_dscnt 0x1
	v_add_f32_e32 v2, v3, v6
	;; [unrolled: 2-line block ×3, first 2 shown]
	v_lshl_add_u32 v3, v1, 1, v1
	s_cmp_eq_f32 s12, 0
	v_dual_mul_f32 v1, s14, v2 :: v_dual_mul_f32 v0, s14, v0
	s_delay_alu instid0(VALU_DEP_3) | instskip(NEXT) | instid1(VALU_DEP_3)
	v_mul_f32_e32 v2, s14, v4
	v_ashrrev_i32_e32 v4, 31, v3
	s_cbranch_scc0 .LBB96_28
; %bb.27:
	s_delay_alu instid0(VALU_DEP_1) | instskip(SKIP_2) | instid1(VALU_DEP_1)
	v_lshlrev_b64_e32 v[5:6], 2, v[3:4]
	s_mov_b32 s2, 0
	s_wait_kmcnt 0x0
	v_add_co_u32 v5, vcc_lo, s0, v5
	s_wait_alu 0xfffd
	s_delay_alu instid0(VALU_DEP_2)
	v_add_co_ci_u32_e64 v6, null, s1, v6, vcc_lo
	global_store_b96 v[5:6], v[0:2], off
.LBB96_28:
	s_wait_alu 0xfffe
	s_and_not1_b32 vcc_lo, exec_lo, s2
	s_wait_alu 0xfffe
	s_cbranch_vccnz .LBB96_10
; %bb.29:
	v_lshlrev_b64_e32 v[3:4], 2, v[3:4]
	s_wait_kmcnt 0x0
	s_delay_alu instid0(VALU_DEP_1) | instskip(SKIP_1) | instid1(VALU_DEP_2)
	v_add_co_u32 v6, vcc_lo, s0, v3
	s_wait_alu 0xfffd
	v_add_co_ci_u32_e64 v7, null, s1, v4, vcc_lo
	global_load_b96 v[3:5], v[6:7], off
	s_wait_loadcnt 0x0
	v_dual_fmac_f32 v0, s12, v3 :: v_dual_fmac_f32 v1, s12, v4
	v_fmac_f32_e32 v2, s12, v5
	global_store_b96 v[6:7], v[0:2], off
	s_endpgm
	.section	.rodata,"a",@progbits
	.p2align	6, 0x0
	.amdhsa_kernel _ZN9rocsparseL18bsrxmvn_3x3_kernelILj256ELj8EfliDF16_DF16_fEEvT3_20rocsparse_direction_NS_24const_host_device_scalarIT1_EES1_PKS1_PKT2_SA_S7_PKT4_PKT5_S5_PT6_21rocsparse_index_base_b
		.amdhsa_group_segment_fixed_size 0
		.amdhsa_private_segment_fixed_size 0
		.amdhsa_kernarg_size 96
		.amdhsa_user_sgpr_count 2
		.amdhsa_user_sgpr_dispatch_ptr 0
		.amdhsa_user_sgpr_queue_ptr 0
		.amdhsa_user_sgpr_kernarg_segment_ptr 1
		.amdhsa_user_sgpr_dispatch_id 0
		.amdhsa_user_sgpr_private_segment_size 0
		.amdhsa_wavefront_size32 1
		.amdhsa_uses_dynamic_stack 0
		.amdhsa_enable_private_segment 0
		.amdhsa_system_sgpr_workgroup_id_x 1
		.amdhsa_system_sgpr_workgroup_id_y 0
		.amdhsa_system_sgpr_workgroup_id_z 0
		.amdhsa_system_sgpr_workgroup_info 0
		.amdhsa_system_vgpr_workitem_id 0
		.amdhsa_next_free_vgpr 24
		.amdhsa_next_free_sgpr 18
		.amdhsa_reserve_vcc 1
		.amdhsa_float_round_mode_32 0
		.amdhsa_float_round_mode_16_64 0
		.amdhsa_float_denorm_mode_32 3
		.amdhsa_float_denorm_mode_16_64 3
		.amdhsa_fp16_overflow 0
		.amdhsa_workgroup_processor_mode 1
		.amdhsa_memory_ordered 1
		.amdhsa_forward_progress 1
		.amdhsa_inst_pref_size 15
		.amdhsa_round_robin_scheduling 0
		.amdhsa_exception_fp_ieee_invalid_op 0
		.amdhsa_exception_fp_denorm_src 0
		.amdhsa_exception_fp_ieee_div_zero 0
		.amdhsa_exception_fp_ieee_overflow 0
		.amdhsa_exception_fp_ieee_underflow 0
		.amdhsa_exception_fp_ieee_inexact 0
		.amdhsa_exception_int_div_zero 0
	.end_amdhsa_kernel
	.section	.text._ZN9rocsparseL18bsrxmvn_3x3_kernelILj256ELj8EfliDF16_DF16_fEEvT3_20rocsparse_direction_NS_24const_host_device_scalarIT1_EES1_PKS1_PKT2_SA_S7_PKT4_PKT5_S5_PT6_21rocsparse_index_base_b,"axG",@progbits,_ZN9rocsparseL18bsrxmvn_3x3_kernelILj256ELj8EfliDF16_DF16_fEEvT3_20rocsparse_direction_NS_24const_host_device_scalarIT1_EES1_PKS1_PKT2_SA_S7_PKT4_PKT5_S5_PT6_21rocsparse_index_base_b,comdat
.Lfunc_end96:
	.size	_ZN9rocsparseL18bsrxmvn_3x3_kernelILj256ELj8EfliDF16_DF16_fEEvT3_20rocsparse_direction_NS_24const_host_device_scalarIT1_EES1_PKS1_PKT2_SA_S7_PKT4_PKT5_S5_PT6_21rocsparse_index_base_b, .Lfunc_end96-_ZN9rocsparseL18bsrxmvn_3x3_kernelILj256ELj8EfliDF16_DF16_fEEvT3_20rocsparse_direction_NS_24const_host_device_scalarIT1_EES1_PKS1_PKT2_SA_S7_PKT4_PKT5_S5_PT6_21rocsparse_index_base_b
                                        ; -- End function
	.set _ZN9rocsparseL18bsrxmvn_3x3_kernelILj256ELj8EfliDF16_DF16_fEEvT3_20rocsparse_direction_NS_24const_host_device_scalarIT1_EES1_PKS1_PKT2_SA_S7_PKT4_PKT5_S5_PT6_21rocsparse_index_base_b.num_vgpr, 24
	.set _ZN9rocsparseL18bsrxmvn_3x3_kernelILj256ELj8EfliDF16_DF16_fEEvT3_20rocsparse_direction_NS_24const_host_device_scalarIT1_EES1_PKS1_PKT2_SA_S7_PKT4_PKT5_S5_PT6_21rocsparse_index_base_b.num_agpr, 0
	.set _ZN9rocsparseL18bsrxmvn_3x3_kernelILj256ELj8EfliDF16_DF16_fEEvT3_20rocsparse_direction_NS_24const_host_device_scalarIT1_EES1_PKS1_PKT2_SA_S7_PKT4_PKT5_S5_PT6_21rocsparse_index_base_b.numbered_sgpr, 18
	.set _ZN9rocsparseL18bsrxmvn_3x3_kernelILj256ELj8EfliDF16_DF16_fEEvT3_20rocsparse_direction_NS_24const_host_device_scalarIT1_EES1_PKS1_PKT2_SA_S7_PKT4_PKT5_S5_PT6_21rocsparse_index_base_b.num_named_barrier, 0
	.set _ZN9rocsparseL18bsrxmvn_3x3_kernelILj256ELj8EfliDF16_DF16_fEEvT3_20rocsparse_direction_NS_24const_host_device_scalarIT1_EES1_PKS1_PKT2_SA_S7_PKT4_PKT5_S5_PT6_21rocsparse_index_base_b.private_seg_size, 0
	.set _ZN9rocsparseL18bsrxmvn_3x3_kernelILj256ELj8EfliDF16_DF16_fEEvT3_20rocsparse_direction_NS_24const_host_device_scalarIT1_EES1_PKS1_PKT2_SA_S7_PKT4_PKT5_S5_PT6_21rocsparse_index_base_b.uses_vcc, 1
	.set _ZN9rocsparseL18bsrxmvn_3x3_kernelILj256ELj8EfliDF16_DF16_fEEvT3_20rocsparse_direction_NS_24const_host_device_scalarIT1_EES1_PKS1_PKT2_SA_S7_PKT4_PKT5_S5_PT6_21rocsparse_index_base_b.uses_flat_scratch, 0
	.set _ZN9rocsparseL18bsrxmvn_3x3_kernelILj256ELj8EfliDF16_DF16_fEEvT3_20rocsparse_direction_NS_24const_host_device_scalarIT1_EES1_PKS1_PKT2_SA_S7_PKT4_PKT5_S5_PT6_21rocsparse_index_base_b.has_dyn_sized_stack, 0
	.set _ZN9rocsparseL18bsrxmvn_3x3_kernelILj256ELj8EfliDF16_DF16_fEEvT3_20rocsparse_direction_NS_24const_host_device_scalarIT1_EES1_PKS1_PKT2_SA_S7_PKT4_PKT5_S5_PT6_21rocsparse_index_base_b.has_recursion, 0
	.set _ZN9rocsparseL18bsrxmvn_3x3_kernelILj256ELj8EfliDF16_DF16_fEEvT3_20rocsparse_direction_NS_24const_host_device_scalarIT1_EES1_PKS1_PKT2_SA_S7_PKT4_PKT5_S5_PT6_21rocsparse_index_base_b.has_indirect_call, 0
	.section	.AMDGPU.csdata,"",@progbits
; Kernel info:
; codeLenInByte = 1824
; TotalNumSgprs: 20
; NumVgprs: 24
; ScratchSize: 0
; MemoryBound: 0
; FloatMode: 240
; IeeeMode: 1
; LDSByteSize: 0 bytes/workgroup (compile time only)
; SGPRBlocks: 0
; VGPRBlocks: 2
; NumSGPRsForWavesPerEU: 20
; NumVGPRsForWavesPerEU: 24
; Occupancy: 16
; WaveLimiterHint : 1
; COMPUTE_PGM_RSRC2:SCRATCH_EN: 0
; COMPUTE_PGM_RSRC2:USER_SGPR: 2
; COMPUTE_PGM_RSRC2:TRAP_HANDLER: 0
; COMPUTE_PGM_RSRC2:TGID_X_EN: 1
; COMPUTE_PGM_RSRC2:TGID_Y_EN: 0
; COMPUTE_PGM_RSRC2:TGID_Z_EN: 0
; COMPUTE_PGM_RSRC2:TIDIG_COMP_CNT: 0
	.section	.text._ZN9rocsparseL18bsrxmvn_3x3_kernelILj256ELj16EfliDF16_DF16_fEEvT3_20rocsparse_direction_NS_24const_host_device_scalarIT1_EES1_PKS1_PKT2_SA_S7_PKT4_PKT5_S5_PT6_21rocsparse_index_base_b,"axG",@progbits,_ZN9rocsparseL18bsrxmvn_3x3_kernelILj256ELj16EfliDF16_DF16_fEEvT3_20rocsparse_direction_NS_24const_host_device_scalarIT1_EES1_PKS1_PKT2_SA_S7_PKT4_PKT5_S5_PT6_21rocsparse_index_base_b,comdat
	.globl	_ZN9rocsparseL18bsrxmvn_3x3_kernelILj256ELj16EfliDF16_DF16_fEEvT3_20rocsparse_direction_NS_24const_host_device_scalarIT1_EES1_PKS1_PKT2_SA_S7_PKT4_PKT5_S5_PT6_21rocsparse_index_base_b ; -- Begin function _ZN9rocsparseL18bsrxmvn_3x3_kernelILj256ELj16EfliDF16_DF16_fEEvT3_20rocsparse_direction_NS_24const_host_device_scalarIT1_EES1_PKS1_PKT2_SA_S7_PKT4_PKT5_S5_PT6_21rocsparse_index_base_b
	.p2align	8
	.type	_ZN9rocsparseL18bsrxmvn_3x3_kernelILj256ELj16EfliDF16_DF16_fEEvT3_20rocsparse_direction_NS_24const_host_device_scalarIT1_EES1_PKS1_PKT2_SA_S7_PKT4_PKT5_S5_PT6_21rocsparse_index_base_b,@function
_ZN9rocsparseL18bsrxmvn_3x3_kernelILj256ELj16EfliDF16_DF16_fEEvT3_20rocsparse_direction_NS_24const_host_device_scalarIT1_EES1_PKS1_PKT2_SA_S7_PKT4_PKT5_S5_PT6_21rocsparse_index_base_b: ; @_ZN9rocsparseL18bsrxmvn_3x3_kernelILj256ELj16EfliDF16_DF16_fEEvT3_20rocsparse_direction_NS_24const_host_device_scalarIT1_EES1_PKS1_PKT2_SA_S7_PKT4_PKT5_S5_PT6_21rocsparse_index_base_b
; %bb.0:
	s_clause 0x2
	s_load_b64 s[16:17], s[0:1], 0x58
	s_load_b64 s[14:15], s[0:1], 0x8
	;; [unrolled: 1-line block ×3, first 2 shown]
	s_wait_kmcnt 0x0
	s_bitcmp1_b32 s17, 0
	s_cselect_b32 s2, -1, 0
	s_delay_alu instid0(SALU_CYCLE_1)
	s_and_b32 vcc_lo, exec_lo, s2
	s_xor_b32 s2, s2, -1
	s_cbranch_vccnz .LBB97_2
; %bb.1:
	s_load_b32 s14, s[14:15], 0x0
.LBB97_2:
	s_and_not1_b32 vcc_lo, exec_lo, s2
	s_cbranch_vccnz .LBB97_4
; %bb.3:
	s_load_b32 s12, s[12:13], 0x0
.LBB97_4:
	s_wait_kmcnt 0x0
	s_cmp_neq_f32 s14, 0
	s_mov_b32 s6, 0
	s_cselect_b32 s2, -1, 0
	s_cmp_neq_f32 s12, 1.0
	s_cselect_b32 s3, -1, 0
	s_delay_alu instid0(SALU_CYCLE_1) | instskip(NEXT) | instid1(SALU_CYCLE_1)
	s_or_b32 s2, s2, s3
	s_and_not1_b32 vcc_lo, exec_lo, s2
	s_cbranch_vccnz .LBB97_10
; %bb.5:
	s_clause 0x1
	s_load_b64 s[4:5], s[0:1], 0x18
	s_load_b64 s[2:3], s[0:1], 0x0
	v_lshrrev_b32_e32 v1, 4, v0
	s_delay_alu instid0(VALU_DEP_1)
	v_lshl_or_b32 v1, ttmp9, 4, v1
	s_wait_kmcnt 0x0
	s_cmp_lg_u64 s[4:5], 0
	s_cbranch_scc0 .LBB97_11
; %bb.6:
	s_load_b32 s6, s[0:1], 0x10
	s_mov_b32 s7, 0
                                        ; implicit-def: $vgpr2
	s_wait_kmcnt 0x0
	v_cmp_gt_i32_e32 vcc_lo, s6, v1
	s_mov_b32 s6, 0
	s_and_saveexec_b32 s8, vcc_lo
	s_delay_alu instid0(SALU_CYCLE_1)
	s_xor_b32 s8, exec_lo, s8
	s_cbranch_execz .LBB97_8
; %bb.7:
	v_ashrrev_i32_e32 v2, 31, v1
	s_mov_b32 s6, exec_lo
	s_delay_alu instid0(VALU_DEP_1) | instskip(NEXT) | instid1(VALU_DEP_1)
	v_lshlrev_b64_e32 v[2:3], 2, v[1:2]
	v_add_co_u32 v2, vcc_lo, s4, v2
	s_delay_alu instid0(VALU_DEP_1)
	v_add_co_ci_u32_e64 v3, null, s5, v3, vcc_lo
	global_load_b32 v2, v[2:3], off
	s_wait_loadcnt 0x0
	v_subrev_nc_u32_e32 v2, s16, v2
.LBB97_8:
	s_or_b32 exec_lo, exec_lo, s8
	s_delay_alu instid0(SALU_CYCLE_1)
	s_and_b32 vcc_lo, exec_lo, s7
	s_wait_alu 0xfffe
	s_cbranch_vccz .LBB97_12
.LBB97_9:
	v_cmp_gt_i32_e32 vcc_lo, s2, v1
	s_and_not1_b32 s2, s6, exec_lo
	s_and_b32 s4, vcc_lo, exec_lo
	s_wait_alu 0xfffe
	s_or_b32 s6, s2, s4
	s_wait_alu 0xfffe
	s_and_saveexec_b32 s2, s6
	s_cbranch_execnz .LBB97_13
.LBB97_10:
	s_endpgm
.LBB97_11:
                                        ; implicit-def: $vgpr2
	s_cbranch_execnz .LBB97_9
.LBB97_12:
	v_mov_b32_e32 v1, v2
	s_and_saveexec_b32 s2, s6
	s_cbranch_execz .LBB97_10
.LBB97_13:
	s_load_b256 s[4:11], s[0:1], 0x20
	s_delay_alu instid0(VALU_DEP_1) | instskip(SKIP_2) | instid1(VALU_DEP_3)
	v_ashrrev_i32_e32 v2, 31, v1
	v_and_b32_e32 v0, 15, v0
	v_mov_b32_e32 v14, 0
	v_lshlrev_b64_e32 v[2:3], 3, v[1:2]
	s_wait_kmcnt 0x0
	s_delay_alu instid0(VALU_DEP_1) | instskip(SKIP_1) | instid1(VALU_DEP_2)
	v_add_co_u32 v4, vcc_lo, s4, v2
	s_wait_alu 0xfffd
	v_add_co_ci_u32_e64 v5, null, s5, v3, vcc_lo
	v_add_co_u32 v2, vcc_lo, s6, v2
	s_wait_alu 0xfffd
	v_add_co_ci_u32_e64 v3, null, s7, v3, vcc_lo
	global_load_b64 v[6:7], v[4:5], off
	v_add_co_u32 v4, vcc_lo, v4, 8
	s_wait_alu 0xfffd
	v_add_co_ci_u32_e64 v5, null, 0, v5, vcc_lo
	s_cmp_eq_u64 s[6:7], 0
	s_load_b64 s[4:5], s[0:1], 0x40
	s_cselect_b32 vcc_lo, -1, 0
	s_cmp_eq_u32 s3, 1
	s_wait_alu 0xfffe
	v_dual_cndmask_b32 v3, v3, v5 :: v_dual_cndmask_b32 v2, v2, v4
	global_load_b64 v[8:9], v[2:3], off
	s_wait_loadcnt 0x1
	v_sub_co_u32 v2, vcc_lo, v6, s16
	s_wait_alu 0xfffd
	v_subrev_co_ci_u32_e64 v3, null, 0, v7, vcc_lo
	s_delay_alu instid0(VALU_DEP_2) | instskip(SKIP_1) | instid1(VALU_DEP_2)
	v_add_co_u32 v2, vcc_lo, v2, v0
	s_wait_alu 0xfffd
	v_add_co_ci_u32_e64 v3, null, 0, v3, vcc_lo
	s_delay_alu instid0(VALU_DEP_2) | instskip(NEXT) | instid1(VALU_DEP_1)
	v_mad_co_u64_u32 v[4:5], null, v2, 18, s[10:11]
	v_mad_co_u64_u32 v[5:6], null, v3, 18, v[5:6]
	s_wait_loadcnt 0x0
	v_sub_co_u32 v6, vcc_lo, v8, s16
	s_wait_alu 0xfffd
	v_subrev_co_ci_u32_e64 v7, null, 0, v9, vcc_lo
	s_delay_alu instid0(VALU_DEP_1)
	v_cmp_lt_i64_e64 s2, v[2:3], v[6:7]
	s_cbranch_scc1 .LBB97_19
; %bb.14:
	v_dual_mov_b32 v15, 0 :: v_dual_mov_b32 v16, 0
	s_and_saveexec_b32 s6, s2
	s_cbranch_execz .LBB97_18
; %bb.15:
	v_lshlrev_b64_e32 v[10:11], 2, v[2:3]
	v_dual_mov_b32 v14, 0 :: v_dual_mov_b32 v9, v5
	v_dual_mov_b32 v8, v4 :: v_dual_mov_b32 v13, v3
	;; [unrolled: 1-line block ×3, first 2 shown]
	s_delay_alu instid0(VALU_DEP_4)
	v_add_co_u32 v10, vcc_lo, s8, v10
	s_wait_alu 0xfffd
	v_add_co_ci_u32_e64 v11, null, s9, v11, vcc_lo
	v_mov_b32_e32 v16, 0
	s_mov_b32 s7, 0
.LBB97_16:                              ; =>This Inner Loop Header: Depth=1
	global_load_b32 v17, v[10:11], off
	s_wait_loadcnt 0x0
	v_subrev_nc_u32_e32 v17, s16, v17
	s_delay_alu instid0(VALU_DEP_1) | instskip(NEXT) | instid1(VALU_DEP_1)
	v_lshl_add_u32 v17, v17, 1, v17
	v_ashrrev_i32_e32 v18, 31, v17
	s_delay_alu instid0(VALU_DEP_1) | instskip(SKIP_1) | instid1(VALU_DEP_1)
	v_lshlrev_b64_e32 v[17:18], 1, v[17:18]
	s_wait_kmcnt 0x0
	v_add_co_u32 v21, vcc_lo, s4, v17
	s_wait_alu 0xfffd
	s_delay_alu instid0(VALU_DEP_2)
	v_add_co_ci_u32_e64 v22, null, s5, v18, vcc_lo
	global_load_b128 v[17:20], v[8:9], off
	s_clause 0x1
	global_load_b32 v23, v[21:22], off
	global_load_u16 v21, v[21:22], off offset:4
	global_load_u16 v22, v[8:9], off offset:16
	v_add_co_u32 v8, vcc_lo, 0x120, v8
	s_wait_alu 0xfffd
	v_add_co_ci_u32_e64 v9, null, 0, v9, vcc_lo
	v_add_co_u32 v12, vcc_lo, v12, 16
	s_wait_alu 0xfffd
	v_add_co_ci_u32_e64 v13, null, 0, v13, vcc_lo
	;; [unrolled: 3-line block ×3, first 2 shown]
	s_delay_alu instid0(VALU_DEP_3)
	v_cmp_ge_i64_e64 s3, v[12:13], v[6:7]
	s_wait_alu 0xfffe
	s_or_b32 s7, s3, s7
	s_wait_loadcnt 0x2
	v_fma_mix_f32 v16, v17, v23, v16 op_sel_hi:[1,1,0]
	v_fma_mix_f32 v15, v18, v23, v15 op_sel:[1,0,0] op_sel_hi:[1,1,0]
	v_fma_mix_f32 v14, v20, v23, v14 op_sel_hi:[1,1,0]
	s_delay_alu instid0(VALU_DEP_3) | instskip(NEXT) | instid1(VALU_DEP_3)
	v_fma_mix_f32 v16, v17, v23, v16 op_sel:[1,1,0] op_sel_hi:[1,1,0]
	v_fma_mix_f32 v15, v19, v23, v15 op_sel:[0,1,0] op_sel_hi:[1,1,0]
	s_delay_alu instid0(VALU_DEP_3) | instskip(SKIP_1) | instid1(VALU_DEP_3)
	v_fma_mix_f32 v14, v20, v23, v14 op_sel:[1,1,0] op_sel_hi:[1,1,0]
	s_wait_loadcnt 0x1
	v_fma_mix_f32 v16, v18, v21, v16 op_sel_hi:[1,1,0]
	s_delay_alu instid0(VALU_DEP_3)
	v_fma_mix_f32 v15, v19, v21, v15 op_sel:[1,0,0] op_sel_hi:[1,1,0]
	s_wait_loadcnt 0x0
	v_fma_mix_f32 v14, v22, v21, v14 op_sel_hi:[1,1,0]
	s_wait_alu 0xfffe
	s_and_not1_b32 exec_lo, exec_lo, s7
	s_cbranch_execnz .LBB97_16
; %bb.17:
	s_or_b32 exec_lo, exec_lo, s7
.LBB97_18:
	s_wait_alu 0xfffe
	s_or_b32 exec_lo, exec_lo, s6
	s_cbranch_execz .LBB97_20
	s_branch .LBB97_25
.LBB97_19:
                                        ; implicit-def: $vgpr14
                                        ; implicit-def: $vgpr15
                                        ; implicit-def: $vgpr16
.LBB97_20:
	v_dual_mov_b32 v14, 0 :: v_dual_mov_b32 v15, 0
	v_mov_b32_e32 v16, 0
	s_and_saveexec_b32 s3, s2
	s_cbranch_execz .LBB97_24
; %bb.21:
	v_lshlrev_b64_e32 v[8:9], 2, v[2:3]
	v_dual_mov_b32 v14, 0 :: v_dual_mov_b32 v15, 0
	v_mov_b32_e32 v16, 0
	s_mov_b32 s6, 0
	s_delay_alu instid0(VALU_DEP_3)
	v_add_co_u32 v8, vcc_lo, s8, v8
	s_wait_alu 0xfffd
	v_add_co_ci_u32_e64 v9, null, s9, v9, vcc_lo
.LBB97_22:                              ; =>This Inner Loop Header: Depth=1
	global_load_b32 v10, v[8:9], off
	s_wait_loadcnt 0x0
	v_subrev_nc_u32_e32 v10, s16, v10
	s_delay_alu instid0(VALU_DEP_1) | instskip(NEXT) | instid1(VALU_DEP_1)
	v_lshl_add_u32 v10, v10, 1, v10
	v_ashrrev_i32_e32 v11, 31, v10
	s_delay_alu instid0(VALU_DEP_1) | instskip(SKIP_1) | instid1(VALU_DEP_1)
	v_lshlrev_b64_e32 v[10:11], 1, v[10:11]
	s_wait_kmcnt 0x0
	v_add_co_u32 v17, vcc_lo, s4, v10
	s_wait_alu 0xfffd
	s_delay_alu instid0(VALU_DEP_2)
	v_add_co_ci_u32_e64 v18, null, s5, v11, vcc_lo
	global_load_b128 v[10:13], v[4:5], off
	s_clause 0x1
	global_load_b32 v19, v[17:18], off
	global_load_u16 v17, v[17:18], off offset:4
	global_load_u16 v18, v[4:5], off offset:16
	v_add_co_u32 v4, vcc_lo, 0x120, v4
	s_wait_alu 0xfffd
	v_add_co_ci_u32_e64 v5, null, 0, v5, vcc_lo
	v_add_co_u32 v2, vcc_lo, v2, 16
	s_wait_alu 0xfffd
	v_add_co_ci_u32_e64 v3, null, 0, v3, vcc_lo
	;; [unrolled: 3-line block ×3, first 2 shown]
	s_delay_alu instid0(VALU_DEP_3)
	v_cmp_ge_i64_e64 s2, v[2:3], v[6:7]
	s_wait_alu 0xfffe
	s_or_b32 s6, s2, s6
	s_wait_loadcnt 0x2
	v_fma_mix_f32 v16, v10, v19, v16 op_sel_hi:[1,1,0]
	v_fma_mix_f32 v10, v10, v19, v15 op_sel:[1,0,0] op_sel_hi:[1,1,0]
	v_fma_mix_f32 v14, v11, v19, v14 op_sel_hi:[1,1,0]
	s_delay_alu instid0(VALU_DEP_3) | instskip(NEXT) | instid1(VALU_DEP_3)
	v_fma_mix_f32 v11, v11, v19, v16 op_sel:[1,1,0] op_sel_hi:[1,1,0]
	v_fma_mix_f32 v10, v12, v19, v10 op_sel:[0,1,0] op_sel_hi:[1,1,0]
	s_delay_alu instid0(VALU_DEP_3) | instskip(SKIP_1) | instid1(VALU_DEP_3)
	v_fma_mix_f32 v12, v12, v19, v14 op_sel:[1,1,0] op_sel_hi:[1,1,0]
	s_wait_loadcnt 0x1
	v_fma_mix_f32 v16, v13, v17, v11 op_sel_hi:[1,1,0]
	s_delay_alu instid0(VALU_DEP_3)
	v_fma_mix_f32 v15, v13, v17, v10 op_sel:[1,0,0] op_sel_hi:[1,1,0]
	s_wait_loadcnt 0x0
	v_fma_mix_f32 v14, v18, v17, v12 op_sel_hi:[1,1,0]
	s_wait_alu 0xfffe
	s_and_not1_b32 exec_lo, exec_lo, s6
	s_cbranch_execnz .LBB97_22
; %bb.23:
	s_or_b32 exec_lo, exec_lo, s6
.LBB97_24:
	s_wait_alu 0xfffe
	s_or_b32 exec_lo, exec_lo, s3
.LBB97_25:
	v_mbcnt_lo_u32_b32 v2, -1, 0
	s_mov_b32 s2, -1
	s_delay_alu instid0(VALU_DEP_1) | instskip(SKIP_2) | instid1(VALU_DEP_3)
	v_xor_b32_e32 v3, 8, v2
	v_xor_b32_e32 v6, 4, v2
	;; [unrolled: 1-line block ×3, first 2 shown]
	v_cmp_gt_i32_e32 vcc_lo, 32, v3
	s_wait_alu 0xfffd
	v_cndmask_b32_e32 v3, v2, v3, vcc_lo
	v_cmp_gt_i32_e32 vcc_lo, 32, v6
	s_wait_alu 0xfffd
	v_cndmask_b32_e32 v6, v2, v6, vcc_lo
	v_cmp_gt_i32_e32 vcc_lo, 32, v9
	s_delay_alu instid0(VALU_DEP_2)
	v_lshlrev_b32_e32 v6, 2, v6
	v_lshlrev_b32_e32 v3, 2, v3
	ds_bpermute_b32 v4, v3, v16
	s_wait_dscnt 0x0
	v_add_f32_e32 v4, v16, v4
	ds_bpermute_b32 v5, v3, v15
	ds_bpermute_b32 v3, v3, v14
	;; [unrolled: 1-line block ×3, first 2 shown]
	s_wait_alu 0xfffd
	v_cndmask_b32_e32 v9, v2, v9, vcc_lo
	s_wait_dscnt 0x2
	v_add_f32_e32 v5, v15, v5
	s_wait_dscnt 0x1
	v_add_f32_e32 v3, v14, v3
	;; [unrolled: 2-line block ×3, first 2 shown]
	ds_bpermute_b32 v8, v6, v5
	ds_bpermute_b32 v6, v6, v3
	v_lshlrev_b32_e32 v9, 2, v9
	s_wait_dscnt 0x0
	v_dual_add_f32 v5, v5, v8 :: v_dual_add_f32 v6, v3, v6
	ds_bpermute_b32 v3, v9, v4
	ds_bpermute_b32 v7, v9, v5
	;; [unrolled: 1-line block ×3, first 2 shown]
	v_xor_b32_e32 v9, 1, v2
	s_delay_alu instid0(VALU_DEP_1) | instskip(SKIP_4) | instid1(VALU_DEP_2)
	v_cmp_gt_i32_e32 vcc_lo, 32, v9
	s_wait_alu 0xfffd
	v_cndmask_b32_e32 v2, v2, v9, vcc_lo
	v_cmp_eq_u32_e32 vcc_lo, 15, v0
	s_wait_dscnt 0x2
	v_dual_add_f32 v2, v4, v3 :: v_dual_lshlrev_b32 v9, 2, v2
	s_wait_dscnt 0x0
	v_dual_add_f32 v3, v5, v7 :: v_dual_add_f32 v4, v6, v8
	ds_bpermute_b32 v5, v9, v2
	ds_bpermute_b32 v6, v9, v3
	;; [unrolled: 1-line block ×3, first 2 shown]
	s_and_b32 exec_lo, exec_lo, vcc_lo
	s_cbranch_execz .LBB97_10
; %bb.26:
	s_load_b64 s[0:1], s[0:1], 0x50
	s_wait_dscnt 0x2
	v_add_f32_e32 v0, v2, v5
	s_wait_dscnt 0x1
	v_add_f32_e32 v2, v3, v6
	;; [unrolled: 2-line block ×3, first 2 shown]
	v_lshl_add_u32 v3, v1, 1, v1
	s_cmp_eq_f32 s12, 0
	v_dual_mul_f32 v1, s14, v2 :: v_dual_mul_f32 v0, s14, v0
	s_delay_alu instid0(VALU_DEP_3) | instskip(NEXT) | instid1(VALU_DEP_3)
	v_mul_f32_e32 v2, s14, v4
	v_ashrrev_i32_e32 v4, 31, v3
	s_cbranch_scc0 .LBB97_28
; %bb.27:
	s_delay_alu instid0(VALU_DEP_1) | instskip(SKIP_2) | instid1(VALU_DEP_1)
	v_lshlrev_b64_e32 v[5:6], 2, v[3:4]
	s_mov_b32 s2, 0
	s_wait_kmcnt 0x0
	v_add_co_u32 v5, vcc_lo, s0, v5
	s_wait_alu 0xfffd
	s_delay_alu instid0(VALU_DEP_2)
	v_add_co_ci_u32_e64 v6, null, s1, v6, vcc_lo
	global_store_b96 v[5:6], v[0:2], off
.LBB97_28:
	s_wait_alu 0xfffe
	s_and_not1_b32 vcc_lo, exec_lo, s2
	s_wait_alu 0xfffe
	s_cbranch_vccnz .LBB97_10
; %bb.29:
	v_lshlrev_b64_e32 v[3:4], 2, v[3:4]
	s_wait_kmcnt 0x0
	s_delay_alu instid0(VALU_DEP_1) | instskip(SKIP_1) | instid1(VALU_DEP_2)
	v_add_co_u32 v6, vcc_lo, s0, v3
	s_wait_alu 0xfffd
	v_add_co_ci_u32_e64 v7, null, s1, v4, vcc_lo
	global_load_b96 v[3:5], v[6:7], off
	s_wait_loadcnt 0x0
	v_dual_fmac_f32 v0, s12, v3 :: v_dual_fmac_f32 v1, s12, v4
	v_fmac_f32_e32 v2, s12, v5
	global_store_b96 v[6:7], v[0:2], off
	s_endpgm
	.section	.rodata,"a",@progbits
	.p2align	6, 0x0
	.amdhsa_kernel _ZN9rocsparseL18bsrxmvn_3x3_kernelILj256ELj16EfliDF16_DF16_fEEvT3_20rocsparse_direction_NS_24const_host_device_scalarIT1_EES1_PKS1_PKT2_SA_S7_PKT4_PKT5_S5_PT6_21rocsparse_index_base_b
		.amdhsa_group_segment_fixed_size 0
		.amdhsa_private_segment_fixed_size 0
		.amdhsa_kernarg_size 96
		.amdhsa_user_sgpr_count 2
		.amdhsa_user_sgpr_dispatch_ptr 0
		.amdhsa_user_sgpr_queue_ptr 0
		.amdhsa_user_sgpr_kernarg_segment_ptr 1
		.amdhsa_user_sgpr_dispatch_id 0
		.amdhsa_user_sgpr_private_segment_size 0
		.amdhsa_wavefront_size32 1
		.amdhsa_uses_dynamic_stack 0
		.amdhsa_enable_private_segment 0
		.amdhsa_system_sgpr_workgroup_id_x 1
		.amdhsa_system_sgpr_workgroup_id_y 0
		.amdhsa_system_sgpr_workgroup_id_z 0
		.amdhsa_system_sgpr_workgroup_info 0
		.amdhsa_system_vgpr_workitem_id 0
		.amdhsa_next_free_vgpr 24
		.amdhsa_next_free_sgpr 18
		.amdhsa_reserve_vcc 1
		.amdhsa_float_round_mode_32 0
		.amdhsa_float_round_mode_16_64 0
		.amdhsa_float_denorm_mode_32 3
		.amdhsa_float_denorm_mode_16_64 3
		.amdhsa_fp16_overflow 0
		.amdhsa_workgroup_processor_mode 1
		.amdhsa_memory_ordered 1
		.amdhsa_forward_progress 1
		.amdhsa_inst_pref_size 15
		.amdhsa_round_robin_scheduling 0
		.amdhsa_exception_fp_ieee_invalid_op 0
		.amdhsa_exception_fp_denorm_src 0
		.amdhsa_exception_fp_ieee_div_zero 0
		.amdhsa_exception_fp_ieee_overflow 0
		.amdhsa_exception_fp_ieee_underflow 0
		.amdhsa_exception_fp_ieee_inexact 0
		.amdhsa_exception_int_div_zero 0
	.end_amdhsa_kernel
	.section	.text._ZN9rocsparseL18bsrxmvn_3x3_kernelILj256ELj16EfliDF16_DF16_fEEvT3_20rocsparse_direction_NS_24const_host_device_scalarIT1_EES1_PKS1_PKT2_SA_S7_PKT4_PKT5_S5_PT6_21rocsparse_index_base_b,"axG",@progbits,_ZN9rocsparseL18bsrxmvn_3x3_kernelILj256ELj16EfliDF16_DF16_fEEvT3_20rocsparse_direction_NS_24const_host_device_scalarIT1_EES1_PKS1_PKT2_SA_S7_PKT4_PKT5_S5_PT6_21rocsparse_index_base_b,comdat
.Lfunc_end97:
	.size	_ZN9rocsparseL18bsrxmvn_3x3_kernelILj256ELj16EfliDF16_DF16_fEEvT3_20rocsparse_direction_NS_24const_host_device_scalarIT1_EES1_PKS1_PKT2_SA_S7_PKT4_PKT5_S5_PT6_21rocsparse_index_base_b, .Lfunc_end97-_ZN9rocsparseL18bsrxmvn_3x3_kernelILj256ELj16EfliDF16_DF16_fEEvT3_20rocsparse_direction_NS_24const_host_device_scalarIT1_EES1_PKS1_PKT2_SA_S7_PKT4_PKT5_S5_PT6_21rocsparse_index_base_b
                                        ; -- End function
	.set _ZN9rocsparseL18bsrxmvn_3x3_kernelILj256ELj16EfliDF16_DF16_fEEvT3_20rocsparse_direction_NS_24const_host_device_scalarIT1_EES1_PKS1_PKT2_SA_S7_PKT4_PKT5_S5_PT6_21rocsparse_index_base_b.num_vgpr, 24
	.set _ZN9rocsparseL18bsrxmvn_3x3_kernelILj256ELj16EfliDF16_DF16_fEEvT3_20rocsparse_direction_NS_24const_host_device_scalarIT1_EES1_PKS1_PKT2_SA_S7_PKT4_PKT5_S5_PT6_21rocsparse_index_base_b.num_agpr, 0
	.set _ZN9rocsparseL18bsrxmvn_3x3_kernelILj256ELj16EfliDF16_DF16_fEEvT3_20rocsparse_direction_NS_24const_host_device_scalarIT1_EES1_PKS1_PKT2_SA_S7_PKT4_PKT5_S5_PT6_21rocsparse_index_base_b.numbered_sgpr, 18
	.set _ZN9rocsparseL18bsrxmvn_3x3_kernelILj256ELj16EfliDF16_DF16_fEEvT3_20rocsparse_direction_NS_24const_host_device_scalarIT1_EES1_PKS1_PKT2_SA_S7_PKT4_PKT5_S5_PT6_21rocsparse_index_base_b.num_named_barrier, 0
	.set _ZN9rocsparseL18bsrxmvn_3x3_kernelILj256ELj16EfliDF16_DF16_fEEvT3_20rocsparse_direction_NS_24const_host_device_scalarIT1_EES1_PKS1_PKT2_SA_S7_PKT4_PKT5_S5_PT6_21rocsparse_index_base_b.private_seg_size, 0
	.set _ZN9rocsparseL18bsrxmvn_3x3_kernelILj256ELj16EfliDF16_DF16_fEEvT3_20rocsparse_direction_NS_24const_host_device_scalarIT1_EES1_PKS1_PKT2_SA_S7_PKT4_PKT5_S5_PT6_21rocsparse_index_base_b.uses_vcc, 1
	.set _ZN9rocsparseL18bsrxmvn_3x3_kernelILj256ELj16EfliDF16_DF16_fEEvT3_20rocsparse_direction_NS_24const_host_device_scalarIT1_EES1_PKS1_PKT2_SA_S7_PKT4_PKT5_S5_PT6_21rocsparse_index_base_b.uses_flat_scratch, 0
	.set _ZN9rocsparseL18bsrxmvn_3x3_kernelILj256ELj16EfliDF16_DF16_fEEvT3_20rocsparse_direction_NS_24const_host_device_scalarIT1_EES1_PKS1_PKT2_SA_S7_PKT4_PKT5_S5_PT6_21rocsparse_index_base_b.has_dyn_sized_stack, 0
	.set _ZN9rocsparseL18bsrxmvn_3x3_kernelILj256ELj16EfliDF16_DF16_fEEvT3_20rocsparse_direction_NS_24const_host_device_scalarIT1_EES1_PKS1_PKT2_SA_S7_PKT4_PKT5_S5_PT6_21rocsparse_index_base_b.has_recursion, 0
	.set _ZN9rocsparseL18bsrxmvn_3x3_kernelILj256ELj16EfliDF16_DF16_fEEvT3_20rocsparse_direction_NS_24const_host_device_scalarIT1_EES1_PKS1_PKT2_SA_S7_PKT4_PKT5_S5_PT6_21rocsparse_index_base_b.has_indirect_call, 0
	.section	.AMDGPU.csdata,"",@progbits
; Kernel info:
; codeLenInByte = 1888
; TotalNumSgprs: 20
; NumVgprs: 24
; ScratchSize: 0
; MemoryBound: 0
; FloatMode: 240
; IeeeMode: 1
; LDSByteSize: 0 bytes/workgroup (compile time only)
; SGPRBlocks: 0
; VGPRBlocks: 2
; NumSGPRsForWavesPerEU: 20
; NumVGPRsForWavesPerEU: 24
; Occupancy: 16
; WaveLimiterHint : 1
; COMPUTE_PGM_RSRC2:SCRATCH_EN: 0
; COMPUTE_PGM_RSRC2:USER_SGPR: 2
; COMPUTE_PGM_RSRC2:TRAP_HANDLER: 0
; COMPUTE_PGM_RSRC2:TGID_X_EN: 1
; COMPUTE_PGM_RSRC2:TGID_Y_EN: 0
; COMPUTE_PGM_RSRC2:TGID_Z_EN: 0
; COMPUTE_PGM_RSRC2:TIDIG_COMP_CNT: 0
	.section	.text._ZN9rocsparseL18bsrxmvn_3x3_kernelILj256ELj32EfliDF16_DF16_fEEvT3_20rocsparse_direction_NS_24const_host_device_scalarIT1_EES1_PKS1_PKT2_SA_S7_PKT4_PKT5_S5_PT6_21rocsparse_index_base_b,"axG",@progbits,_ZN9rocsparseL18bsrxmvn_3x3_kernelILj256ELj32EfliDF16_DF16_fEEvT3_20rocsparse_direction_NS_24const_host_device_scalarIT1_EES1_PKS1_PKT2_SA_S7_PKT4_PKT5_S5_PT6_21rocsparse_index_base_b,comdat
	.globl	_ZN9rocsparseL18bsrxmvn_3x3_kernelILj256ELj32EfliDF16_DF16_fEEvT3_20rocsparse_direction_NS_24const_host_device_scalarIT1_EES1_PKS1_PKT2_SA_S7_PKT4_PKT5_S5_PT6_21rocsparse_index_base_b ; -- Begin function _ZN9rocsparseL18bsrxmvn_3x3_kernelILj256ELj32EfliDF16_DF16_fEEvT3_20rocsparse_direction_NS_24const_host_device_scalarIT1_EES1_PKS1_PKT2_SA_S7_PKT4_PKT5_S5_PT6_21rocsparse_index_base_b
	.p2align	8
	.type	_ZN9rocsparseL18bsrxmvn_3x3_kernelILj256ELj32EfliDF16_DF16_fEEvT3_20rocsparse_direction_NS_24const_host_device_scalarIT1_EES1_PKS1_PKT2_SA_S7_PKT4_PKT5_S5_PT6_21rocsparse_index_base_b,@function
_ZN9rocsparseL18bsrxmvn_3x3_kernelILj256ELj32EfliDF16_DF16_fEEvT3_20rocsparse_direction_NS_24const_host_device_scalarIT1_EES1_PKS1_PKT2_SA_S7_PKT4_PKT5_S5_PT6_21rocsparse_index_base_b: ; @_ZN9rocsparseL18bsrxmvn_3x3_kernelILj256ELj32EfliDF16_DF16_fEEvT3_20rocsparse_direction_NS_24const_host_device_scalarIT1_EES1_PKS1_PKT2_SA_S7_PKT4_PKT5_S5_PT6_21rocsparse_index_base_b
; %bb.0:
	s_clause 0x2
	s_load_b64 s[16:17], s[0:1], 0x58
	s_load_b64 s[14:15], s[0:1], 0x8
	;; [unrolled: 1-line block ×3, first 2 shown]
	s_wait_kmcnt 0x0
	s_bitcmp1_b32 s17, 0
	s_cselect_b32 s2, -1, 0
	s_delay_alu instid0(SALU_CYCLE_1)
	s_and_b32 vcc_lo, exec_lo, s2
	s_xor_b32 s2, s2, -1
	s_cbranch_vccnz .LBB98_2
; %bb.1:
	s_load_b32 s14, s[14:15], 0x0
.LBB98_2:
	s_and_not1_b32 vcc_lo, exec_lo, s2
	s_cbranch_vccnz .LBB98_4
; %bb.3:
	s_load_b32 s12, s[12:13], 0x0
.LBB98_4:
	s_wait_kmcnt 0x0
	s_cmp_neq_f32 s14, 0
	s_mov_b32 s6, 0
	s_cselect_b32 s2, -1, 0
	s_cmp_neq_f32 s12, 1.0
	s_cselect_b32 s3, -1, 0
	s_delay_alu instid0(SALU_CYCLE_1) | instskip(NEXT) | instid1(SALU_CYCLE_1)
	s_or_b32 s2, s2, s3
	s_and_not1_b32 vcc_lo, exec_lo, s2
	s_cbranch_vccnz .LBB98_10
; %bb.5:
	s_clause 0x1
	s_load_b64 s[4:5], s[0:1], 0x18
	s_load_b64 s[2:3], s[0:1], 0x0
	v_lshrrev_b32_e32 v1, 5, v0
	s_delay_alu instid0(VALU_DEP_1)
	v_lshl_or_b32 v1, ttmp9, 3, v1
	s_wait_kmcnt 0x0
	s_cmp_lg_u64 s[4:5], 0
	s_cbranch_scc0 .LBB98_11
; %bb.6:
	s_load_b32 s6, s[0:1], 0x10
	s_mov_b32 s7, 0
                                        ; implicit-def: $vgpr2
	s_wait_kmcnt 0x0
	v_cmp_gt_i32_e32 vcc_lo, s6, v1
	s_mov_b32 s6, 0
	s_and_saveexec_b32 s8, vcc_lo
	s_delay_alu instid0(SALU_CYCLE_1)
	s_xor_b32 s8, exec_lo, s8
	s_cbranch_execz .LBB98_8
; %bb.7:
	v_ashrrev_i32_e32 v2, 31, v1
	s_mov_b32 s6, exec_lo
	s_delay_alu instid0(VALU_DEP_1) | instskip(NEXT) | instid1(VALU_DEP_1)
	v_lshlrev_b64_e32 v[2:3], 2, v[1:2]
	v_add_co_u32 v2, vcc_lo, s4, v2
	s_delay_alu instid0(VALU_DEP_1)
	v_add_co_ci_u32_e64 v3, null, s5, v3, vcc_lo
	global_load_b32 v2, v[2:3], off
	s_wait_loadcnt 0x0
	v_subrev_nc_u32_e32 v2, s16, v2
.LBB98_8:
	s_or_b32 exec_lo, exec_lo, s8
	s_delay_alu instid0(SALU_CYCLE_1)
	s_and_b32 vcc_lo, exec_lo, s7
	s_wait_alu 0xfffe
	s_cbranch_vccz .LBB98_12
.LBB98_9:
	v_cmp_gt_i32_e32 vcc_lo, s2, v1
	s_and_not1_b32 s2, s6, exec_lo
	s_and_b32 s4, vcc_lo, exec_lo
	s_wait_alu 0xfffe
	s_or_b32 s6, s2, s4
	s_wait_alu 0xfffe
	s_and_saveexec_b32 s2, s6
	s_cbranch_execnz .LBB98_13
.LBB98_10:
	s_endpgm
.LBB98_11:
                                        ; implicit-def: $vgpr2
	s_cbranch_execnz .LBB98_9
.LBB98_12:
	v_mov_b32_e32 v1, v2
	s_and_saveexec_b32 s2, s6
	s_cbranch_execz .LBB98_10
.LBB98_13:
	s_load_b256 s[4:11], s[0:1], 0x20
	s_delay_alu instid0(VALU_DEP_1) | instskip(SKIP_2) | instid1(VALU_DEP_3)
	v_ashrrev_i32_e32 v2, 31, v1
	v_and_b32_e32 v0, 31, v0
	v_mov_b32_e32 v14, 0
	v_lshlrev_b64_e32 v[2:3], 3, v[1:2]
	s_wait_kmcnt 0x0
	s_delay_alu instid0(VALU_DEP_1) | instskip(SKIP_1) | instid1(VALU_DEP_2)
	v_add_co_u32 v4, vcc_lo, s4, v2
	s_wait_alu 0xfffd
	v_add_co_ci_u32_e64 v5, null, s5, v3, vcc_lo
	v_add_co_u32 v2, vcc_lo, s6, v2
	s_wait_alu 0xfffd
	v_add_co_ci_u32_e64 v3, null, s7, v3, vcc_lo
	global_load_b64 v[6:7], v[4:5], off
	v_add_co_u32 v4, vcc_lo, v4, 8
	s_wait_alu 0xfffd
	v_add_co_ci_u32_e64 v5, null, 0, v5, vcc_lo
	s_cmp_eq_u64 s[6:7], 0
	s_load_b64 s[4:5], s[0:1], 0x40
	s_cselect_b32 vcc_lo, -1, 0
	s_cmp_eq_u32 s3, 1
	s_wait_alu 0xfffe
	v_dual_cndmask_b32 v3, v3, v5 :: v_dual_cndmask_b32 v2, v2, v4
	global_load_b64 v[8:9], v[2:3], off
	s_wait_loadcnt 0x1
	v_sub_co_u32 v2, vcc_lo, v6, s16
	s_wait_alu 0xfffd
	v_subrev_co_ci_u32_e64 v3, null, 0, v7, vcc_lo
	s_delay_alu instid0(VALU_DEP_2) | instskip(SKIP_1) | instid1(VALU_DEP_2)
	v_add_co_u32 v2, vcc_lo, v2, v0
	s_wait_alu 0xfffd
	v_add_co_ci_u32_e64 v3, null, 0, v3, vcc_lo
	s_delay_alu instid0(VALU_DEP_2) | instskip(NEXT) | instid1(VALU_DEP_1)
	v_mad_co_u64_u32 v[4:5], null, v2, 18, s[10:11]
	v_mad_co_u64_u32 v[5:6], null, v3, 18, v[5:6]
	s_wait_loadcnt 0x0
	v_sub_co_u32 v6, vcc_lo, v8, s16
	s_wait_alu 0xfffd
	v_subrev_co_ci_u32_e64 v7, null, 0, v9, vcc_lo
	s_delay_alu instid0(VALU_DEP_1)
	v_cmp_lt_i64_e64 s2, v[2:3], v[6:7]
	s_cbranch_scc1 .LBB98_19
; %bb.14:
	v_dual_mov_b32 v15, 0 :: v_dual_mov_b32 v16, 0
	s_and_saveexec_b32 s6, s2
	s_cbranch_execz .LBB98_18
; %bb.15:
	v_lshlrev_b64_e32 v[10:11], 2, v[2:3]
	v_dual_mov_b32 v14, 0 :: v_dual_mov_b32 v9, v5
	v_dual_mov_b32 v8, v4 :: v_dual_mov_b32 v13, v3
	;; [unrolled: 1-line block ×3, first 2 shown]
	s_delay_alu instid0(VALU_DEP_4)
	v_add_co_u32 v10, vcc_lo, s8, v10
	s_wait_alu 0xfffd
	v_add_co_ci_u32_e64 v11, null, s9, v11, vcc_lo
	v_mov_b32_e32 v16, 0
	s_mov_b32 s7, 0
.LBB98_16:                              ; =>This Inner Loop Header: Depth=1
	global_load_b32 v17, v[10:11], off
	s_wait_loadcnt 0x0
	v_subrev_nc_u32_e32 v17, s16, v17
	s_delay_alu instid0(VALU_DEP_1) | instskip(NEXT) | instid1(VALU_DEP_1)
	v_lshl_add_u32 v17, v17, 1, v17
	v_ashrrev_i32_e32 v18, 31, v17
	s_delay_alu instid0(VALU_DEP_1) | instskip(SKIP_1) | instid1(VALU_DEP_1)
	v_lshlrev_b64_e32 v[17:18], 1, v[17:18]
	s_wait_kmcnt 0x0
	v_add_co_u32 v21, vcc_lo, s4, v17
	s_wait_alu 0xfffd
	s_delay_alu instid0(VALU_DEP_2)
	v_add_co_ci_u32_e64 v22, null, s5, v18, vcc_lo
	global_load_b128 v[17:20], v[8:9], off
	s_clause 0x1
	global_load_b32 v23, v[21:22], off
	global_load_u16 v21, v[21:22], off offset:4
	global_load_u16 v22, v[8:9], off offset:16
	v_add_co_u32 v8, vcc_lo, 0x240, v8
	s_wait_alu 0xfffd
	v_add_co_ci_u32_e64 v9, null, 0, v9, vcc_lo
	v_add_co_u32 v12, vcc_lo, v12, 32
	s_wait_alu 0xfffd
	v_add_co_ci_u32_e64 v13, null, 0, v13, vcc_lo
	;; [unrolled: 3-line block ×3, first 2 shown]
	s_delay_alu instid0(VALU_DEP_3)
	v_cmp_ge_i64_e64 s3, v[12:13], v[6:7]
	s_wait_alu 0xfffe
	s_or_b32 s7, s3, s7
	s_wait_loadcnt 0x2
	v_fma_mix_f32 v16, v17, v23, v16 op_sel_hi:[1,1,0]
	v_fma_mix_f32 v15, v18, v23, v15 op_sel:[1,0,0] op_sel_hi:[1,1,0]
	v_fma_mix_f32 v14, v20, v23, v14 op_sel_hi:[1,1,0]
	s_delay_alu instid0(VALU_DEP_3) | instskip(NEXT) | instid1(VALU_DEP_3)
	v_fma_mix_f32 v16, v17, v23, v16 op_sel:[1,1,0] op_sel_hi:[1,1,0]
	v_fma_mix_f32 v15, v19, v23, v15 op_sel:[0,1,0] op_sel_hi:[1,1,0]
	s_delay_alu instid0(VALU_DEP_3) | instskip(SKIP_1) | instid1(VALU_DEP_3)
	v_fma_mix_f32 v14, v20, v23, v14 op_sel:[1,1,0] op_sel_hi:[1,1,0]
	s_wait_loadcnt 0x1
	v_fma_mix_f32 v16, v18, v21, v16 op_sel_hi:[1,1,0]
	s_delay_alu instid0(VALU_DEP_3)
	v_fma_mix_f32 v15, v19, v21, v15 op_sel:[1,0,0] op_sel_hi:[1,1,0]
	s_wait_loadcnt 0x0
	v_fma_mix_f32 v14, v22, v21, v14 op_sel_hi:[1,1,0]
	s_wait_alu 0xfffe
	s_and_not1_b32 exec_lo, exec_lo, s7
	s_cbranch_execnz .LBB98_16
; %bb.17:
	s_or_b32 exec_lo, exec_lo, s7
.LBB98_18:
	s_wait_alu 0xfffe
	s_or_b32 exec_lo, exec_lo, s6
	s_cbranch_execz .LBB98_20
	s_branch .LBB98_25
.LBB98_19:
                                        ; implicit-def: $vgpr14
                                        ; implicit-def: $vgpr15
                                        ; implicit-def: $vgpr16
.LBB98_20:
	v_dual_mov_b32 v14, 0 :: v_dual_mov_b32 v15, 0
	v_mov_b32_e32 v16, 0
	s_and_saveexec_b32 s3, s2
	s_cbranch_execz .LBB98_24
; %bb.21:
	v_lshlrev_b64_e32 v[8:9], 2, v[2:3]
	v_dual_mov_b32 v14, 0 :: v_dual_mov_b32 v15, 0
	v_mov_b32_e32 v16, 0
	s_mov_b32 s6, 0
	s_delay_alu instid0(VALU_DEP_3)
	v_add_co_u32 v8, vcc_lo, s8, v8
	s_wait_alu 0xfffd
	v_add_co_ci_u32_e64 v9, null, s9, v9, vcc_lo
.LBB98_22:                              ; =>This Inner Loop Header: Depth=1
	global_load_b32 v10, v[8:9], off
	s_wait_loadcnt 0x0
	v_subrev_nc_u32_e32 v10, s16, v10
	s_delay_alu instid0(VALU_DEP_1) | instskip(NEXT) | instid1(VALU_DEP_1)
	v_lshl_add_u32 v10, v10, 1, v10
	v_ashrrev_i32_e32 v11, 31, v10
	s_delay_alu instid0(VALU_DEP_1) | instskip(SKIP_1) | instid1(VALU_DEP_1)
	v_lshlrev_b64_e32 v[10:11], 1, v[10:11]
	s_wait_kmcnt 0x0
	v_add_co_u32 v17, vcc_lo, s4, v10
	s_wait_alu 0xfffd
	s_delay_alu instid0(VALU_DEP_2)
	v_add_co_ci_u32_e64 v18, null, s5, v11, vcc_lo
	global_load_b128 v[10:13], v[4:5], off
	s_clause 0x1
	global_load_b32 v19, v[17:18], off
	global_load_u16 v17, v[17:18], off offset:4
	global_load_u16 v18, v[4:5], off offset:16
	v_add_co_u32 v4, vcc_lo, 0x240, v4
	s_wait_alu 0xfffd
	v_add_co_ci_u32_e64 v5, null, 0, v5, vcc_lo
	v_add_co_u32 v2, vcc_lo, v2, 32
	s_wait_alu 0xfffd
	v_add_co_ci_u32_e64 v3, null, 0, v3, vcc_lo
	;; [unrolled: 3-line block ×3, first 2 shown]
	s_delay_alu instid0(VALU_DEP_3)
	v_cmp_ge_i64_e64 s2, v[2:3], v[6:7]
	s_wait_alu 0xfffe
	s_or_b32 s6, s2, s6
	s_wait_loadcnt 0x2
	v_fma_mix_f32 v16, v10, v19, v16 op_sel_hi:[1,1,0]
	v_fma_mix_f32 v10, v10, v19, v15 op_sel:[1,0,0] op_sel_hi:[1,1,0]
	v_fma_mix_f32 v14, v11, v19, v14 op_sel_hi:[1,1,0]
	s_delay_alu instid0(VALU_DEP_3) | instskip(NEXT) | instid1(VALU_DEP_3)
	v_fma_mix_f32 v11, v11, v19, v16 op_sel:[1,1,0] op_sel_hi:[1,1,0]
	v_fma_mix_f32 v10, v12, v19, v10 op_sel:[0,1,0] op_sel_hi:[1,1,0]
	s_delay_alu instid0(VALU_DEP_3) | instskip(SKIP_1) | instid1(VALU_DEP_3)
	v_fma_mix_f32 v12, v12, v19, v14 op_sel:[1,1,0] op_sel_hi:[1,1,0]
	s_wait_loadcnt 0x1
	v_fma_mix_f32 v16, v13, v17, v11 op_sel_hi:[1,1,0]
	s_delay_alu instid0(VALU_DEP_3)
	v_fma_mix_f32 v15, v13, v17, v10 op_sel:[1,0,0] op_sel_hi:[1,1,0]
	s_wait_loadcnt 0x0
	v_fma_mix_f32 v14, v18, v17, v12 op_sel_hi:[1,1,0]
	s_wait_alu 0xfffe
	s_and_not1_b32 exec_lo, exec_lo, s6
	s_cbranch_execnz .LBB98_22
; %bb.23:
	s_or_b32 exec_lo, exec_lo, s6
.LBB98_24:
	s_wait_alu 0xfffe
	s_or_b32 exec_lo, exec_lo, s3
.LBB98_25:
	v_mbcnt_lo_u32_b32 v2, -1, 0
	s_mov_b32 s2, -1
	s_delay_alu instid0(VALU_DEP_1) | instskip(SKIP_2) | instid1(VALU_DEP_3)
	v_xor_b32_e32 v3, 16, v2
	v_xor_b32_e32 v6, 8, v2
	;; [unrolled: 1-line block ×3, first 2 shown]
	v_cmp_gt_i32_e32 vcc_lo, 32, v3
	s_wait_alu 0xfffd
	v_cndmask_b32_e32 v3, v2, v3, vcc_lo
	v_cmp_gt_i32_e32 vcc_lo, 32, v6
	s_wait_alu 0xfffd
	v_cndmask_b32_e32 v6, v2, v6, vcc_lo
	v_cmp_gt_i32_e32 vcc_lo, 32, v9
	s_delay_alu instid0(VALU_DEP_2)
	v_lshlrev_b32_e32 v6, 2, v6
	v_lshlrev_b32_e32 v3, 2, v3
	ds_bpermute_b32 v4, v3, v16
	s_wait_dscnt 0x0
	v_add_f32_e32 v4, v16, v4
	ds_bpermute_b32 v5, v3, v15
	ds_bpermute_b32 v3, v3, v14
	;; [unrolled: 1-line block ×3, first 2 shown]
	s_wait_alu 0xfffd
	v_cndmask_b32_e32 v9, v2, v9, vcc_lo
	s_wait_dscnt 0x0
	v_dual_add_f32 v5, v15, v5 :: v_dual_add_f32 v4, v4, v7
	v_add_f32_e32 v3, v14, v3
	ds_bpermute_b32 v8, v6, v5
	ds_bpermute_b32 v6, v6, v3
	s_wait_dscnt 0x1
	v_add_f32_e32 v5, v5, v8
	s_wait_dscnt 0x0
	v_add_f32_e32 v3, v3, v6
	v_lshlrev_b32_e32 v9, 2, v9
	ds_bpermute_b32 v6, v9, v4
	ds_bpermute_b32 v8, v9, v3
	s_wait_dscnt 0x1
	v_add_f32_e32 v4, v4, v6
	s_wait_dscnt 0x0
	v_add_f32_e32 v6, v3, v8
	ds_bpermute_b32 v7, v9, v5
	v_xor_b32_e32 v9, 2, v2
	s_delay_alu instid0(VALU_DEP_1) | instskip(SKIP_2) | instid1(VALU_DEP_1)
	v_cmp_gt_i32_e32 vcc_lo, 32, v9
	s_wait_alu 0xfffd
	v_cndmask_b32_e32 v9, v2, v9, vcc_lo
	v_lshlrev_b32_e32 v9, 2, v9
	s_wait_dscnt 0x0
	v_add_f32_e32 v5, v5, v7
	ds_bpermute_b32 v3, v9, v4
	ds_bpermute_b32 v8, v9, v6
	;; [unrolled: 1-line block ×3, first 2 shown]
	v_xor_b32_e32 v9, 1, v2
	s_delay_alu instid0(VALU_DEP_1) | instskip(SKIP_4) | instid1(VALU_DEP_2)
	v_cmp_gt_i32_e32 vcc_lo, 32, v9
	s_wait_alu 0xfffd
	v_cndmask_b32_e32 v2, v2, v9, vcc_lo
	v_cmp_eq_u32_e32 vcc_lo, 31, v0
	s_wait_dscnt 0x2
	v_dual_add_f32 v2, v4, v3 :: v_dual_lshlrev_b32 v9, 2, v2
	s_wait_dscnt 0x0
	v_dual_add_f32 v4, v6, v8 :: v_dual_add_f32 v3, v5, v7
	ds_bpermute_b32 v5, v9, v2
	ds_bpermute_b32 v7, v9, v4
	;; [unrolled: 1-line block ×3, first 2 shown]
	s_and_b32 exec_lo, exec_lo, vcc_lo
	s_cbranch_execz .LBB98_10
; %bb.26:
	s_load_b64 s[0:1], s[0:1], 0x50
	s_wait_dscnt 0x2
	v_add_f32_e32 v0, v2, v5
	s_wait_dscnt 0x0
	v_add_f32_e32 v2, v3, v6
	v_add_f32_e32 v4, v4, v7
	v_lshl_add_u32 v3, v1, 1, v1
	s_cmp_eq_f32 s12, 0
	s_delay_alu instid0(VALU_DEP_3) | instskip(NEXT) | instid1(VALU_DEP_3)
	v_dual_mul_f32 v1, s14, v2 :: v_dual_mul_f32 v0, s14, v0
	v_mul_f32_e32 v2, s14, v4
	s_delay_alu instid0(VALU_DEP_3)
	v_ashrrev_i32_e32 v4, 31, v3
	s_cbranch_scc0 .LBB98_28
; %bb.27:
	s_delay_alu instid0(VALU_DEP_1) | instskip(SKIP_2) | instid1(VALU_DEP_1)
	v_lshlrev_b64_e32 v[5:6], 2, v[3:4]
	s_mov_b32 s2, 0
	s_wait_kmcnt 0x0
	v_add_co_u32 v5, vcc_lo, s0, v5
	s_wait_alu 0xfffd
	s_delay_alu instid0(VALU_DEP_2)
	v_add_co_ci_u32_e64 v6, null, s1, v6, vcc_lo
	global_store_b96 v[5:6], v[0:2], off
.LBB98_28:
	s_wait_alu 0xfffe
	s_and_not1_b32 vcc_lo, exec_lo, s2
	s_wait_alu 0xfffe
	s_cbranch_vccnz .LBB98_10
; %bb.29:
	v_lshlrev_b64_e32 v[3:4], 2, v[3:4]
	s_wait_kmcnt 0x0
	s_delay_alu instid0(VALU_DEP_1) | instskip(SKIP_1) | instid1(VALU_DEP_2)
	v_add_co_u32 v6, vcc_lo, s0, v3
	s_wait_alu 0xfffd
	v_add_co_ci_u32_e64 v7, null, s1, v4, vcc_lo
	global_load_b96 v[3:5], v[6:7], off
	s_wait_loadcnt 0x0
	v_dual_fmac_f32 v0, s12, v3 :: v_dual_fmac_f32 v1, s12, v4
	v_fmac_f32_e32 v2, s12, v5
	global_store_b96 v[6:7], v[0:2], off
	s_endpgm
	.section	.rodata,"a",@progbits
	.p2align	6, 0x0
	.amdhsa_kernel _ZN9rocsparseL18bsrxmvn_3x3_kernelILj256ELj32EfliDF16_DF16_fEEvT3_20rocsparse_direction_NS_24const_host_device_scalarIT1_EES1_PKS1_PKT2_SA_S7_PKT4_PKT5_S5_PT6_21rocsparse_index_base_b
		.amdhsa_group_segment_fixed_size 0
		.amdhsa_private_segment_fixed_size 0
		.amdhsa_kernarg_size 96
		.amdhsa_user_sgpr_count 2
		.amdhsa_user_sgpr_dispatch_ptr 0
		.amdhsa_user_sgpr_queue_ptr 0
		.amdhsa_user_sgpr_kernarg_segment_ptr 1
		.amdhsa_user_sgpr_dispatch_id 0
		.amdhsa_user_sgpr_private_segment_size 0
		.amdhsa_wavefront_size32 1
		.amdhsa_uses_dynamic_stack 0
		.amdhsa_enable_private_segment 0
		.amdhsa_system_sgpr_workgroup_id_x 1
		.amdhsa_system_sgpr_workgroup_id_y 0
		.amdhsa_system_sgpr_workgroup_id_z 0
		.amdhsa_system_sgpr_workgroup_info 0
		.amdhsa_system_vgpr_workitem_id 0
		.amdhsa_next_free_vgpr 24
		.amdhsa_next_free_sgpr 18
		.amdhsa_reserve_vcc 1
		.amdhsa_float_round_mode_32 0
		.amdhsa_float_round_mode_16_64 0
		.amdhsa_float_denorm_mode_32 3
		.amdhsa_float_denorm_mode_16_64 3
		.amdhsa_fp16_overflow 0
		.amdhsa_workgroup_processor_mode 1
		.amdhsa_memory_ordered 1
		.amdhsa_forward_progress 1
		.amdhsa_inst_pref_size 16
		.amdhsa_round_robin_scheduling 0
		.amdhsa_exception_fp_ieee_invalid_op 0
		.amdhsa_exception_fp_denorm_src 0
		.amdhsa_exception_fp_ieee_div_zero 0
		.amdhsa_exception_fp_ieee_overflow 0
		.amdhsa_exception_fp_ieee_underflow 0
		.amdhsa_exception_fp_ieee_inexact 0
		.amdhsa_exception_int_div_zero 0
	.end_amdhsa_kernel
	.section	.text._ZN9rocsparseL18bsrxmvn_3x3_kernelILj256ELj32EfliDF16_DF16_fEEvT3_20rocsparse_direction_NS_24const_host_device_scalarIT1_EES1_PKS1_PKT2_SA_S7_PKT4_PKT5_S5_PT6_21rocsparse_index_base_b,"axG",@progbits,_ZN9rocsparseL18bsrxmvn_3x3_kernelILj256ELj32EfliDF16_DF16_fEEvT3_20rocsparse_direction_NS_24const_host_device_scalarIT1_EES1_PKS1_PKT2_SA_S7_PKT4_PKT5_S5_PT6_21rocsparse_index_base_b,comdat
.Lfunc_end98:
	.size	_ZN9rocsparseL18bsrxmvn_3x3_kernelILj256ELj32EfliDF16_DF16_fEEvT3_20rocsparse_direction_NS_24const_host_device_scalarIT1_EES1_PKS1_PKT2_SA_S7_PKT4_PKT5_S5_PT6_21rocsparse_index_base_b, .Lfunc_end98-_ZN9rocsparseL18bsrxmvn_3x3_kernelILj256ELj32EfliDF16_DF16_fEEvT3_20rocsparse_direction_NS_24const_host_device_scalarIT1_EES1_PKS1_PKT2_SA_S7_PKT4_PKT5_S5_PT6_21rocsparse_index_base_b
                                        ; -- End function
	.set _ZN9rocsparseL18bsrxmvn_3x3_kernelILj256ELj32EfliDF16_DF16_fEEvT3_20rocsparse_direction_NS_24const_host_device_scalarIT1_EES1_PKS1_PKT2_SA_S7_PKT4_PKT5_S5_PT6_21rocsparse_index_base_b.num_vgpr, 24
	.set _ZN9rocsparseL18bsrxmvn_3x3_kernelILj256ELj32EfliDF16_DF16_fEEvT3_20rocsparse_direction_NS_24const_host_device_scalarIT1_EES1_PKS1_PKT2_SA_S7_PKT4_PKT5_S5_PT6_21rocsparse_index_base_b.num_agpr, 0
	.set _ZN9rocsparseL18bsrxmvn_3x3_kernelILj256ELj32EfliDF16_DF16_fEEvT3_20rocsparse_direction_NS_24const_host_device_scalarIT1_EES1_PKS1_PKT2_SA_S7_PKT4_PKT5_S5_PT6_21rocsparse_index_base_b.numbered_sgpr, 18
	.set _ZN9rocsparseL18bsrxmvn_3x3_kernelILj256ELj32EfliDF16_DF16_fEEvT3_20rocsparse_direction_NS_24const_host_device_scalarIT1_EES1_PKS1_PKT2_SA_S7_PKT4_PKT5_S5_PT6_21rocsparse_index_base_b.num_named_barrier, 0
	.set _ZN9rocsparseL18bsrxmvn_3x3_kernelILj256ELj32EfliDF16_DF16_fEEvT3_20rocsparse_direction_NS_24const_host_device_scalarIT1_EES1_PKS1_PKT2_SA_S7_PKT4_PKT5_S5_PT6_21rocsparse_index_base_b.private_seg_size, 0
	.set _ZN9rocsparseL18bsrxmvn_3x3_kernelILj256ELj32EfliDF16_DF16_fEEvT3_20rocsparse_direction_NS_24const_host_device_scalarIT1_EES1_PKS1_PKT2_SA_S7_PKT4_PKT5_S5_PT6_21rocsparse_index_base_b.uses_vcc, 1
	.set _ZN9rocsparseL18bsrxmvn_3x3_kernelILj256ELj32EfliDF16_DF16_fEEvT3_20rocsparse_direction_NS_24const_host_device_scalarIT1_EES1_PKS1_PKT2_SA_S7_PKT4_PKT5_S5_PT6_21rocsparse_index_base_b.uses_flat_scratch, 0
	.set _ZN9rocsparseL18bsrxmvn_3x3_kernelILj256ELj32EfliDF16_DF16_fEEvT3_20rocsparse_direction_NS_24const_host_device_scalarIT1_EES1_PKS1_PKT2_SA_S7_PKT4_PKT5_S5_PT6_21rocsparse_index_base_b.has_dyn_sized_stack, 0
	.set _ZN9rocsparseL18bsrxmvn_3x3_kernelILj256ELj32EfliDF16_DF16_fEEvT3_20rocsparse_direction_NS_24const_host_device_scalarIT1_EES1_PKS1_PKT2_SA_S7_PKT4_PKT5_S5_PT6_21rocsparse_index_base_b.has_recursion, 0
	.set _ZN9rocsparseL18bsrxmvn_3x3_kernelILj256ELj32EfliDF16_DF16_fEEvT3_20rocsparse_direction_NS_24const_host_device_scalarIT1_EES1_PKS1_PKT2_SA_S7_PKT4_PKT5_S5_PT6_21rocsparse_index_base_b.has_indirect_call, 0
	.section	.AMDGPU.csdata,"",@progbits
; Kernel info:
; codeLenInByte = 1964
; TotalNumSgprs: 20
; NumVgprs: 24
; ScratchSize: 0
; MemoryBound: 0
; FloatMode: 240
; IeeeMode: 1
; LDSByteSize: 0 bytes/workgroup (compile time only)
; SGPRBlocks: 0
; VGPRBlocks: 2
; NumSGPRsForWavesPerEU: 20
; NumVGPRsForWavesPerEU: 24
; Occupancy: 16
; WaveLimiterHint : 1
; COMPUTE_PGM_RSRC2:SCRATCH_EN: 0
; COMPUTE_PGM_RSRC2:USER_SGPR: 2
; COMPUTE_PGM_RSRC2:TRAP_HANDLER: 0
; COMPUTE_PGM_RSRC2:TGID_X_EN: 1
; COMPUTE_PGM_RSRC2:TGID_Y_EN: 0
; COMPUTE_PGM_RSRC2:TGID_Z_EN: 0
; COMPUTE_PGM_RSRC2:TIDIG_COMP_CNT: 0
	.section	.text._ZN9rocsparseL18bsrxmvn_3x3_kernelILj256ELj64EfliDF16_DF16_fEEvT3_20rocsparse_direction_NS_24const_host_device_scalarIT1_EES1_PKS1_PKT2_SA_S7_PKT4_PKT5_S5_PT6_21rocsparse_index_base_b,"axG",@progbits,_ZN9rocsparseL18bsrxmvn_3x3_kernelILj256ELj64EfliDF16_DF16_fEEvT3_20rocsparse_direction_NS_24const_host_device_scalarIT1_EES1_PKS1_PKT2_SA_S7_PKT4_PKT5_S5_PT6_21rocsparse_index_base_b,comdat
	.globl	_ZN9rocsparseL18bsrxmvn_3x3_kernelILj256ELj64EfliDF16_DF16_fEEvT3_20rocsparse_direction_NS_24const_host_device_scalarIT1_EES1_PKS1_PKT2_SA_S7_PKT4_PKT5_S5_PT6_21rocsparse_index_base_b ; -- Begin function _ZN9rocsparseL18bsrxmvn_3x3_kernelILj256ELj64EfliDF16_DF16_fEEvT3_20rocsparse_direction_NS_24const_host_device_scalarIT1_EES1_PKS1_PKT2_SA_S7_PKT4_PKT5_S5_PT6_21rocsparse_index_base_b
	.p2align	8
	.type	_ZN9rocsparseL18bsrxmvn_3x3_kernelILj256ELj64EfliDF16_DF16_fEEvT3_20rocsparse_direction_NS_24const_host_device_scalarIT1_EES1_PKS1_PKT2_SA_S7_PKT4_PKT5_S5_PT6_21rocsparse_index_base_b,@function
_ZN9rocsparseL18bsrxmvn_3x3_kernelILj256ELj64EfliDF16_DF16_fEEvT3_20rocsparse_direction_NS_24const_host_device_scalarIT1_EES1_PKS1_PKT2_SA_S7_PKT4_PKT5_S5_PT6_21rocsparse_index_base_b: ; @_ZN9rocsparseL18bsrxmvn_3x3_kernelILj256ELj64EfliDF16_DF16_fEEvT3_20rocsparse_direction_NS_24const_host_device_scalarIT1_EES1_PKS1_PKT2_SA_S7_PKT4_PKT5_S5_PT6_21rocsparse_index_base_b
; %bb.0:
	s_clause 0x2
	s_load_b64 s[16:17], s[0:1], 0x58
	s_load_b64 s[14:15], s[0:1], 0x8
	;; [unrolled: 1-line block ×3, first 2 shown]
	s_wait_kmcnt 0x0
	s_bitcmp1_b32 s17, 0
	s_cselect_b32 s2, -1, 0
	s_delay_alu instid0(SALU_CYCLE_1)
	s_and_b32 vcc_lo, exec_lo, s2
	s_xor_b32 s2, s2, -1
	s_cbranch_vccnz .LBB99_2
; %bb.1:
	s_load_b32 s14, s[14:15], 0x0
.LBB99_2:
	s_and_not1_b32 vcc_lo, exec_lo, s2
	s_cbranch_vccnz .LBB99_4
; %bb.3:
	s_load_b32 s12, s[12:13], 0x0
.LBB99_4:
	s_wait_kmcnt 0x0
	s_cmp_neq_f32 s14, 0
	s_mov_b32 s6, 0
	s_cselect_b32 s2, -1, 0
	s_cmp_neq_f32 s12, 1.0
	s_cselect_b32 s3, -1, 0
	s_delay_alu instid0(SALU_CYCLE_1) | instskip(NEXT) | instid1(SALU_CYCLE_1)
	s_or_b32 s2, s2, s3
	s_and_not1_b32 vcc_lo, exec_lo, s2
	s_cbranch_vccnz .LBB99_10
; %bb.5:
	s_clause 0x1
	s_load_b64 s[4:5], s[0:1], 0x18
	s_load_b64 s[2:3], s[0:1], 0x0
	v_lshrrev_b32_e32 v1, 6, v0
	s_delay_alu instid0(VALU_DEP_1)
	v_lshl_or_b32 v1, ttmp9, 2, v1
	s_wait_kmcnt 0x0
	s_cmp_lg_u64 s[4:5], 0
	s_cbranch_scc0 .LBB99_11
; %bb.6:
	s_load_b32 s6, s[0:1], 0x10
	s_mov_b32 s7, 0
                                        ; implicit-def: $vgpr2
	s_wait_kmcnt 0x0
	v_cmp_gt_i32_e32 vcc_lo, s6, v1
	s_mov_b32 s6, 0
	s_and_saveexec_b32 s8, vcc_lo
	s_delay_alu instid0(SALU_CYCLE_1)
	s_xor_b32 s8, exec_lo, s8
	s_cbranch_execz .LBB99_8
; %bb.7:
	v_ashrrev_i32_e32 v2, 31, v1
	s_mov_b32 s6, exec_lo
	s_delay_alu instid0(VALU_DEP_1) | instskip(NEXT) | instid1(VALU_DEP_1)
	v_lshlrev_b64_e32 v[2:3], 2, v[1:2]
	v_add_co_u32 v2, vcc_lo, s4, v2
	s_delay_alu instid0(VALU_DEP_1)
	v_add_co_ci_u32_e64 v3, null, s5, v3, vcc_lo
	global_load_b32 v2, v[2:3], off
	s_wait_loadcnt 0x0
	v_subrev_nc_u32_e32 v2, s16, v2
.LBB99_8:
	s_or_b32 exec_lo, exec_lo, s8
	s_delay_alu instid0(SALU_CYCLE_1)
	s_and_b32 vcc_lo, exec_lo, s7
	s_wait_alu 0xfffe
	s_cbranch_vccz .LBB99_12
.LBB99_9:
	v_cmp_gt_i32_e32 vcc_lo, s2, v1
	s_and_not1_b32 s2, s6, exec_lo
	s_and_b32 s4, vcc_lo, exec_lo
	s_wait_alu 0xfffe
	s_or_b32 s6, s2, s4
	s_wait_alu 0xfffe
	s_and_saveexec_b32 s2, s6
	s_cbranch_execnz .LBB99_13
.LBB99_10:
	s_endpgm
.LBB99_11:
                                        ; implicit-def: $vgpr2
	s_cbranch_execnz .LBB99_9
.LBB99_12:
	v_mov_b32_e32 v1, v2
	s_and_saveexec_b32 s2, s6
	s_cbranch_execz .LBB99_10
.LBB99_13:
	s_load_b256 s[4:11], s[0:1], 0x20
	s_delay_alu instid0(VALU_DEP_1) | instskip(SKIP_2) | instid1(VALU_DEP_3)
	v_ashrrev_i32_e32 v2, 31, v1
	v_and_b32_e32 v0, 63, v0
	v_mov_b32_e32 v14, 0
	v_lshlrev_b64_e32 v[2:3], 3, v[1:2]
	s_wait_kmcnt 0x0
	s_delay_alu instid0(VALU_DEP_1) | instskip(SKIP_1) | instid1(VALU_DEP_2)
	v_add_co_u32 v4, vcc_lo, s4, v2
	s_wait_alu 0xfffd
	v_add_co_ci_u32_e64 v5, null, s5, v3, vcc_lo
	v_add_co_u32 v2, vcc_lo, s6, v2
	s_wait_alu 0xfffd
	v_add_co_ci_u32_e64 v3, null, s7, v3, vcc_lo
	global_load_b64 v[6:7], v[4:5], off
	v_add_co_u32 v4, vcc_lo, v4, 8
	s_wait_alu 0xfffd
	v_add_co_ci_u32_e64 v5, null, 0, v5, vcc_lo
	s_cmp_eq_u64 s[6:7], 0
	s_load_b64 s[4:5], s[0:1], 0x40
	s_cselect_b32 vcc_lo, -1, 0
	s_cmp_eq_u32 s3, 1
	s_wait_alu 0xfffe
	v_dual_cndmask_b32 v3, v3, v5 :: v_dual_cndmask_b32 v2, v2, v4
	global_load_b64 v[8:9], v[2:3], off
	s_wait_loadcnt 0x1
	v_sub_co_u32 v2, vcc_lo, v6, s16
	s_wait_alu 0xfffd
	v_subrev_co_ci_u32_e64 v3, null, 0, v7, vcc_lo
	s_delay_alu instid0(VALU_DEP_2) | instskip(SKIP_1) | instid1(VALU_DEP_2)
	v_add_co_u32 v2, vcc_lo, v2, v0
	s_wait_alu 0xfffd
	v_add_co_ci_u32_e64 v3, null, 0, v3, vcc_lo
	s_delay_alu instid0(VALU_DEP_2) | instskip(NEXT) | instid1(VALU_DEP_1)
	v_mad_co_u64_u32 v[4:5], null, v2, 18, s[10:11]
	v_mad_co_u64_u32 v[5:6], null, v3, 18, v[5:6]
	s_wait_loadcnt 0x0
	v_sub_co_u32 v6, vcc_lo, v8, s16
	s_wait_alu 0xfffd
	v_subrev_co_ci_u32_e64 v7, null, 0, v9, vcc_lo
	s_delay_alu instid0(VALU_DEP_1)
	v_cmp_lt_i64_e64 s2, v[2:3], v[6:7]
	s_cbranch_scc1 .LBB99_19
; %bb.14:
	v_dual_mov_b32 v15, 0 :: v_dual_mov_b32 v16, 0
	s_and_saveexec_b32 s6, s2
	s_cbranch_execz .LBB99_18
; %bb.15:
	v_lshlrev_b64_e32 v[10:11], 2, v[2:3]
	v_dual_mov_b32 v14, 0 :: v_dual_mov_b32 v9, v5
	v_dual_mov_b32 v8, v4 :: v_dual_mov_b32 v13, v3
	;; [unrolled: 1-line block ×3, first 2 shown]
	s_delay_alu instid0(VALU_DEP_4)
	v_add_co_u32 v10, vcc_lo, s8, v10
	s_wait_alu 0xfffd
	v_add_co_ci_u32_e64 v11, null, s9, v11, vcc_lo
	v_mov_b32_e32 v16, 0
	s_mov_b32 s7, 0
.LBB99_16:                              ; =>This Inner Loop Header: Depth=1
	global_load_b32 v17, v[10:11], off
	s_wait_loadcnt 0x0
	v_subrev_nc_u32_e32 v17, s16, v17
	s_delay_alu instid0(VALU_DEP_1) | instskip(NEXT) | instid1(VALU_DEP_1)
	v_lshl_add_u32 v17, v17, 1, v17
	v_ashrrev_i32_e32 v18, 31, v17
	s_delay_alu instid0(VALU_DEP_1) | instskip(SKIP_1) | instid1(VALU_DEP_1)
	v_lshlrev_b64_e32 v[17:18], 1, v[17:18]
	s_wait_kmcnt 0x0
	v_add_co_u32 v21, vcc_lo, s4, v17
	s_wait_alu 0xfffd
	s_delay_alu instid0(VALU_DEP_2)
	v_add_co_ci_u32_e64 v22, null, s5, v18, vcc_lo
	global_load_b128 v[17:20], v[8:9], off
	s_clause 0x1
	global_load_b32 v23, v[21:22], off
	global_load_u16 v21, v[21:22], off offset:4
	global_load_u16 v22, v[8:9], off offset:16
	v_add_co_u32 v8, vcc_lo, 0x480, v8
	s_wait_alu 0xfffd
	v_add_co_ci_u32_e64 v9, null, 0, v9, vcc_lo
	v_add_co_u32 v12, vcc_lo, v12, 64
	s_wait_alu 0xfffd
	v_add_co_ci_u32_e64 v13, null, 0, v13, vcc_lo
	;; [unrolled: 3-line block ×3, first 2 shown]
	s_delay_alu instid0(VALU_DEP_3)
	v_cmp_ge_i64_e64 s3, v[12:13], v[6:7]
	s_wait_alu 0xfffe
	s_or_b32 s7, s3, s7
	s_wait_loadcnt 0x2
	v_fma_mix_f32 v16, v17, v23, v16 op_sel_hi:[1,1,0]
	v_fma_mix_f32 v15, v18, v23, v15 op_sel:[1,0,0] op_sel_hi:[1,1,0]
	v_fma_mix_f32 v14, v20, v23, v14 op_sel_hi:[1,1,0]
	s_delay_alu instid0(VALU_DEP_3) | instskip(NEXT) | instid1(VALU_DEP_3)
	v_fma_mix_f32 v16, v17, v23, v16 op_sel:[1,1,0] op_sel_hi:[1,1,0]
	v_fma_mix_f32 v15, v19, v23, v15 op_sel:[0,1,0] op_sel_hi:[1,1,0]
	s_delay_alu instid0(VALU_DEP_3) | instskip(SKIP_1) | instid1(VALU_DEP_3)
	v_fma_mix_f32 v14, v20, v23, v14 op_sel:[1,1,0] op_sel_hi:[1,1,0]
	s_wait_loadcnt 0x1
	v_fma_mix_f32 v16, v18, v21, v16 op_sel_hi:[1,1,0]
	s_delay_alu instid0(VALU_DEP_3)
	v_fma_mix_f32 v15, v19, v21, v15 op_sel:[1,0,0] op_sel_hi:[1,1,0]
	s_wait_loadcnt 0x0
	v_fma_mix_f32 v14, v22, v21, v14 op_sel_hi:[1,1,0]
	s_wait_alu 0xfffe
	s_and_not1_b32 exec_lo, exec_lo, s7
	s_cbranch_execnz .LBB99_16
; %bb.17:
	s_or_b32 exec_lo, exec_lo, s7
.LBB99_18:
	s_wait_alu 0xfffe
	s_or_b32 exec_lo, exec_lo, s6
	s_cbranch_execz .LBB99_20
	s_branch .LBB99_25
.LBB99_19:
                                        ; implicit-def: $vgpr14
                                        ; implicit-def: $vgpr15
                                        ; implicit-def: $vgpr16
.LBB99_20:
	v_dual_mov_b32 v14, 0 :: v_dual_mov_b32 v15, 0
	v_mov_b32_e32 v16, 0
	s_and_saveexec_b32 s3, s2
	s_cbranch_execz .LBB99_24
; %bb.21:
	v_lshlrev_b64_e32 v[8:9], 2, v[2:3]
	v_dual_mov_b32 v14, 0 :: v_dual_mov_b32 v15, 0
	v_mov_b32_e32 v16, 0
	s_mov_b32 s6, 0
	s_delay_alu instid0(VALU_DEP_3)
	v_add_co_u32 v8, vcc_lo, s8, v8
	s_wait_alu 0xfffd
	v_add_co_ci_u32_e64 v9, null, s9, v9, vcc_lo
.LBB99_22:                              ; =>This Inner Loop Header: Depth=1
	global_load_b32 v10, v[8:9], off
	s_wait_loadcnt 0x0
	v_subrev_nc_u32_e32 v10, s16, v10
	s_delay_alu instid0(VALU_DEP_1) | instskip(NEXT) | instid1(VALU_DEP_1)
	v_lshl_add_u32 v10, v10, 1, v10
	v_ashrrev_i32_e32 v11, 31, v10
	s_delay_alu instid0(VALU_DEP_1) | instskip(SKIP_1) | instid1(VALU_DEP_1)
	v_lshlrev_b64_e32 v[10:11], 1, v[10:11]
	s_wait_kmcnt 0x0
	v_add_co_u32 v17, vcc_lo, s4, v10
	s_wait_alu 0xfffd
	s_delay_alu instid0(VALU_DEP_2)
	v_add_co_ci_u32_e64 v18, null, s5, v11, vcc_lo
	global_load_b128 v[10:13], v[4:5], off
	s_clause 0x1
	global_load_b32 v19, v[17:18], off
	global_load_u16 v17, v[17:18], off offset:4
	global_load_u16 v18, v[4:5], off offset:16
	v_add_co_u32 v4, vcc_lo, 0x480, v4
	s_wait_alu 0xfffd
	v_add_co_ci_u32_e64 v5, null, 0, v5, vcc_lo
	v_add_co_u32 v2, vcc_lo, v2, 64
	s_wait_alu 0xfffd
	v_add_co_ci_u32_e64 v3, null, 0, v3, vcc_lo
	;; [unrolled: 3-line block ×3, first 2 shown]
	s_delay_alu instid0(VALU_DEP_3)
	v_cmp_ge_i64_e64 s2, v[2:3], v[6:7]
	s_wait_alu 0xfffe
	s_or_b32 s6, s2, s6
	s_wait_loadcnt 0x2
	v_fma_mix_f32 v16, v10, v19, v16 op_sel_hi:[1,1,0]
	v_fma_mix_f32 v10, v10, v19, v15 op_sel:[1,0,0] op_sel_hi:[1,1,0]
	v_fma_mix_f32 v14, v11, v19, v14 op_sel_hi:[1,1,0]
	s_delay_alu instid0(VALU_DEP_3) | instskip(NEXT) | instid1(VALU_DEP_3)
	v_fma_mix_f32 v11, v11, v19, v16 op_sel:[1,1,0] op_sel_hi:[1,1,0]
	v_fma_mix_f32 v10, v12, v19, v10 op_sel:[0,1,0] op_sel_hi:[1,1,0]
	s_delay_alu instid0(VALU_DEP_3) | instskip(SKIP_1) | instid1(VALU_DEP_3)
	v_fma_mix_f32 v12, v12, v19, v14 op_sel:[1,1,0] op_sel_hi:[1,1,0]
	s_wait_loadcnt 0x1
	v_fma_mix_f32 v16, v13, v17, v11 op_sel_hi:[1,1,0]
	s_delay_alu instid0(VALU_DEP_3)
	v_fma_mix_f32 v15, v13, v17, v10 op_sel:[1,0,0] op_sel_hi:[1,1,0]
	s_wait_loadcnt 0x0
	v_fma_mix_f32 v14, v18, v17, v12 op_sel_hi:[1,1,0]
	s_wait_alu 0xfffe
	s_and_not1_b32 exec_lo, exec_lo, s6
	s_cbranch_execnz .LBB99_22
; %bb.23:
	s_or_b32 exec_lo, exec_lo, s6
.LBB99_24:
	s_wait_alu 0xfffe
	s_or_b32 exec_lo, exec_lo, s3
.LBB99_25:
	v_mbcnt_lo_u32_b32 v2, -1, 0
	s_mov_b32 s2, -1
	s_delay_alu instid0(VALU_DEP_1) | instskip(SKIP_2) | instid1(VALU_DEP_3)
	v_or_b32_e32 v3, 32, v2
	v_xor_b32_e32 v6, 16, v2
	v_xor_b32_e32 v9, 8, v2
	v_cmp_gt_i32_e32 vcc_lo, 32, v3
	s_wait_alu 0xfffd
	v_cndmask_b32_e32 v3, v2, v3, vcc_lo
	v_cmp_gt_i32_e32 vcc_lo, 32, v6
	s_wait_alu 0xfffd
	v_cndmask_b32_e32 v6, v2, v6, vcc_lo
	v_cmp_gt_i32_e32 vcc_lo, 32, v9
	s_delay_alu instid0(VALU_DEP_2)
	v_lshlrev_b32_e32 v6, 2, v6
	v_lshlrev_b32_e32 v3, 2, v3
	ds_bpermute_b32 v4, v3, v16
	s_wait_dscnt 0x0
	v_add_f32_e32 v4, v16, v4
	ds_bpermute_b32 v5, v3, v15
	ds_bpermute_b32 v3, v3, v14
	;; [unrolled: 1-line block ×3, first 2 shown]
	s_wait_alu 0xfffd
	v_cndmask_b32_e32 v9, v2, v9, vcc_lo
	s_wait_dscnt 0x0
	v_dual_add_f32 v5, v15, v5 :: v_dual_add_f32 v4, v4, v7
	v_add_f32_e32 v3, v14, v3
	ds_bpermute_b32 v8, v6, v5
	v_lshlrev_b32_e32 v9, 2, v9
	ds_bpermute_b32 v6, v6, v3
	s_wait_dscnt 0x1
	v_add_f32_e32 v5, v5, v8
	s_wait_dscnt 0x0
	v_add_f32_e32 v3, v3, v6
	ds_bpermute_b32 v6, v9, v4
	ds_bpermute_b32 v7, v9, v5
	;; [unrolled: 1-line block ×3, first 2 shown]
	v_xor_b32_e32 v9, 4, v2
	s_delay_alu instid0(VALU_DEP_1)
	v_cmp_gt_i32_e32 vcc_lo, 32, v9
	s_wait_dscnt 0x1
	v_dual_add_f32 v4, v4, v6 :: v_dual_add_f32 v5, v5, v7
	s_wait_dscnt 0x0
	v_add_f32_e32 v3, v3, v8
	s_wait_alu 0xfffd
	v_cndmask_b32_e32 v9, v2, v9, vcc_lo
	s_delay_alu instid0(VALU_DEP_1) | instskip(SKIP_4) | instid1(VALU_DEP_1)
	v_lshlrev_b32_e32 v9, 2, v9
	ds_bpermute_b32 v6, v9, v4
	ds_bpermute_b32 v7, v9, v5
	;; [unrolled: 1-line block ×3, first 2 shown]
	v_xor_b32_e32 v9, 2, v2
	v_cmp_gt_i32_e32 vcc_lo, 32, v9
	s_wait_alu 0xfffd
	v_cndmask_b32_e32 v9, v2, v9, vcc_lo
	s_wait_dscnt 0x2
	s_delay_alu instid0(VALU_DEP_1)
	v_dual_add_f32 v4, v4, v6 :: v_dual_lshlrev_b32 v9, 2, v9
	s_wait_dscnt 0x0
	v_dual_add_f32 v5, v5, v7 :: v_dual_add_f32 v6, v3, v8
	ds_bpermute_b32 v3, v9, v4
	ds_bpermute_b32 v7, v9, v5
	;; [unrolled: 1-line block ×3, first 2 shown]
	v_xor_b32_e32 v9, 1, v2
	s_delay_alu instid0(VALU_DEP_1) | instskip(SKIP_4) | instid1(VALU_DEP_2)
	v_cmp_gt_i32_e32 vcc_lo, 32, v9
	s_wait_alu 0xfffd
	v_cndmask_b32_e32 v2, v2, v9, vcc_lo
	v_cmp_eq_u32_e32 vcc_lo, 63, v0
	s_wait_dscnt 0x2
	v_dual_add_f32 v2, v4, v3 :: v_dual_lshlrev_b32 v9, 2, v2
	s_wait_dscnt 0x0
	v_dual_add_f32 v3, v5, v7 :: v_dual_add_f32 v4, v6, v8
	ds_bpermute_b32 v5, v9, v2
	ds_bpermute_b32 v6, v9, v3
	;; [unrolled: 1-line block ×3, first 2 shown]
	s_and_b32 exec_lo, exec_lo, vcc_lo
	s_cbranch_execz .LBB99_10
; %bb.26:
	s_load_b64 s[0:1], s[0:1], 0x50
	s_wait_dscnt 0x2
	v_add_f32_e32 v0, v2, v5
	s_wait_dscnt 0x1
	v_add_f32_e32 v2, v3, v6
	;; [unrolled: 2-line block ×3, first 2 shown]
	v_lshl_add_u32 v3, v1, 1, v1
	s_cmp_eq_f32 s12, 0
	v_dual_mul_f32 v1, s14, v2 :: v_dual_mul_f32 v0, s14, v0
	s_delay_alu instid0(VALU_DEP_3) | instskip(NEXT) | instid1(VALU_DEP_3)
	v_mul_f32_e32 v2, s14, v4
	v_ashrrev_i32_e32 v4, 31, v3
	s_cbranch_scc0 .LBB99_28
; %bb.27:
	s_delay_alu instid0(VALU_DEP_1) | instskip(SKIP_2) | instid1(VALU_DEP_1)
	v_lshlrev_b64_e32 v[5:6], 2, v[3:4]
	s_mov_b32 s2, 0
	s_wait_kmcnt 0x0
	v_add_co_u32 v5, vcc_lo, s0, v5
	s_wait_alu 0xfffd
	s_delay_alu instid0(VALU_DEP_2)
	v_add_co_ci_u32_e64 v6, null, s1, v6, vcc_lo
	global_store_b96 v[5:6], v[0:2], off
.LBB99_28:
	s_wait_alu 0xfffe
	s_and_not1_b32 vcc_lo, exec_lo, s2
	s_wait_alu 0xfffe
	s_cbranch_vccnz .LBB99_10
; %bb.29:
	v_lshlrev_b64_e32 v[3:4], 2, v[3:4]
	s_wait_kmcnt 0x0
	s_delay_alu instid0(VALU_DEP_1) | instskip(SKIP_1) | instid1(VALU_DEP_2)
	v_add_co_u32 v6, vcc_lo, s0, v3
	s_wait_alu 0xfffd
	v_add_co_ci_u32_e64 v7, null, s1, v4, vcc_lo
	global_load_b96 v[3:5], v[6:7], off
	s_wait_loadcnt 0x0
	v_dual_fmac_f32 v0, s12, v3 :: v_dual_fmac_f32 v1, s12, v4
	v_fmac_f32_e32 v2, s12, v5
	global_store_b96 v[6:7], v[0:2], off
	s_endpgm
	.section	.rodata,"a",@progbits
	.p2align	6, 0x0
	.amdhsa_kernel _ZN9rocsparseL18bsrxmvn_3x3_kernelILj256ELj64EfliDF16_DF16_fEEvT3_20rocsparse_direction_NS_24const_host_device_scalarIT1_EES1_PKS1_PKT2_SA_S7_PKT4_PKT5_S5_PT6_21rocsparse_index_base_b
		.amdhsa_group_segment_fixed_size 0
		.amdhsa_private_segment_fixed_size 0
		.amdhsa_kernarg_size 96
		.amdhsa_user_sgpr_count 2
		.amdhsa_user_sgpr_dispatch_ptr 0
		.amdhsa_user_sgpr_queue_ptr 0
		.amdhsa_user_sgpr_kernarg_segment_ptr 1
		.amdhsa_user_sgpr_dispatch_id 0
		.amdhsa_user_sgpr_private_segment_size 0
		.amdhsa_wavefront_size32 1
		.amdhsa_uses_dynamic_stack 0
		.amdhsa_enable_private_segment 0
		.amdhsa_system_sgpr_workgroup_id_x 1
		.amdhsa_system_sgpr_workgroup_id_y 0
		.amdhsa_system_sgpr_workgroup_id_z 0
		.amdhsa_system_sgpr_workgroup_info 0
		.amdhsa_system_vgpr_workitem_id 0
		.amdhsa_next_free_vgpr 24
		.amdhsa_next_free_sgpr 18
		.amdhsa_reserve_vcc 1
		.amdhsa_float_round_mode_32 0
		.amdhsa_float_round_mode_16_64 0
		.amdhsa_float_denorm_mode_32 3
		.amdhsa_float_denorm_mode_16_64 3
		.amdhsa_fp16_overflow 0
		.amdhsa_workgroup_processor_mode 1
		.amdhsa_memory_ordered 1
		.amdhsa_forward_progress 1
		.amdhsa_inst_pref_size 16
		.amdhsa_round_robin_scheduling 0
		.amdhsa_exception_fp_ieee_invalid_op 0
		.amdhsa_exception_fp_denorm_src 0
		.amdhsa_exception_fp_ieee_div_zero 0
		.amdhsa_exception_fp_ieee_overflow 0
		.amdhsa_exception_fp_ieee_underflow 0
		.amdhsa_exception_fp_ieee_inexact 0
		.amdhsa_exception_int_div_zero 0
	.end_amdhsa_kernel
	.section	.text._ZN9rocsparseL18bsrxmvn_3x3_kernelILj256ELj64EfliDF16_DF16_fEEvT3_20rocsparse_direction_NS_24const_host_device_scalarIT1_EES1_PKS1_PKT2_SA_S7_PKT4_PKT5_S5_PT6_21rocsparse_index_base_b,"axG",@progbits,_ZN9rocsparseL18bsrxmvn_3x3_kernelILj256ELj64EfliDF16_DF16_fEEvT3_20rocsparse_direction_NS_24const_host_device_scalarIT1_EES1_PKS1_PKT2_SA_S7_PKT4_PKT5_S5_PT6_21rocsparse_index_base_b,comdat
.Lfunc_end99:
	.size	_ZN9rocsparseL18bsrxmvn_3x3_kernelILj256ELj64EfliDF16_DF16_fEEvT3_20rocsparse_direction_NS_24const_host_device_scalarIT1_EES1_PKS1_PKT2_SA_S7_PKT4_PKT5_S5_PT6_21rocsparse_index_base_b, .Lfunc_end99-_ZN9rocsparseL18bsrxmvn_3x3_kernelILj256ELj64EfliDF16_DF16_fEEvT3_20rocsparse_direction_NS_24const_host_device_scalarIT1_EES1_PKS1_PKT2_SA_S7_PKT4_PKT5_S5_PT6_21rocsparse_index_base_b
                                        ; -- End function
	.set _ZN9rocsparseL18bsrxmvn_3x3_kernelILj256ELj64EfliDF16_DF16_fEEvT3_20rocsparse_direction_NS_24const_host_device_scalarIT1_EES1_PKS1_PKT2_SA_S7_PKT4_PKT5_S5_PT6_21rocsparse_index_base_b.num_vgpr, 24
	.set _ZN9rocsparseL18bsrxmvn_3x3_kernelILj256ELj64EfliDF16_DF16_fEEvT3_20rocsparse_direction_NS_24const_host_device_scalarIT1_EES1_PKS1_PKT2_SA_S7_PKT4_PKT5_S5_PT6_21rocsparse_index_base_b.num_agpr, 0
	.set _ZN9rocsparseL18bsrxmvn_3x3_kernelILj256ELj64EfliDF16_DF16_fEEvT3_20rocsparse_direction_NS_24const_host_device_scalarIT1_EES1_PKS1_PKT2_SA_S7_PKT4_PKT5_S5_PT6_21rocsparse_index_base_b.numbered_sgpr, 18
	.set _ZN9rocsparseL18bsrxmvn_3x3_kernelILj256ELj64EfliDF16_DF16_fEEvT3_20rocsparse_direction_NS_24const_host_device_scalarIT1_EES1_PKS1_PKT2_SA_S7_PKT4_PKT5_S5_PT6_21rocsparse_index_base_b.num_named_barrier, 0
	.set _ZN9rocsparseL18bsrxmvn_3x3_kernelILj256ELj64EfliDF16_DF16_fEEvT3_20rocsparse_direction_NS_24const_host_device_scalarIT1_EES1_PKS1_PKT2_SA_S7_PKT4_PKT5_S5_PT6_21rocsparse_index_base_b.private_seg_size, 0
	.set _ZN9rocsparseL18bsrxmvn_3x3_kernelILj256ELj64EfliDF16_DF16_fEEvT3_20rocsparse_direction_NS_24const_host_device_scalarIT1_EES1_PKS1_PKT2_SA_S7_PKT4_PKT5_S5_PT6_21rocsparse_index_base_b.uses_vcc, 1
	.set _ZN9rocsparseL18bsrxmvn_3x3_kernelILj256ELj64EfliDF16_DF16_fEEvT3_20rocsparse_direction_NS_24const_host_device_scalarIT1_EES1_PKS1_PKT2_SA_S7_PKT4_PKT5_S5_PT6_21rocsparse_index_base_b.uses_flat_scratch, 0
	.set _ZN9rocsparseL18bsrxmvn_3x3_kernelILj256ELj64EfliDF16_DF16_fEEvT3_20rocsparse_direction_NS_24const_host_device_scalarIT1_EES1_PKS1_PKT2_SA_S7_PKT4_PKT5_S5_PT6_21rocsparse_index_base_b.has_dyn_sized_stack, 0
	.set _ZN9rocsparseL18bsrxmvn_3x3_kernelILj256ELj64EfliDF16_DF16_fEEvT3_20rocsparse_direction_NS_24const_host_device_scalarIT1_EES1_PKS1_PKT2_SA_S7_PKT4_PKT5_S5_PT6_21rocsparse_index_base_b.has_recursion, 0
	.set _ZN9rocsparseL18bsrxmvn_3x3_kernelILj256ELj64EfliDF16_DF16_fEEvT3_20rocsparse_direction_NS_24const_host_device_scalarIT1_EES1_PKS1_PKT2_SA_S7_PKT4_PKT5_S5_PT6_21rocsparse_index_base_b.has_indirect_call, 0
	.section	.AMDGPU.csdata,"",@progbits
; Kernel info:
; codeLenInByte = 2032
; TotalNumSgprs: 20
; NumVgprs: 24
; ScratchSize: 0
; MemoryBound: 0
; FloatMode: 240
; IeeeMode: 1
; LDSByteSize: 0 bytes/workgroup (compile time only)
; SGPRBlocks: 0
; VGPRBlocks: 2
; NumSGPRsForWavesPerEU: 20
; NumVGPRsForWavesPerEU: 24
; Occupancy: 16
; WaveLimiterHint : 1
; COMPUTE_PGM_RSRC2:SCRATCH_EN: 0
; COMPUTE_PGM_RSRC2:USER_SGPR: 2
; COMPUTE_PGM_RSRC2:TRAP_HANDLER: 0
; COMPUTE_PGM_RSRC2:TGID_X_EN: 1
; COMPUTE_PGM_RSRC2:TGID_Y_EN: 0
; COMPUTE_PGM_RSRC2:TGID_Z_EN: 0
; COMPUTE_PGM_RSRC2:TIDIG_COMP_CNT: 0
	.section	.text._ZN9rocsparseL18bsrxmvn_3x3_kernelILj256ELj4EfllDF16_DF16_fEEvT3_20rocsparse_direction_NS_24const_host_device_scalarIT1_EES1_PKS1_PKT2_SA_S7_PKT4_PKT5_S5_PT6_21rocsparse_index_base_b,"axG",@progbits,_ZN9rocsparseL18bsrxmvn_3x3_kernelILj256ELj4EfllDF16_DF16_fEEvT3_20rocsparse_direction_NS_24const_host_device_scalarIT1_EES1_PKS1_PKT2_SA_S7_PKT4_PKT5_S5_PT6_21rocsparse_index_base_b,comdat
	.globl	_ZN9rocsparseL18bsrxmvn_3x3_kernelILj256ELj4EfllDF16_DF16_fEEvT3_20rocsparse_direction_NS_24const_host_device_scalarIT1_EES1_PKS1_PKT2_SA_S7_PKT4_PKT5_S5_PT6_21rocsparse_index_base_b ; -- Begin function _ZN9rocsparseL18bsrxmvn_3x3_kernelILj256ELj4EfllDF16_DF16_fEEvT3_20rocsparse_direction_NS_24const_host_device_scalarIT1_EES1_PKS1_PKT2_SA_S7_PKT4_PKT5_S5_PT6_21rocsparse_index_base_b
	.p2align	8
	.type	_ZN9rocsparseL18bsrxmvn_3x3_kernelILj256ELj4EfllDF16_DF16_fEEvT3_20rocsparse_direction_NS_24const_host_device_scalarIT1_EES1_PKS1_PKT2_SA_S7_PKT4_PKT5_S5_PT6_21rocsparse_index_base_b,@function
_ZN9rocsparseL18bsrxmvn_3x3_kernelILj256ELj4EfllDF16_DF16_fEEvT3_20rocsparse_direction_NS_24const_host_device_scalarIT1_EES1_PKS1_PKT2_SA_S7_PKT4_PKT5_S5_PT6_21rocsparse_index_base_b: ; @_ZN9rocsparseL18bsrxmvn_3x3_kernelILj256ELj4EfllDF16_DF16_fEEvT3_20rocsparse_direction_NS_24const_host_device_scalarIT1_EES1_PKS1_PKT2_SA_S7_PKT4_PKT5_S5_PT6_21rocsparse_index_base_b
; %bb.0:
	s_clause 0x2
	s_load_b64 s[2:3], s[0:1], 0x60
	s_load_b128 s[12:15], s[0:1], 0x10
	s_load_b64 s[16:17], s[0:1], 0x50
	s_wait_kmcnt 0x0
	s_bitcmp1_b32 s3, 0
	s_cselect_b32 s3, -1, 0
	s_delay_alu instid0(SALU_CYCLE_1)
	s_and_b32 vcc_lo, exec_lo, s3
	s_xor_b32 s3, s3, -1
	s_cbranch_vccnz .LBB100_2
; %bb.1:
	s_load_b32 s12, s[12:13], 0x0
.LBB100_2:
	s_and_not1_b32 vcc_lo, exec_lo, s3
	s_cbranch_vccnz .LBB100_4
; %bb.3:
	s_load_b32 s16, s[16:17], 0x0
.LBB100_4:
	s_wait_kmcnt 0x0
	s_cmp_neq_f32 s12, 0
	s_mov_b32 s6, 0
	s_cselect_b32 s3, -1, 0
	s_cmp_neq_f32 s16, 1.0
	s_cselect_b32 s4, -1, 0
	s_delay_alu instid0(SALU_CYCLE_1) | instskip(NEXT) | instid1(SALU_CYCLE_1)
	s_or_b32 s3, s3, s4
	s_and_not1_b32 vcc_lo, exec_lo, s3
	s_cbranch_vccnz .LBB100_10
; %bb.5:
	s_load_b64 s[4:5], s[0:1], 0x20
	v_lshrrev_b32_e32 v1, 2, v0
	v_mov_b32_e32 v6, 0
	s_delay_alu instid0(VALU_DEP_2)
	v_lshl_or_b32 v5, ttmp9, 6, v1
	s_wait_kmcnt 0x0
	s_cmp_lg_u64 s[4:5], 0
	s_cbranch_scc0 .LBB100_11
; %bb.6:
	s_mov_b32 s7, 0
                                        ; implicit-def: $vgpr3_vgpr4
                                        ; implicit-def: $vgpr1_vgpr2
	s_mov_b32 s3, exec_lo
	v_cmpx_gt_i64_e64 s[14:15], v[5:6]
	s_xor_b32 s8, exec_lo, s3
	s_cbranch_execz .LBB100_8
; %bb.7:
	v_lshlrev_b64_e32 v[1:2], 3, v[5:6]
	s_mov_b32 s3, 0
	s_mov_b32 s6, exec_lo
	s_delay_alu instid0(VALU_DEP_1) | instskip(NEXT) | instid1(VALU_DEP_1)
	v_add_co_u32 v1, vcc_lo, s4, v1
	v_add_co_ci_u32_e64 v2, null, s5, v2, vcc_lo
	global_load_b64 v[1:2], v[1:2], off
	s_wait_loadcnt 0x0
	v_sub_co_u32 v3, vcc_lo, v1, s2
	s_wait_alu 0xfffd
	v_subrev_co_ci_u32_e64 v4, null, 0, v2, vcc_lo
	v_dual_mov_b32 v1, s2 :: v_dual_mov_b32 v2, s3
.LBB100_8:
	s_or_b32 exec_lo, exec_lo, s8
	s_delay_alu instid0(SALU_CYCLE_1)
	s_and_b32 vcc_lo, exec_lo, s7
	s_wait_alu 0xfffe
	s_cbranch_vccnz .LBB100_12
.LBB100_9:
	s_and_saveexec_b32 s2, s6
	s_cbranch_execnz .LBB100_15
.LBB100_10:
	s_endpgm
.LBB100_11:
                                        ; implicit-def: $vgpr3_vgpr4
                                        ; implicit-def: $vgpr1_vgpr2
	s_cbranch_execz .LBB100_9
.LBB100_12:
	s_load_b64 s[4:5], s[0:1], 0x0
	s_wait_kmcnt 0x0
	v_cmp_gt_i64_e32 vcc_lo, s[4:5], v[5:6]
	s_and_saveexec_b32 s4, vcc_lo
; %bb.13:
	s_mov_b32 s3, 0
	s_or_b32 s6, s6, exec_lo
; %bb.14:
	s_wait_alu 0xfffe
	s_or_b32 exec_lo, exec_lo, s4
	v_dual_mov_b32 v1, s2 :: v_dual_mov_b32 v2, s3
	v_dual_mov_b32 v3, v5 :: v_dual_mov_b32 v4, v6
	s_and_saveexec_b32 s2, s6
	s_cbranch_execz .LBB100_10
.LBB100_15:
	s_load_b256 s[4:11], s[0:1], 0x28
	s_delay_alu instid0(VALU_DEP_1) | instskip(SKIP_2) | instid1(VALU_DEP_2)
	v_lshlrev_b64_e32 v[5:6], 3, v[3:4]
	v_dual_mov_b32 v17, 0 :: v_dual_and_b32 v0, 3, v0
	s_wait_kmcnt 0x0
	v_add_co_u32 v7, vcc_lo, s4, v5
	s_wait_alu 0xfffd
	s_delay_alu instid0(VALU_DEP_3)
	v_add_co_ci_u32_e64 v8, null, s5, v6, vcc_lo
	v_add_co_u32 v5, vcc_lo, s6, v5
	s_wait_alu 0xfffd
	v_add_co_ci_u32_e64 v6, null, s7, v6, vcc_lo
	global_load_b64 v[9:10], v[7:8], off
	v_add_co_u32 v7, vcc_lo, v7, 8
	s_wait_alu 0xfffd
	v_add_co_ci_u32_e64 v8, null, 0, v8, vcc_lo
	s_cmp_eq_u64 s[6:7], 0
	s_cselect_b32 vcc_lo, -1, 0
	s_wait_alu 0xfffe
	v_dual_cndmask_b32 v6, v6, v8 :: v_dual_cndmask_b32 v5, v5, v7
	global_load_b64 v[11:12], v[5:6], off
	s_clause 0x1
	s_load_b32 s3, s[0:1], 0x8
	s_load_b64 s[4:5], s[0:1], 0x48
	s_wait_kmcnt 0x0
	s_cmp_eq_u32 s3, 1
	s_wait_loadcnt 0x1
	v_sub_co_u32 v5, vcc_lo, v9, v1
	s_wait_alu 0xfffd
	v_sub_co_ci_u32_e64 v6, null, v10, v2, vcc_lo
	s_delay_alu instid0(VALU_DEP_2) | instskip(SKIP_1) | instid1(VALU_DEP_2)
	v_add_co_u32 v5, vcc_lo, v5, v0
	s_wait_alu 0xfffd
	v_add_co_ci_u32_e64 v6, null, 0, v6, vcc_lo
	s_delay_alu instid0(VALU_DEP_2) | instskip(NEXT) | instid1(VALU_DEP_1)
	v_mad_co_u64_u32 v[7:8], null, v5, 18, s[10:11]
	v_mad_co_u64_u32 v[8:9], null, v6, 18, v[8:9]
	s_wait_loadcnt 0x0
	v_sub_co_u32 v9, vcc_lo, v11, v1
	s_wait_alu 0xfffd
	v_sub_co_ci_u32_e64 v10, null, v12, v2, vcc_lo
	s_delay_alu instid0(VALU_DEP_1)
	v_cmp_lt_i64_e64 s2, v[5:6], v[9:10]
	s_cbranch_scc1 .LBB100_21
; %bb.16:
	v_dual_mov_b32 v18, 0 :: v_dual_mov_b32 v19, 0
	s_and_saveexec_b32 s6, s2
	s_cbranch_execz .LBB100_20
; %bb.17:
	v_lshlrev_b64_e32 v[13:14], 3, v[5:6]
	v_dual_mov_b32 v17, 0 :: v_dual_mov_b32 v12, v8
	v_dual_mov_b32 v11, v7 :: v_dual_mov_b32 v16, v6
	;; [unrolled: 1-line block ×3, first 2 shown]
	s_delay_alu instid0(VALU_DEP_4)
	v_add_co_u32 v13, vcc_lo, s8, v13
	s_wait_alu 0xfffd
	v_add_co_ci_u32_e64 v14, null, s9, v14, vcc_lo
	v_mov_b32_e32 v19, 0
	s_mov_b32 s7, 0
.LBB100_18:                             ; =>This Inner Loop Header: Depth=1
	global_load_b64 v[20:21], v[13:14], off
	s_wait_loadcnt 0x0
	v_sub_co_u32 v20, vcc_lo, v20, v1
	s_wait_alu 0xfffd
	v_sub_co_ci_u32_e64 v21, null, v21, v2, vcc_lo
	s_delay_alu instid0(VALU_DEP_2) | instskip(NEXT) | instid1(VALU_DEP_1)
	v_mad_co_u64_u32 v[24:25], null, v20, 6, s[4:5]
	v_mov_b32_e32 v20, v25
	s_delay_alu instid0(VALU_DEP_1) | instskip(NEXT) | instid1(VALU_DEP_1)
	v_mad_co_u64_u32 v[20:21], null, v21, 6, v[20:21]
	v_mov_b32_e32 v25, v20
	global_load_b128 v[20:23], v[11:12], off
	s_clause 0x1
	global_load_b32 v26, v[24:25], off
	global_load_u16 v24, v[24:25], off offset:4
	global_load_u16 v25, v[11:12], off offset:16
	v_add_co_u32 v11, vcc_lo, 0x48, v11
	s_wait_alu 0xfffd
	v_add_co_ci_u32_e64 v12, null, 0, v12, vcc_lo
	v_add_co_u32 v15, vcc_lo, v15, 4
	s_wait_alu 0xfffd
	v_add_co_ci_u32_e64 v16, null, 0, v16, vcc_lo
	;; [unrolled: 3-line block ×3, first 2 shown]
	s_delay_alu instid0(VALU_DEP_3)
	v_cmp_ge_i64_e64 s3, v[15:16], v[9:10]
	s_wait_alu 0xfffe
	s_or_b32 s7, s3, s7
	s_wait_loadcnt 0x2
	v_fma_mix_f32 v19, v20, v26, v19 op_sel_hi:[1,1,0]
	v_fma_mix_f32 v18, v21, v26, v18 op_sel:[1,0,0] op_sel_hi:[1,1,0]
	v_fma_mix_f32 v17, v23, v26, v17 op_sel_hi:[1,1,0]
	s_delay_alu instid0(VALU_DEP_3) | instskip(NEXT) | instid1(VALU_DEP_3)
	v_fma_mix_f32 v19, v20, v26, v19 op_sel:[1,1,0] op_sel_hi:[1,1,0]
	v_fma_mix_f32 v18, v22, v26, v18 op_sel:[0,1,0] op_sel_hi:[1,1,0]
	s_delay_alu instid0(VALU_DEP_3) | instskip(SKIP_1) | instid1(VALU_DEP_3)
	v_fma_mix_f32 v17, v23, v26, v17 op_sel:[1,1,0] op_sel_hi:[1,1,0]
	s_wait_loadcnt 0x1
	v_fma_mix_f32 v19, v21, v24, v19 op_sel_hi:[1,1,0]
	s_delay_alu instid0(VALU_DEP_3)
	v_fma_mix_f32 v18, v22, v24, v18 op_sel:[1,0,0] op_sel_hi:[1,1,0]
	s_wait_loadcnt 0x0
	v_fma_mix_f32 v17, v25, v24, v17 op_sel_hi:[1,1,0]
	s_wait_alu 0xfffe
	s_and_not1_b32 exec_lo, exec_lo, s7
	s_cbranch_execnz .LBB100_18
; %bb.19:
	s_or_b32 exec_lo, exec_lo, s7
.LBB100_20:
	s_wait_alu 0xfffe
	s_or_b32 exec_lo, exec_lo, s6
	s_cbranch_execz .LBB100_22
	s_branch .LBB100_27
.LBB100_21:
                                        ; implicit-def: $vgpr17
                                        ; implicit-def: $vgpr18
                                        ; implicit-def: $vgpr19
.LBB100_22:
	v_dual_mov_b32 v17, 0 :: v_dual_mov_b32 v18, 0
	v_mov_b32_e32 v19, 0
	s_and_saveexec_b32 s3, s2
	s_cbranch_execz .LBB100_26
; %bb.23:
	v_lshlrev_b64_e32 v[11:12], 3, v[5:6]
	v_dual_mov_b32 v17, 0 :: v_dual_mov_b32 v18, 0
	v_mov_b32_e32 v19, 0
	s_mov_b32 s6, 0
	s_delay_alu instid0(VALU_DEP_3)
	v_add_co_u32 v11, vcc_lo, s8, v11
	s_wait_alu 0xfffd
	v_add_co_ci_u32_e64 v12, null, s9, v12, vcc_lo
.LBB100_24:                             ; =>This Inner Loop Header: Depth=1
	global_load_b64 v[13:14], v[11:12], off
	s_wait_loadcnt 0x0
	v_sub_co_u32 v13, vcc_lo, v13, v1
	s_wait_alu 0xfffd
	v_sub_co_ci_u32_e64 v14, null, v14, v2, vcc_lo
	s_delay_alu instid0(VALU_DEP_2) | instskip(NEXT) | instid1(VALU_DEP_1)
	v_mad_co_u64_u32 v[20:21], null, v13, 6, s[4:5]
	v_mov_b32_e32 v13, v21
	s_delay_alu instid0(VALU_DEP_1) | instskip(NEXT) | instid1(VALU_DEP_1)
	v_mad_co_u64_u32 v[13:14], null, v14, 6, v[13:14]
	v_mov_b32_e32 v21, v13
	global_load_b128 v[13:16], v[7:8], off
	s_clause 0x1
	global_load_b32 v22, v[20:21], off
	global_load_u16 v20, v[20:21], off offset:4
	global_load_u16 v21, v[7:8], off offset:16
	v_add_co_u32 v7, vcc_lo, 0x48, v7
	s_wait_alu 0xfffd
	v_add_co_ci_u32_e64 v8, null, 0, v8, vcc_lo
	v_add_co_u32 v5, vcc_lo, v5, 4
	s_wait_alu 0xfffd
	v_add_co_ci_u32_e64 v6, null, 0, v6, vcc_lo
	;; [unrolled: 3-line block ×3, first 2 shown]
	s_delay_alu instid0(VALU_DEP_3)
	v_cmp_ge_i64_e64 s2, v[5:6], v[9:10]
	s_wait_alu 0xfffe
	s_or_b32 s6, s2, s6
	s_wait_loadcnt 0x2
	v_fma_mix_f32 v19, v13, v22, v19 op_sel_hi:[1,1,0]
	v_fma_mix_f32 v13, v13, v22, v18 op_sel:[1,0,0] op_sel_hi:[1,1,0]
	v_fma_mix_f32 v17, v14, v22, v17 op_sel_hi:[1,1,0]
	s_delay_alu instid0(VALU_DEP_3) | instskip(NEXT) | instid1(VALU_DEP_3)
	v_fma_mix_f32 v14, v14, v22, v19 op_sel:[1,1,0] op_sel_hi:[1,1,0]
	v_fma_mix_f32 v13, v15, v22, v13 op_sel:[0,1,0] op_sel_hi:[1,1,0]
	s_delay_alu instid0(VALU_DEP_3) | instskip(SKIP_1) | instid1(VALU_DEP_3)
	v_fma_mix_f32 v15, v15, v22, v17 op_sel:[1,1,0] op_sel_hi:[1,1,0]
	s_wait_loadcnt 0x1
	v_fma_mix_f32 v19, v16, v20, v14 op_sel_hi:[1,1,0]
	s_delay_alu instid0(VALU_DEP_3)
	v_fma_mix_f32 v18, v16, v20, v13 op_sel:[1,0,0] op_sel_hi:[1,1,0]
	s_wait_loadcnt 0x0
	v_fma_mix_f32 v17, v21, v20, v15 op_sel_hi:[1,1,0]
	s_wait_alu 0xfffe
	s_and_not1_b32 exec_lo, exec_lo, s6
	s_cbranch_execnz .LBB100_24
; %bb.25:
	s_or_b32 exec_lo, exec_lo, s6
.LBB100_26:
	s_wait_alu 0xfffe
	s_or_b32 exec_lo, exec_lo, s3
.LBB100_27:
	v_mbcnt_lo_u32_b32 v1, -1, 0
	s_mov_b32 s2, -1
	s_delay_alu instid0(VALU_DEP_1) | instskip(NEXT) | instid1(VALU_DEP_1)
	v_xor_b32_e32 v2, 2, v1
	v_cmp_gt_i32_e32 vcc_lo, 32, v2
	s_wait_alu 0xfffd
	v_cndmask_b32_e32 v2, v1, v2, vcc_lo
	s_delay_alu instid0(VALU_DEP_1) | instskip(SKIP_4) | instid1(VALU_DEP_1)
	v_lshlrev_b32_e32 v2, 2, v2
	ds_bpermute_b32 v5, v2, v19
	ds_bpermute_b32 v6, v2, v18
	;; [unrolled: 1-line block ×3, first 2 shown]
	v_xor_b32_e32 v2, 1, v1
	v_cmp_gt_i32_e32 vcc_lo, 32, v2
	s_wait_alu 0xfffd
	v_cndmask_b32_e32 v1, v1, v2, vcc_lo
	v_cmp_eq_u32_e32 vcc_lo, 3, v0
	s_delay_alu instid0(VALU_DEP_2)
	v_lshlrev_b32_e32 v8, 2, v1
	s_wait_dscnt 0x1
	v_dual_add_f32 v1, v19, v5 :: v_dual_add_f32 v2, v18, v6
	s_wait_dscnt 0x0
	v_add_f32_e32 v5, v17, v7
	ds_bpermute_b32 v6, v8, v1
	ds_bpermute_b32 v7, v8, v2
	;; [unrolled: 1-line block ×3, first 2 shown]
	s_and_b32 exec_lo, exec_lo, vcc_lo
	s_cbranch_execz .LBB100_10
; %bb.28:
	s_load_b64 s[0:1], s[0:1], 0x58
	s_wait_dscnt 0x1
	v_dual_add_f32 v0, v1, v6 :: v_dual_add_f32 v1, v2, v7
	s_wait_dscnt 0x0
	v_add_f32_e32 v2, v5, v8
	s_cmp_eq_f32 s16, 0
	s_delay_alu instid0(VALU_DEP_2) | instskip(NEXT) | instid1(VALU_DEP_2)
	v_dual_mul_f32 v0, s12, v0 :: v_dual_mul_f32 v1, s12, v1
	v_mul_f32_e32 v2, s12, v2
	s_cbranch_scc0 .LBB100_30
; %bb.29:
	s_wait_kmcnt 0x0
	v_mad_co_u64_u32 v[5:6], null, v3, 12, s[0:1]
	s_mov_b32 s2, 0
	v_mad_co_u64_u32 v[6:7], null, v4, 12, v[6:7]
	global_store_b96 v[5:6], v[0:2], off
.LBB100_30:
	s_wait_alu 0xfffe
	s_and_not1_b32 vcc_lo, exec_lo, s2
	s_wait_alu 0xfffe
	s_cbranch_vccnz .LBB100_10
; %bb.31:
	s_wait_kmcnt 0x0
	v_mad_co_u64_u32 v[6:7], null, v3, 12, s[0:1]
	s_delay_alu instid0(VALU_DEP_1) | instskip(NEXT) | instid1(VALU_DEP_1)
	v_mov_b32_e32 v3, v7
	v_mad_co_u64_u32 v[3:4], null, v4, 12, v[3:4]
	s_delay_alu instid0(VALU_DEP_1)
	v_mov_b32_e32 v7, v3
	global_load_b96 v[3:5], v[6:7], off
	s_wait_loadcnt 0x0
	v_dual_fmac_f32 v0, s16, v3 :: v_dual_fmac_f32 v1, s16, v4
	v_fmac_f32_e32 v2, s16, v5
	global_store_b96 v[6:7], v[0:2], off
	s_endpgm
	.section	.rodata,"a",@progbits
	.p2align	6, 0x0
	.amdhsa_kernel _ZN9rocsparseL18bsrxmvn_3x3_kernelILj256ELj4EfllDF16_DF16_fEEvT3_20rocsparse_direction_NS_24const_host_device_scalarIT1_EES1_PKS1_PKT2_SA_S7_PKT4_PKT5_S5_PT6_21rocsparse_index_base_b
		.amdhsa_group_segment_fixed_size 0
		.amdhsa_private_segment_fixed_size 0
		.amdhsa_kernarg_size 104
		.amdhsa_user_sgpr_count 2
		.amdhsa_user_sgpr_dispatch_ptr 0
		.amdhsa_user_sgpr_queue_ptr 0
		.amdhsa_user_sgpr_kernarg_segment_ptr 1
		.amdhsa_user_sgpr_dispatch_id 0
		.amdhsa_user_sgpr_private_segment_size 0
		.amdhsa_wavefront_size32 1
		.amdhsa_uses_dynamic_stack 0
		.amdhsa_enable_private_segment 0
		.amdhsa_system_sgpr_workgroup_id_x 1
		.amdhsa_system_sgpr_workgroup_id_y 0
		.amdhsa_system_sgpr_workgroup_id_z 0
		.amdhsa_system_sgpr_workgroup_info 0
		.amdhsa_system_vgpr_workitem_id 0
		.amdhsa_next_free_vgpr 27
		.amdhsa_next_free_sgpr 18
		.amdhsa_reserve_vcc 1
		.amdhsa_float_round_mode_32 0
		.amdhsa_float_round_mode_16_64 0
		.amdhsa_float_denorm_mode_32 3
		.amdhsa_float_denorm_mode_16_64 3
		.amdhsa_fp16_overflow 0
		.amdhsa_workgroup_processor_mode 1
		.amdhsa_memory_ordered 1
		.amdhsa_forward_progress 1
		.amdhsa_inst_pref_size 14
		.amdhsa_round_robin_scheduling 0
		.amdhsa_exception_fp_ieee_invalid_op 0
		.amdhsa_exception_fp_denorm_src 0
		.amdhsa_exception_fp_ieee_div_zero 0
		.amdhsa_exception_fp_ieee_overflow 0
		.amdhsa_exception_fp_ieee_underflow 0
		.amdhsa_exception_fp_ieee_inexact 0
		.amdhsa_exception_int_div_zero 0
	.end_amdhsa_kernel
	.section	.text._ZN9rocsparseL18bsrxmvn_3x3_kernelILj256ELj4EfllDF16_DF16_fEEvT3_20rocsparse_direction_NS_24const_host_device_scalarIT1_EES1_PKS1_PKT2_SA_S7_PKT4_PKT5_S5_PT6_21rocsparse_index_base_b,"axG",@progbits,_ZN9rocsparseL18bsrxmvn_3x3_kernelILj256ELj4EfllDF16_DF16_fEEvT3_20rocsparse_direction_NS_24const_host_device_scalarIT1_EES1_PKS1_PKT2_SA_S7_PKT4_PKT5_S5_PT6_21rocsparse_index_base_b,comdat
.Lfunc_end100:
	.size	_ZN9rocsparseL18bsrxmvn_3x3_kernelILj256ELj4EfllDF16_DF16_fEEvT3_20rocsparse_direction_NS_24const_host_device_scalarIT1_EES1_PKS1_PKT2_SA_S7_PKT4_PKT5_S5_PT6_21rocsparse_index_base_b, .Lfunc_end100-_ZN9rocsparseL18bsrxmvn_3x3_kernelILj256ELj4EfllDF16_DF16_fEEvT3_20rocsparse_direction_NS_24const_host_device_scalarIT1_EES1_PKS1_PKT2_SA_S7_PKT4_PKT5_S5_PT6_21rocsparse_index_base_b
                                        ; -- End function
	.set _ZN9rocsparseL18bsrxmvn_3x3_kernelILj256ELj4EfllDF16_DF16_fEEvT3_20rocsparse_direction_NS_24const_host_device_scalarIT1_EES1_PKS1_PKT2_SA_S7_PKT4_PKT5_S5_PT6_21rocsparse_index_base_b.num_vgpr, 27
	.set _ZN9rocsparseL18bsrxmvn_3x3_kernelILj256ELj4EfllDF16_DF16_fEEvT3_20rocsparse_direction_NS_24const_host_device_scalarIT1_EES1_PKS1_PKT2_SA_S7_PKT4_PKT5_S5_PT6_21rocsparse_index_base_b.num_agpr, 0
	.set _ZN9rocsparseL18bsrxmvn_3x3_kernelILj256ELj4EfllDF16_DF16_fEEvT3_20rocsparse_direction_NS_24const_host_device_scalarIT1_EES1_PKS1_PKT2_SA_S7_PKT4_PKT5_S5_PT6_21rocsparse_index_base_b.numbered_sgpr, 18
	.set _ZN9rocsparseL18bsrxmvn_3x3_kernelILj256ELj4EfllDF16_DF16_fEEvT3_20rocsparse_direction_NS_24const_host_device_scalarIT1_EES1_PKS1_PKT2_SA_S7_PKT4_PKT5_S5_PT6_21rocsparse_index_base_b.num_named_barrier, 0
	.set _ZN9rocsparseL18bsrxmvn_3x3_kernelILj256ELj4EfllDF16_DF16_fEEvT3_20rocsparse_direction_NS_24const_host_device_scalarIT1_EES1_PKS1_PKT2_SA_S7_PKT4_PKT5_S5_PT6_21rocsparse_index_base_b.private_seg_size, 0
	.set _ZN9rocsparseL18bsrxmvn_3x3_kernelILj256ELj4EfllDF16_DF16_fEEvT3_20rocsparse_direction_NS_24const_host_device_scalarIT1_EES1_PKS1_PKT2_SA_S7_PKT4_PKT5_S5_PT6_21rocsparse_index_base_b.uses_vcc, 1
	.set _ZN9rocsparseL18bsrxmvn_3x3_kernelILj256ELj4EfllDF16_DF16_fEEvT3_20rocsparse_direction_NS_24const_host_device_scalarIT1_EES1_PKS1_PKT2_SA_S7_PKT4_PKT5_S5_PT6_21rocsparse_index_base_b.uses_flat_scratch, 0
	.set _ZN9rocsparseL18bsrxmvn_3x3_kernelILj256ELj4EfllDF16_DF16_fEEvT3_20rocsparse_direction_NS_24const_host_device_scalarIT1_EES1_PKS1_PKT2_SA_S7_PKT4_PKT5_S5_PT6_21rocsparse_index_base_b.has_dyn_sized_stack, 0
	.set _ZN9rocsparseL18bsrxmvn_3x3_kernelILj256ELj4EfllDF16_DF16_fEEvT3_20rocsparse_direction_NS_24const_host_device_scalarIT1_EES1_PKS1_PKT2_SA_S7_PKT4_PKT5_S5_PT6_21rocsparse_index_base_b.has_recursion, 0
	.set _ZN9rocsparseL18bsrxmvn_3x3_kernelILj256ELj4EfllDF16_DF16_fEEvT3_20rocsparse_direction_NS_24const_host_device_scalarIT1_EES1_PKS1_PKT2_SA_S7_PKT4_PKT5_S5_PT6_21rocsparse_index_base_b.has_indirect_call, 0
	.section	.AMDGPU.csdata,"",@progbits
; Kernel info:
; codeLenInByte = 1752
; TotalNumSgprs: 20
; NumVgprs: 27
; ScratchSize: 0
; MemoryBound: 0
; FloatMode: 240
; IeeeMode: 1
; LDSByteSize: 0 bytes/workgroup (compile time only)
; SGPRBlocks: 0
; VGPRBlocks: 3
; NumSGPRsForWavesPerEU: 20
; NumVGPRsForWavesPerEU: 27
; Occupancy: 16
; WaveLimiterHint : 1
; COMPUTE_PGM_RSRC2:SCRATCH_EN: 0
; COMPUTE_PGM_RSRC2:USER_SGPR: 2
; COMPUTE_PGM_RSRC2:TRAP_HANDLER: 0
; COMPUTE_PGM_RSRC2:TGID_X_EN: 1
; COMPUTE_PGM_RSRC2:TGID_Y_EN: 0
; COMPUTE_PGM_RSRC2:TGID_Z_EN: 0
; COMPUTE_PGM_RSRC2:TIDIG_COMP_CNT: 0
	.section	.text._ZN9rocsparseL18bsrxmvn_3x3_kernelILj256ELj8EfllDF16_DF16_fEEvT3_20rocsparse_direction_NS_24const_host_device_scalarIT1_EES1_PKS1_PKT2_SA_S7_PKT4_PKT5_S5_PT6_21rocsparse_index_base_b,"axG",@progbits,_ZN9rocsparseL18bsrxmvn_3x3_kernelILj256ELj8EfllDF16_DF16_fEEvT3_20rocsparse_direction_NS_24const_host_device_scalarIT1_EES1_PKS1_PKT2_SA_S7_PKT4_PKT5_S5_PT6_21rocsparse_index_base_b,comdat
	.globl	_ZN9rocsparseL18bsrxmvn_3x3_kernelILj256ELj8EfllDF16_DF16_fEEvT3_20rocsparse_direction_NS_24const_host_device_scalarIT1_EES1_PKS1_PKT2_SA_S7_PKT4_PKT5_S5_PT6_21rocsparse_index_base_b ; -- Begin function _ZN9rocsparseL18bsrxmvn_3x3_kernelILj256ELj8EfllDF16_DF16_fEEvT3_20rocsparse_direction_NS_24const_host_device_scalarIT1_EES1_PKS1_PKT2_SA_S7_PKT4_PKT5_S5_PT6_21rocsparse_index_base_b
	.p2align	8
	.type	_ZN9rocsparseL18bsrxmvn_3x3_kernelILj256ELj8EfllDF16_DF16_fEEvT3_20rocsparse_direction_NS_24const_host_device_scalarIT1_EES1_PKS1_PKT2_SA_S7_PKT4_PKT5_S5_PT6_21rocsparse_index_base_b,@function
_ZN9rocsparseL18bsrxmvn_3x3_kernelILj256ELj8EfllDF16_DF16_fEEvT3_20rocsparse_direction_NS_24const_host_device_scalarIT1_EES1_PKS1_PKT2_SA_S7_PKT4_PKT5_S5_PT6_21rocsparse_index_base_b: ; @_ZN9rocsparseL18bsrxmvn_3x3_kernelILj256ELj8EfllDF16_DF16_fEEvT3_20rocsparse_direction_NS_24const_host_device_scalarIT1_EES1_PKS1_PKT2_SA_S7_PKT4_PKT5_S5_PT6_21rocsparse_index_base_b
; %bb.0:
	s_clause 0x2
	s_load_b64 s[2:3], s[0:1], 0x60
	s_load_b128 s[12:15], s[0:1], 0x10
	s_load_b64 s[16:17], s[0:1], 0x50
	s_wait_kmcnt 0x0
	s_bitcmp1_b32 s3, 0
	s_cselect_b32 s3, -1, 0
	s_delay_alu instid0(SALU_CYCLE_1)
	s_and_b32 vcc_lo, exec_lo, s3
	s_xor_b32 s3, s3, -1
	s_cbranch_vccnz .LBB101_2
; %bb.1:
	s_load_b32 s12, s[12:13], 0x0
.LBB101_2:
	s_and_not1_b32 vcc_lo, exec_lo, s3
	s_cbranch_vccnz .LBB101_4
; %bb.3:
	s_load_b32 s16, s[16:17], 0x0
.LBB101_4:
	s_wait_kmcnt 0x0
	s_cmp_neq_f32 s12, 0
	s_mov_b32 s6, 0
	s_cselect_b32 s3, -1, 0
	s_cmp_neq_f32 s16, 1.0
	s_cselect_b32 s4, -1, 0
	s_delay_alu instid0(SALU_CYCLE_1) | instskip(NEXT) | instid1(SALU_CYCLE_1)
	s_or_b32 s3, s3, s4
	s_and_not1_b32 vcc_lo, exec_lo, s3
	s_cbranch_vccnz .LBB101_10
; %bb.5:
	s_load_b64 s[4:5], s[0:1], 0x20
	v_lshrrev_b32_e32 v1, 3, v0
	v_mov_b32_e32 v6, 0
	s_delay_alu instid0(VALU_DEP_2)
	v_lshl_or_b32 v5, ttmp9, 5, v1
	s_wait_kmcnt 0x0
	s_cmp_lg_u64 s[4:5], 0
	s_cbranch_scc0 .LBB101_11
; %bb.6:
	s_mov_b32 s7, 0
                                        ; implicit-def: $vgpr3_vgpr4
                                        ; implicit-def: $vgpr1_vgpr2
	s_mov_b32 s3, exec_lo
	v_cmpx_gt_i64_e64 s[14:15], v[5:6]
	s_xor_b32 s8, exec_lo, s3
	s_cbranch_execz .LBB101_8
; %bb.7:
	v_lshlrev_b64_e32 v[1:2], 3, v[5:6]
	s_mov_b32 s3, 0
	s_mov_b32 s6, exec_lo
	s_delay_alu instid0(VALU_DEP_1) | instskip(NEXT) | instid1(VALU_DEP_1)
	v_add_co_u32 v1, vcc_lo, s4, v1
	v_add_co_ci_u32_e64 v2, null, s5, v2, vcc_lo
	global_load_b64 v[1:2], v[1:2], off
	s_wait_loadcnt 0x0
	v_sub_co_u32 v3, vcc_lo, v1, s2
	s_wait_alu 0xfffd
	v_subrev_co_ci_u32_e64 v4, null, 0, v2, vcc_lo
	v_dual_mov_b32 v1, s2 :: v_dual_mov_b32 v2, s3
.LBB101_8:
	s_or_b32 exec_lo, exec_lo, s8
	s_delay_alu instid0(SALU_CYCLE_1)
	s_and_b32 vcc_lo, exec_lo, s7
	s_wait_alu 0xfffe
	s_cbranch_vccnz .LBB101_12
.LBB101_9:
	s_and_saveexec_b32 s2, s6
	s_cbranch_execnz .LBB101_15
.LBB101_10:
	s_endpgm
.LBB101_11:
                                        ; implicit-def: $vgpr3_vgpr4
                                        ; implicit-def: $vgpr1_vgpr2
	s_cbranch_execz .LBB101_9
.LBB101_12:
	s_load_b64 s[4:5], s[0:1], 0x0
	s_wait_kmcnt 0x0
	v_cmp_gt_i64_e32 vcc_lo, s[4:5], v[5:6]
	s_and_saveexec_b32 s4, vcc_lo
; %bb.13:
	s_mov_b32 s3, 0
	s_or_b32 s6, s6, exec_lo
; %bb.14:
	s_wait_alu 0xfffe
	s_or_b32 exec_lo, exec_lo, s4
	v_dual_mov_b32 v1, s2 :: v_dual_mov_b32 v2, s3
	v_dual_mov_b32 v3, v5 :: v_dual_mov_b32 v4, v6
	s_and_saveexec_b32 s2, s6
	s_cbranch_execz .LBB101_10
.LBB101_15:
	s_load_b256 s[4:11], s[0:1], 0x28
	s_delay_alu instid0(VALU_DEP_1) | instskip(SKIP_2) | instid1(VALU_DEP_2)
	v_lshlrev_b64_e32 v[5:6], 3, v[3:4]
	v_dual_mov_b32 v17, 0 :: v_dual_and_b32 v0, 7, v0
	s_wait_kmcnt 0x0
	v_add_co_u32 v7, vcc_lo, s4, v5
	s_wait_alu 0xfffd
	s_delay_alu instid0(VALU_DEP_3)
	v_add_co_ci_u32_e64 v8, null, s5, v6, vcc_lo
	v_add_co_u32 v5, vcc_lo, s6, v5
	s_wait_alu 0xfffd
	v_add_co_ci_u32_e64 v6, null, s7, v6, vcc_lo
	global_load_b64 v[9:10], v[7:8], off
	v_add_co_u32 v7, vcc_lo, v7, 8
	s_wait_alu 0xfffd
	v_add_co_ci_u32_e64 v8, null, 0, v8, vcc_lo
	s_cmp_eq_u64 s[6:7], 0
	s_cselect_b32 vcc_lo, -1, 0
	s_wait_alu 0xfffe
	v_dual_cndmask_b32 v6, v6, v8 :: v_dual_cndmask_b32 v5, v5, v7
	global_load_b64 v[11:12], v[5:6], off
	s_clause 0x1
	s_load_b32 s3, s[0:1], 0x8
	s_load_b64 s[4:5], s[0:1], 0x48
	s_wait_kmcnt 0x0
	s_cmp_eq_u32 s3, 1
	s_wait_loadcnt 0x1
	v_sub_co_u32 v5, vcc_lo, v9, v1
	s_wait_alu 0xfffd
	v_sub_co_ci_u32_e64 v6, null, v10, v2, vcc_lo
	s_delay_alu instid0(VALU_DEP_2) | instskip(SKIP_1) | instid1(VALU_DEP_2)
	v_add_co_u32 v5, vcc_lo, v5, v0
	s_wait_alu 0xfffd
	v_add_co_ci_u32_e64 v6, null, 0, v6, vcc_lo
	s_delay_alu instid0(VALU_DEP_2) | instskip(NEXT) | instid1(VALU_DEP_1)
	v_mad_co_u64_u32 v[7:8], null, v5, 18, s[10:11]
	v_mad_co_u64_u32 v[8:9], null, v6, 18, v[8:9]
	s_wait_loadcnt 0x0
	v_sub_co_u32 v9, vcc_lo, v11, v1
	s_wait_alu 0xfffd
	v_sub_co_ci_u32_e64 v10, null, v12, v2, vcc_lo
	s_delay_alu instid0(VALU_DEP_1)
	v_cmp_lt_i64_e64 s2, v[5:6], v[9:10]
	s_cbranch_scc1 .LBB101_21
; %bb.16:
	v_dual_mov_b32 v18, 0 :: v_dual_mov_b32 v19, 0
	s_and_saveexec_b32 s6, s2
	s_cbranch_execz .LBB101_20
; %bb.17:
	v_lshlrev_b64_e32 v[13:14], 3, v[5:6]
	v_dual_mov_b32 v17, 0 :: v_dual_mov_b32 v12, v8
	v_dual_mov_b32 v11, v7 :: v_dual_mov_b32 v16, v6
	;; [unrolled: 1-line block ×3, first 2 shown]
	s_delay_alu instid0(VALU_DEP_4)
	v_add_co_u32 v13, vcc_lo, s8, v13
	s_wait_alu 0xfffd
	v_add_co_ci_u32_e64 v14, null, s9, v14, vcc_lo
	v_mov_b32_e32 v19, 0
	s_mov_b32 s7, 0
.LBB101_18:                             ; =>This Inner Loop Header: Depth=1
	global_load_b64 v[20:21], v[13:14], off
	s_wait_loadcnt 0x0
	v_sub_co_u32 v20, vcc_lo, v20, v1
	s_wait_alu 0xfffd
	v_sub_co_ci_u32_e64 v21, null, v21, v2, vcc_lo
	s_delay_alu instid0(VALU_DEP_2) | instskip(NEXT) | instid1(VALU_DEP_1)
	v_mad_co_u64_u32 v[24:25], null, v20, 6, s[4:5]
	v_mov_b32_e32 v20, v25
	s_delay_alu instid0(VALU_DEP_1) | instskip(NEXT) | instid1(VALU_DEP_1)
	v_mad_co_u64_u32 v[20:21], null, v21, 6, v[20:21]
	v_mov_b32_e32 v25, v20
	global_load_b128 v[20:23], v[11:12], off
	s_clause 0x1
	global_load_b32 v26, v[24:25], off
	global_load_u16 v24, v[24:25], off offset:4
	global_load_u16 v25, v[11:12], off offset:16
	v_add_co_u32 v11, vcc_lo, 0x90, v11
	s_wait_alu 0xfffd
	v_add_co_ci_u32_e64 v12, null, 0, v12, vcc_lo
	v_add_co_u32 v15, vcc_lo, v15, 8
	s_wait_alu 0xfffd
	v_add_co_ci_u32_e64 v16, null, 0, v16, vcc_lo
	;; [unrolled: 3-line block ×3, first 2 shown]
	s_delay_alu instid0(VALU_DEP_3)
	v_cmp_ge_i64_e64 s3, v[15:16], v[9:10]
	s_wait_alu 0xfffe
	s_or_b32 s7, s3, s7
	s_wait_loadcnt 0x2
	v_fma_mix_f32 v19, v20, v26, v19 op_sel_hi:[1,1,0]
	v_fma_mix_f32 v18, v21, v26, v18 op_sel:[1,0,0] op_sel_hi:[1,1,0]
	v_fma_mix_f32 v17, v23, v26, v17 op_sel_hi:[1,1,0]
	s_delay_alu instid0(VALU_DEP_3) | instskip(NEXT) | instid1(VALU_DEP_3)
	v_fma_mix_f32 v19, v20, v26, v19 op_sel:[1,1,0] op_sel_hi:[1,1,0]
	v_fma_mix_f32 v18, v22, v26, v18 op_sel:[0,1,0] op_sel_hi:[1,1,0]
	s_delay_alu instid0(VALU_DEP_3) | instskip(SKIP_1) | instid1(VALU_DEP_3)
	v_fma_mix_f32 v17, v23, v26, v17 op_sel:[1,1,0] op_sel_hi:[1,1,0]
	s_wait_loadcnt 0x1
	v_fma_mix_f32 v19, v21, v24, v19 op_sel_hi:[1,1,0]
	s_delay_alu instid0(VALU_DEP_3)
	v_fma_mix_f32 v18, v22, v24, v18 op_sel:[1,0,0] op_sel_hi:[1,1,0]
	s_wait_loadcnt 0x0
	v_fma_mix_f32 v17, v25, v24, v17 op_sel_hi:[1,1,0]
	s_wait_alu 0xfffe
	s_and_not1_b32 exec_lo, exec_lo, s7
	s_cbranch_execnz .LBB101_18
; %bb.19:
	s_or_b32 exec_lo, exec_lo, s7
.LBB101_20:
	s_wait_alu 0xfffe
	s_or_b32 exec_lo, exec_lo, s6
	s_cbranch_execz .LBB101_22
	s_branch .LBB101_27
.LBB101_21:
                                        ; implicit-def: $vgpr17
                                        ; implicit-def: $vgpr18
                                        ; implicit-def: $vgpr19
.LBB101_22:
	v_dual_mov_b32 v17, 0 :: v_dual_mov_b32 v18, 0
	v_mov_b32_e32 v19, 0
	s_and_saveexec_b32 s3, s2
	s_cbranch_execz .LBB101_26
; %bb.23:
	v_lshlrev_b64_e32 v[11:12], 3, v[5:6]
	v_dual_mov_b32 v17, 0 :: v_dual_mov_b32 v18, 0
	v_mov_b32_e32 v19, 0
	s_mov_b32 s6, 0
	s_delay_alu instid0(VALU_DEP_3)
	v_add_co_u32 v11, vcc_lo, s8, v11
	s_wait_alu 0xfffd
	v_add_co_ci_u32_e64 v12, null, s9, v12, vcc_lo
.LBB101_24:                             ; =>This Inner Loop Header: Depth=1
	global_load_b64 v[13:14], v[11:12], off
	s_wait_loadcnt 0x0
	v_sub_co_u32 v13, vcc_lo, v13, v1
	s_wait_alu 0xfffd
	v_sub_co_ci_u32_e64 v14, null, v14, v2, vcc_lo
	s_delay_alu instid0(VALU_DEP_2) | instskip(NEXT) | instid1(VALU_DEP_1)
	v_mad_co_u64_u32 v[20:21], null, v13, 6, s[4:5]
	v_mov_b32_e32 v13, v21
	s_delay_alu instid0(VALU_DEP_1) | instskip(NEXT) | instid1(VALU_DEP_1)
	v_mad_co_u64_u32 v[13:14], null, v14, 6, v[13:14]
	v_mov_b32_e32 v21, v13
	global_load_b128 v[13:16], v[7:8], off
	s_clause 0x1
	global_load_b32 v22, v[20:21], off
	global_load_u16 v20, v[20:21], off offset:4
	global_load_u16 v21, v[7:8], off offset:16
	v_add_co_u32 v7, vcc_lo, 0x90, v7
	s_wait_alu 0xfffd
	v_add_co_ci_u32_e64 v8, null, 0, v8, vcc_lo
	v_add_co_u32 v5, vcc_lo, v5, 8
	s_wait_alu 0xfffd
	v_add_co_ci_u32_e64 v6, null, 0, v6, vcc_lo
	;; [unrolled: 3-line block ×3, first 2 shown]
	s_delay_alu instid0(VALU_DEP_3)
	v_cmp_ge_i64_e64 s2, v[5:6], v[9:10]
	s_wait_alu 0xfffe
	s_or_b32 s6, s2, s6
	s_wait_loadcnt 0x2
	v_fma_mix_f32 v19, v13, v22, v19 op_sel_hi:[1,1,0]
	v_fma_mix_f32 v13, v13, v22, v18 op_sel:[1,0,0] op_sel_hi:[1,1,0]
	v_fma_mix_f32 v17, v14, v22, v17 op_sel_hi:[1,1,0]
	s_delay_alu instid0(VALU_DEP_3) | instskip(NEXT) | instid1(VALU_DEP_3)
	v_fma_mix_f32 v14, v14, v22, v19 op_sel:[1,1,0] op_sel_hi:[1,1,0]
	v_fma_mix_f32 v13, v15, v22, v13 op_sel:[0,1,0] op_sel_hi:[1,1,0]
	s_delay_alu instid0(VALU_DEP_3) | instskip(SKIP_1) | instid1(VALU_DEP_3)
	v_fma_mix_f32 v15, v15, v22, v17 op_sel:[1,1,0] op_sel_hi:[1,1,0]
	s_wait_loadcnt 0x1
	v_fma_mix_f32 v19, v16, v20, v14 op_sel_hi:[1,1,0]
	s_delay_alu instid0(VALU_DEP_3)
	v_fma_mix_f32 v18, v16, v20, v13 op_sel:[1,0,0] op_sel_hi:[1,1,0]
	s_wait_loadcnt 0x0
	v_fma_mix_f32 v17, v21, v20, v15 op_sel_hi:[1,1,0]
	s_wait_alu 0xfffe
	s_and_not1_b32 exec_lo, exec_lo, s6
	s_cbranch_execnz .LBB101_24
; %bb.25:
	s_or_b32 exec_lo, exec_lo, s6
.LBB101_26:
	s_wait_alu 0xfffe
	s_or_b32 exec_lo, exec_lo, s3
.LBB101_27:
	v_mbcnt_lo_u32_b32 v1, -1, 0
	s_mov_b32 s2, -1
	s_delay_alu instid0(VALU_DEP_1) | instskip(SKIP_2) | instid1(VALU_DEP_3)
	v_xor_b32_e32 v2, 4, v1
	v_xor_b32_e32 v7, 2, v1
	;; [unrolled: 1-line block ×3, first 2 shown]
	v_cmp_gt_i32_e32 vcc_lo, 32, v2
	s_wait_alu 0xfffd
	v_cndmask_b32_e32 v2, v1, v2, vcc_lo
	v_cmp_gt_i32_e32 vcc_lo, 32, v7
	s_wait_alu 0xfffd
	v_cndmask_b32_e32 v7, v1, v7, vcc_lo
	v_cmp_gt_i32_e32 vcc_lo, 32, v10
	s_delay_alu instid0(VALU_DEP_2)
	v_lshlrev_b32_e32 v7, 2, v7
	v_lshlrev_b32_e32 v2, 2, v2
	ds_bpermute_b32 v5, v2, v19
	s_wait_dscnt 0x0
	v_add_f32_e32 v5, v19, v5
	ds_bpermute_b32 v6, v2, v18
	ds_bpermute_b32 v2, v2, v17
	s_wait_dscnt 0x1
	v_add_f32_e32 v6, v18, v6
	s_wait_dscnt 0x0
	v_add_f32_e32 v8, v17, v2
	ds_bpermute_b32 v2, v7, v5
	ds_bpermute_b32 v9, v7, v6
	;; [unrolled: 1-line block ×3, first 2 shown]
	s_wait_alu 0xfffd
	v_cndmask_b32_e32 v1, v1, v10, vcc_lo
	v_cmp_eq_u32_e32 vcc_lo, 7, v0
	s_wait_dscnt 0x2
	s_delay_alu instid0(VALU_DEP_2)
	v_dual_add_f32 v1, v5, v2 :: v_dual_lshlrev_b32 v10, 2, v1
	s_wait_dscnt 0x0
	v_dual_add_f32 v2, v6, v9 :: v_dual_add_f32 v5, v8, v7
	ds_bpermute_b32 v6, v10, v1
	ds_bpermute_b32 v7, v10, v2
	;; [unrolled: 1-line block ×3, first 2 shown]
	s_and_b32 exec_lo, exec_lo, vcc_lo
	s_cbranch_execz .LBB101_10
; %bb.28:
	s_load_b64 s[0:1], s[0:1], 0x58
	s_wait_dscnt 0x1
	v_dual_add_f32 v0, v1, v6 :: v_dual_add_f32 v1, v2, v7
	s_wait_dscnt 0x0
	v_add_f32_e32 v2, v5, v8
	s_cmp_eq_f32 s16, 0
	s_delay_alu instid0(VALU_DEP_2) | instskip(NEXT) | instid1(VALU_DEP_2)
	v_dual_mul_f32 v0, s12, v0 :: v_dual_mul_f32 v1, s12, v1
	v_mul_f32_e32 v2, s12, v2
	s_cbranch_scc0 .LBB101_30
; %bb.29:
	s_wait_kmcnt 0x0
	v_mad_co_u64_u32 v[5:6], null, v3, 12, s[0:1]
	s_mov_b32 s2, 0
	v_mad_co_u64_u32 v[6:7], null, v4, 12, v[6:7]
	global_store_b96 v[5:6], v[0:2], off
.LBB101_30:
	s_wait_alu 0xfffe
	s_and_not1_b32 vcc_lo, exec_lo, s2
	s_wait_alu 0xfffe
	s_cbranch_vccnz .LBB101_10
; %bb.31:
	s_wait_kmcnt 0x0
	v_mad_co_u64_u32 v[6:7], null, v3, 12, s[0:1]
	s_delay_alu instid0(VALU_DEP_1) | instskip(NEXT) | instid1(VALU_DEP_1)
	v_mov_b32_e32 v3, v7
	v_mad_co_u64_u32 v[3:4], null, v4, 12, v[3:4]
	s_delay_alu instid0(VALU_DEP_1)
	v_mov_b32_e32 v7, v3
	global_load_b96 v[3:5], v[6:7], off
	s_wait_loadcnt 0x0
	v_dual_fmac_f32 v0, s16, v3 :: v_dual_fmac_f32 v1, s16, v4
	v_fmac_f32_e32 v2, s16, v5
	global_store_b96 v[6:7], v[0:2], off
	s_endpgm
	.section	.rodata,"a",@progbits
	.p2align	6, 0x0
	.amdhsa_kernel _ZN9rocsparseL18bsrxmvn_3x3_kernelILj256ELj8EfllDF16_DF16_fEEvT3_20rocsparse_direction_NS_24const_host_device_scalarIT1_EES1_PKS1_PKT2_SA_S7_PKT4_PKT5_S5_PT6_21rocsparse_index_base_b
		.amdhsa_group_segment_fixed_size 0
		.amdhsa_private_segment_fixed_size 0
		.amdhsa_kernarg_size 104
		.amdhsa_user_sgpr_count 2
		.amdhsa_user_sgpr_dispatch_ptr 0
		.amdhsa_user_sgpr_queue_ptr 0
		.amdhsa_user_sgpr_kernarg_segment_ptr 1
		.amdhsa_user_sgpr_dispatch_id 0
		.amdhsa_user_sgpr_private_segment_size 0
		.amdhsa_wavefront_size32 1
		.amdhsa_uses_dynamic_stack 0
		.amdhsa_enable_private_segment 0
		.amdhsa_system_sgpr_workgroup_id_x 1
		.amdhsa_system_sgpr_workgroup_id_y 0
		.amdhsa_system_sgpr_workgroup_id_z 0
		.amdhsa_system_sgpr_workgroup_info 0
		.amdhsa_system_vgpr_workitem_id 0
		.amdhsa_next_free_vgpr 27
		.amdhsa_next_free_sgpr 18
		.amdhsa_reserve_vcc 1
		.amdhsa_float_round_mode_32 0
		.amdhsa_float_round_mode_16_64 0
		.amdhsa_float_denorm_mode_32 3
		.amdhsa_float_denorm_mode_16_64 3
		.amdhsa_fp16_overflow 0
		.amdhsa_workgroup_processor_mode 1
		.amdhsa_memory_ordered 1
		.amdhsa_forward_progress 1
		.amdhsa_inst_pref_size 15
		.amdhsa_round_robin_scheduling 0
		.amdhsa_exception_fp_ieee_invalid_op 0
		.amdhsa_exception_fp_denorm_src 0
		.amdhsa_exception_fp_ieee_div_zero 0
		.amdhsa_exception_fp_ieee_overflow 0
		.amdhsa_exception_fp_ieee_underflow 0
		.amdhsa_exception_fp_ieee_inexact 0
		.amdhsa_exception_int_div_zero 0
	.end_amdhsa_kernel
	.section	.text._ZN9rocsparseL18bsrxmvn_3x3_kernelILj256ELj8EfllDF16_DF16_fEEvT3_20rocsparse_direction_NS_24const_host_device_scalarIT1_EES1_PKS1_PKT2_SA_S7_PKT4_PKT5_S5_PT6_21rocsparse_index_base_b,"axG",@progbits,_ZN9rocsparseL18bsrxmvn_3x3_kernelILj256ELj8EfllDF16_DF16_fEEvT3_20rocsparse_direction_NS_24const_host_device_scalarIT1_EES1_PKS1_PKT2_SA_S7_PKT4_PKT5_S5_PT6_21rocsparse_index_base_b,comdat
.Lfunc_end101:
	.size	_ZN9rocsparseL18bsrxmvn_3x3_kernelILj256ELj8EfllDF16_DF16_fEEvT3_20rocsparse_direction_NS_24const_host_device_scalarIT1_EES1_PKS1_PKT2_SA_S7_PKT4_PKT5_S5_PT6_21rocsparse_index_base_b, .Lfunc_end101-_ZN9rocsparseL18bsrxmvn_3x3_kernelILj256ELj8EfllDF16_DF16_fEEvT3_20rocsparse_direction_NS_24const_host_device_scalarIT1_EES1_PKS1_PKT2_SA_S7_PKT4_PKT5_S5_PT6_21rocsparse_index_base_b
                                        ; -- End function
	.set _ZN9rocsparseL18bsrxmvn_3x3_kernelILj256ELj8EfllDF16_DF16_fEEvT3_20rocsparse_direction_NS_24const_host_device_scalarIT1_EES1_PKS1_PKT2_SA_S7_PKT4_PKT5_S5_PT6_21rocsparse_index_base_b.num_vgpr, 27
	.set _ZN9rocsparseL18bsrxmvn_3x3_kernelILj256ELj8EfllDF16_DF16_fEEvT3_20rocsparse_direction_NS_24const_host_device_scalarIT1_EES1_PKS1_PKT2_SA_S7_PKT4_PKT5_S5_PT6_21rocsparse_index_base_b.num_agpr, 0
	.set _ZN9rocsparseL18bsrxmvn_3x3_kernelILj256ELj8EfllDF16_DF16_fEEvT3_20rocsparse_direction_NS_24const_host_device_scalarIT1_EES1_PKS1_PKT2_SA_S7_PKT4_PKT5_S5_PT6_21rocsparse_index_base_b.numbered_sgpr, 18
	.set _ZN9rocsparseL18bsrxmvn_3x3_kernelILj256ELj8EfllDF16_DF16_fEEvT3_20rocsparse_direction_NS_24const_host_device_scalarIT1_EES1_PKS1_PKT2_SA_S7_PKT4_PKT5_S5_PT6_21rocsparse_index_base_b.num_named_barrier, 0
	.set _ZN9rocsparseL18bsrxmvn_3x3_kernelILj256ELj8EfllDF16_DF16_fEEvT3_20rocsparse_direction_NS_24const_host_device_scalarIT1_EES1_PKS1_PKT2_SA_S7_PKT4_PKT5_S5_PT6_21rocsparse_index_base_b.private_seg_size, 0
	.set _ZN9rocsparseL18bsrxmvn_3x3_kernelILj256ELj8EfllDF16_DF16_fEEvT3_20rocsparse_direction_NS_24const_host_device_scalarIT1_EES1_PKS1_PKT2_SA_S7_PKT4_PKT5_S5_PT6_21rocsparse_index_base_b.uses_vcc, 1
	.set _ZN9rocsparseL18bsrxmvn_3x3_kernelILj256ELj8EfllDF16_DF16_fEEvT3_20rocsparse_direction_NS_24const_host_device_scalarIT1_EES1_PKS1_PKT2_SA_S7_PKT4_PKT5_S5_PT6_21rocsparse_index_base_b.uses_flat_scratch, 0
	.set _ZN9rocsparseL18bsrxmvn_3x3_kernelILj256ELj8EfllDF16_DF16_fEEvT3_20rocsparse_direction_NS_24const_host_device_scalarIT1_EES1_PKS1_PKT2_SA_S7_PKT4_PKT5_S5_PT6_21rocsparse_index_base_b.has_dyn_sized_stack, 0
	.set _ZN9rocsparseL18bsrxmvn_3x3_kernelILj256ELj8EfllDF16_DF16_fEEvT3_20rocsparse_direction_NS_24const_host_device_scalarIT1_EES1_PKS1_PKT2_SA_S7_PKT4_PKT5_S5_PT6_21rocsparse_index_base_b.has_recursion, 0
	.set _ZN9rocsparseL18bsrxmvn_3x3_kernelILj256ELj8EfllDF16_DF16_fEEvT3_20rocsparse_direction_NS_24const_host_device_scalarIT1_EES1_PKS1_PKT2_SA_S7_PKT4_PKT5_S5_PT6_21rocsparse_index_base_b.has_indirect_call, 0
	.section	.AMDGPU.csdata,"",@progbits
; Kernel info:
; codeLenInByte = 1820
; TotalNumSgprs: 20
; NumVgprs: 27
; ScratchSize: 0
; MemoryBound: 0
; FloatMode: 240
; IeeeMode: 1
; LDSByteSize: 0 bytes/workgroup (compile time only)
; SGPRBlocks: 0
; VGPRBlocks: 3
; NumSGPRsForWavesPerEU: 20
; NumVGPRsForWavesPerEU: 27
; Occupancy: 16
; WaveLimiterHint : 1
; COMPUTE_PGM_RSRC2:SCRATCH_EN: 0
; COMPUTE_PGM_RSRC2:USER_SGPR: 2
; COMPUTE_PGM_RSRC2:TRAP_HANDLER: 0
; COMPUTE_PGM_RSRC2:TGID_X_EN: 1
; COMPUTE_PGM_RSRC2:TGID_Y_EN: 0
; COMPUTE_PGM_RSRC2:TGID_Z_EN: 0
; COMPUTE_PGM_RSRC2:TIDIG_COMP_CNT: 0
	.section	.text._ZN9rocsparseL18bsrxmvn_3x3_kernelILj256ELj16EfllDF16_DF16_fEEvT3_20rocsparse_direction_NS_24const_host_device_scalarIT1_EES1_PKS1_PKT2_SA_S7_PKT4_PKT5_S5_PT6_21rocsparse_index_base_b,"axG",@progbits,_ZN9rocsparseL18bsrxmvn_3x3_kernelILj256ELj16EfllDF16_DF16_fEEvT3_20rocsparse_direction_NS_24const_host_device_scalarIT1_EES1_PKS1_PKT2_SA_S7_PKT4_PKT5_S5_PT6_21rocsparse_index_base_b,comdat
	.globl	_ZN9rocsparseL18bsrxmvn_3x3_kernelILj256ELj16EfllDF16_DF16_fEEvT3_20rocsparse_direction_NS_24const_host_device_scalarIT1_EES1_PKS1_PKT2_SA_S7_PKT4_PKT5_S5_PT6_21rocsparse_index_base_b ; -- Begin function _ZN9rocsparseL18bsrxmvn_3x3_kernelILj256ELj16EfllDF16_DF16_fEEvT3_20rocsparse_direction_NS_24const_host_device_scalarIT1_EES1_PKS1_PKT2_SA_S7_PKT4_PKT5_S5_PT6_21rocsparse_index_base_b
	.p2align	8
	.type	_ZN9rocsparseL18bsrxmvn_3x3_kernelILj256ELj16EfllDF16_DF16_fEEvT3_20rocsparse_direction_NS_24const_host_device_scalarIT1_EES1_PKS1_PKT2_SA_S7_PKT4_PKT5_S5_PT6_21rocsparse_index_base_b,@function
_ZN9rocsparseL18bsrxmvn_3x3_kernelILj256ELj16EfllDF16_DF16_fEEvT3_20rocsparse_direction_NS_24const_host_device_scalarIT1_EES1_PKS1_PKT2_SA_S7_PKT4_PKT5_S5_PT6_21rocsparse_index_base_b: ; @_ZN9rocsparseL18bsrxmvn_3x3_kernelILj256ELj16EfllDF16_DF16_fEEvT3_20rocsparse_direction_NS_24const_host_device_scalarIT1_EES1_PKS1_PKT2_SA_S7_PKT4_PKT5_S5_PT6_21rocsparse_index_base_b
; %bb.0:
	s_clause 0x2
	s_load_b64 s[2:3], s[0:1], 0x60
	s_load_b128 s[12:15], s[0:1], 0x10
	s_load_b64 s[16:17], s[0:1], 0x50
	s_wait_kmcnt 0x0
	s_bitcmp1_b32 s3, 0
	s_cselect_b32 s3, -1, 0
	s_delay_alu instid0(SALU_CYCLE_1)
	s_and_b32 vcc_lo, exec_lo, s3
	s_xor_b32 s3, s3, -1
	s_cbranch_vccnz .LBB102_2
; %bb.1:
	s_load_b32 s12, s[12:13], 0x0
.LBB102_2:
	s_and_not1_b32 vcc_lo, exec_lo, s3
	s_cbranch_vccnz .LBB102_4
; %bb.3:
	s_load_b32 s16, s[16:17], 0x0
.LBB102_4:
	s_wait_kmcnt 0x0
	s_cmp_neq_f32 s12, 0
	s_mov_b32 s6, 0
	s_cselect_b32 s3, -1, 0
	s_cmp_neq_f32 s16, 1.0
	s_cselect_b32 s4, -1, 0
	s_delay_alu instid0(SALU_CYCLE_1) | instskip(NEXT) | instid1(SALU_CYCLE_1)
	s_or_b32 s3, s3, s4
	s_and_not1_b32 vcc_lo, exec_lo, s3
	s_cbranch_vccnz .LBB102_10
; %bb.5:
	s_load_b64 s[4:5], s[0:1], 0x20
	v_lshrrev_b32_e32 v1, 4, v0
	v_mov_b32_e32 v6, 0
	s_delay_alu instid0(VALU_DEP_2)
	v_lshl_or_b32 v5, ttmp9, 4, v1
	s_wait_kmcnt 0x0
	s_cmp_lg_u64 s[4:5], 0
	s_cbranch_scc0 .LBB102_11
; %bb.6:
	s_mov_b32 s7, 0
                                        ; implicit-def: $vgpr3_vgpr4
                                        ; implicit-def: $vgpr1_vgpr2
	s_mov_b32 s3, exec_lo
	v_cmpx_gt_i64_e64 s[14:15], v[5:6]
	s_xor_b32 s8, exec_lo, s3
	s_cbranch_execz .LBB102_8
; %bb.7:
	v_lshlrev_b64_e32 v[1:2], 3, v[5:6]
	s_mov_b32 s3, 0
	s_mov_b32 s6, exec_lo
	s_delay_alu instid0(VALU_DEP_1) | instskip(NEXT) | instid1(VALU_DEP_1)
	v_add_co_u32 v1, vcc_lo, s4, v1
	v_add_co_ci_u32_e64 v2, null, s5, v2, vcc_lo
	global_load_b64 v[1:2], v[1:2], off
	s_wait_loadcnt 0x0
	v_sub_co_u32 v3, vcc_lo, v1, s2
	s_wait_alu 0xfffd
	v_subrev_co_ci_u32_e64 v4, null, 0, v2, vcc_lo
	v_dual_mov_b32 v1, s2 :: v_dual_mov_b32 v2, s3
.LBB102_8:
	s_or_b32 exec_lo, exec_lo, s8
	s_delay_alu instid0(SALU_CYCLE_1)
	s_and_b32 vcc_lo, exec_lo, s7
	s_wait_alu 0xfffe
	s_cbranch_vccnz .LBB102_12
.LBB102_9:
	s_and_saveexec_b32 s2, s6
	s_cbranch_execnz .LBB102_15
.LBB102_10:
	s_endpgm
.LBB102_11:
                                        ; implicit-def: $vgpr3_vgpr4
                                        ; implicit-def: $vgpr1_vgpr2
	s_cbranch_execz .LBB102_9
.LBB102_12:
	s_load_b64 s[4:5], s[0:1], 0x0
	s_wait_kmcnt 0x0
	v_cmp_gt_i64_e32 vcc_lo, s[4:5], v[5:6]
	s_and_saveexec_b32 s4, vcc_lo
; %bb.13:
	s_mov_b32 s3, 0
	s_or_b32 s6, s6, exec_lo
; %bb.14:
	s_wait_alu 0xfffe
	s_or_b32 exec_lo, exec_lo, s4
	v_dual_mov_b32 v1, s2 :: v_dual_mov_b32 v2, s3
	v_dual_mov_b32 v3, v5 :: v_dual_mov_b32 v4, v6
	s_and_saveexec_b32 s2, s6
	s_cbranch_execz .LBB102_10
.LBB102_15:
	s_load_b256 s[4:11], s[0:1], 0x28
	s_delay_alu instid0(VALU_DEP_1) | instskip(SKIP_2) | instid1(VALU_DEP_2)
	v_lshlrev_b64_e32 v[5:6], 3, v[3:4]
	v_dual_mov_b32 v17, 0 :: v_dual_and_b32 v0, 15, v0
	s_wait_kmcnt 0x0
	v_add_co_u32 v7, vcc_lo, s4, v5
	s_wait_alu 0xfffd
	s_delay_alu instid0(VALU_DEP_3)
	v_add_co_ci_u32_e64 v8, null, s5, v6, vcc_lo
	v_add_co_u32 v5, vcc_lo, s6, v5
	s_wait_alu 0xfffd
	v_add_co_ci_u32_e64 v6, null, s7, v6, vcc_lo
	global_load_b64 v[9:10], v[7:8], off
	v_add_co_u32 v7, vcc_lo, v7, 8
	s_wait_alu 0xfffd
	v_add_co_ci_u32_e64 v8, null, 0, v8, vcc_lo
	s_cmp_eq_u64 s[6:7], 0
	s_cselect_b32 vcc_lo, -1, 0
	s_wait_alu 0xfffe
	v_dual_cndmask_b32 v6, v6, v8 :: v_dual_cndmask_b32 v5, v5, v7
	global_load_b64 v[11:12], v[5:6], off
	s_clause 0x1
	s_load_b32 s3, s[0:1], 0x8
	s_load_b64 s[4:5], s[0:1], 0x48
	s_wait_kmcnt 0x0
	s_cmp_eq_u32 s3, 1
	s_wait_loadcnt 0x1
	v_sub_co_u32 v5, vcc_lo, v9, v1
	s_wait_alu 0xfffd
	v_sub_co_ci_u32_e64 v6, null, v10, v2, vcc_lo
	s_delay_alu instid0(VALU_DEP_2) | instskip(SKIP_1) | instid1(VALU_DEP_2)
	v_add_co_u32 v5, vcc_lo, v5, v0
	s_wait_alu 0xfffd
	v_add_co_ci_u32_e64 v6, null, 0, v6, vcc_lo
	s_delay_alu instid0(VALU_DEP_2) | instskip(NEXT) | instid1(VALU_DEP_1)
	v_mad_co_u64_u32 v[7:8], null, v5, 18, s[10:11]
	v_mad_co_u64_u32 v[8:9], null, v6, 18, v[8:9]
	s_wait_loadcnt 0x0
	v_sub_co_u32 v9, vcc_lo, v11, v1
	s_wait_alu 0xfffd
	v_sub_co_ci_u32_e64 v10, null, v12, v2, vcc_lo
	s_delay_alu instid0(VALU_DEP_1)
	v_cmp_lt_i64_e64 s2, v[5:6], v[9:10]
	s_cbranch_scc1 .LBB102_21
; %bb.16:
	v_dual_mov_b32 v18, 0 :: v_dual_mov_b32 v19, 0
	s_and_saveexec_b32 s6, s2
	s_cbranch_execz .LBB102_20
; %bb.17:
	v_lshlrev_b64_e32 v[13:14], 3, v[5:6]
	v_dual_mov_b32 v17, 0 :: v_dual_mov_b32 v12, v8
	v_dual_mov_b32 v11, v7 :: v_dual_mov_b32 v16, v6
	;; [unrolled: 1-line block ×3, first 2 shown]
	s_delay_alu instid0(VALU_DEP_4)
	v_add_co_u32 v13, vcc_lo, s8, v13
	s_wait_alu 0xfffd
	v_add_co_ci_u32_e64 v14, null, s9, v14, vcc_lo
	v_mov_b32_e32 v19, 0
	s_mov_b32 s7, 0
.LBB102_18:                             ; =>This Inner Loop Header: Depth=1
	global_load_b64 v[20:21], v[13:14], off
	s_wait_loadcnt 0x0
	v_sub_co_u32 v20, vcc_lo, v20, v1
	s_wait_alu 0xfffd
	v_sub_co_ci_u32_e64 v21, null, v21, v2, vcc_lo
	s_delay_alu instid0(VALU_DEP_2) | instskip(NEXT) | instid1(VALU_DEP_1)
	v_mad_co_u64_u32 v[24:25], null, v20, 6, s[4:5]
	v_mov_b32_e32 v20, v25
	s_delay_alu instid0(VALU_DEP_1) | instskip(NEXT) | instid1(VALU_DEP_1)
	v_mad_co_u64_u32 v[20:21], null, v21, 6, v[20:21]
	v_mov_b32_e32 v25, v20
	global_load_b128 v[20:23], v[11:12], off
	s_clause 0x1
	global_load_b32 v26, v[24:25], off
	global_load_u16 v24, v[24:25], off offset:4
	global_load_u16 v25, v[11:12], off offset:16
	v_add_co_u32 v11, vcc_lo, 0x120, v11
	s_wait_alu 0xfffd
	v_add_co_ci_u32_e64 v12, null, 0, v12, vcc_lo
	v_add_co_u32 v15, vcc_lo, v15, 16
	s_wait_alu 0xfffd
	v_add_co_ci_u32_e64 v16, null, 0, v16, vcc_lo
	v_add_co_u32 v13, vcc_lo, 0x80, v13
	s_wait_alu 0xfffd
	v_add_co_ci_u32_e64 v14, null, 0, v14, vcc_lo
	s_delay_alu instid0(VALU_DEP_3)
	v_cmp_ge_i64_e64 s3, v[15:16], v[9:10]
	s_wait_alu 0xfffe
	s_or_b32 s7, s3, s7
	s_wait_loadcnt 0x2
	v_fma_mix_f32 v19, v20, v26, v19 op_sel_hi:[1,1,0]
	v_fma_mix_f32 v18, v21, v26, v18 op_sel:[1,0,0] op_sel_hi:[1,1,0]
	v_fma_mix_f32 v17, v23, v26, v17 op_sel_hi:[1,1,0]
	s_delay_alu instid0(VALU_DEP_3) | instskip(NEXT) | instid1(VALU_DEP_3)
	v_fma_mix_f32 v19, v20, v26, v19 op_sel:[1,1,0] op_sel_hi:[1,1,0]
	v_fma_mix_f32 v18, v22, v26, v18 op_sel:[0,1,0] op_sel_hi:[1,1,0]
	s_delay_alu instid0(VALU_DEP_3) | instskip(SKIP_1) | instid1(VALU_DEP_3)
	v_fma_mix_f32 v17, v23, v26, v17 op_sel:[1,1,0] op_sel_hi:[1,1,0]
	s_wait_loadcnt 0x1
	v_fma_mix_f32 v19, v21, v24, v19 op_sel_hi:[1,1,0]
	s_delay_alu instid0(VALU_DEP_3)
	v_fma_mix_f32 v18, v22, v24, v18 op_sel:[1,0,0] op_sel_hi:[1,1,0]
	s_wait_loadcnt 0x0
	v_fma_mix_f32 v17, v25, v24, v17 op_sel_hi:[1,1,0]
	s_wait_alu 0xfffe
	s_and_not1_b32 exec_lo, exec_lo, s7
	s_cbranch_execnz .LBB102_18
; %bb.19:
	s_or_b32 exec_lo, exec_lo, s7
.LBB102_20:
	s_wait_alu 0xfffe
	s_or_b32 exec_lo, exec_lo, s6
	s_cbranch_execz .LBB102_22
	s_branch .LBB102_27
.LBB102_21:
                                        ; implicit-def: $vgpr17
                                        ; implicit-def: $vgpr18
                                        ; implicit-def: $vgpr19
.LBB102_22:
	v_dual_mov_b32 v17, 0 :: v_dual_mov_b32 v18, 0
	v_mov_b32_e32 v19, 0
	s_and_saveexec_b32 s3, s2
	s_cbranch_execz .LBB102_26
; %bb.23:
	v_lshlrev_b64_e32 v[11:12], 3, v[5:6]
	v_dual_mov_b32 v17, 0 :: v_dual_mov_b32 v18, 0
	v_mov_b32_e32 v19, 0
	s_mov_b32 s6, 0
	s_delay_alu instid0(VALU_DEP_3)
	v_add_co_u32 v11, vcc_lo, s8, v11
	s_wait_alu 0xfffd
	v_add_co_ci_u32_e64 v12, null, s9, v12, vcc_lo
.LBB102_24:                             ; =>This Inner Loop Header: Depth=1
	global_load_b64 v[13:14], v[11:12], off
	s_wait_loadcnt 0x0
	v_sub_co_u32 v13, vcc_lo, v13, v1
	s_wait_alu 0xfffd
	v_sub_co_ci_u32_e64 v14, null, v14, v2, vcc_lo
	s_delay_alu instid0(VALU_DEP_2) | instskip(NEXT) | instid1(VALU_DEP_1)
	v_mad_co_u64_u32 v[20:21], null, v13, 6, s[4:5]
	v_mov_b32_e32 v13, v21
	s_delay_alu instid0(VALU_DEP_1) | instskip(NEXT) | instid1(VALU_DEP_1)
	v_mad_co_u64_u32 v[13:14], null, v14, 6, v[13:14]
	v_mov_b32_e32 v21, v13
	global_load_b128 v[13:16], v[7:8], off
	s_clause 0x1
	global_load_b32 v22, v[20:21], off
	global_load_u16 v20, v[20:21], off offset:4
	global_load_u16 v21, v[7:8], off offset:16
	v_add_co_u32 v7, vcc_lo, 0x120, v7
	s_wait_alu 0xfffd
	v_add_co_ci_u32_e64 v8, null, 0, v8, vcc_lo
	v_add_co_u32 v5, vcc_lo, v5, 16
	s_wait_alu 0xfffd
	v_add_co_ci_u32_e64 v6, null, 0, v6, vcc_lo
	;; [unrolled: 3-line block ×3, first 2 shown]
	s_delay_alu instid0(VALU_DEP_3)
	v_cmp_ge_i64_e64 s2, v[5:6], v[9:10]
	s_wait_alu 0xfffe
	s_or_b32 s6, s2, s6
	s_wait_loadcnt 0x2
	v_fma_mix_f32 v19, v13, v22, v19 op_sel_hi:[1,1,0]
	v_fma_mix_f32 v13, v13, v22, v18 op_sel:[1,0,0] op_sel_hi:[1,1,0]
	v_fma_mix_f32 v17, v14, v22, v17 op_sel_hi:[1,1,0]
	s_delay_alu instid0(VALU_DEP_3) | instskip(NEXT) | instid1(VALU_DEP_3)
	v_fma_mix_f32 v14, v14, v22, v19 op_sel:[1,1,0] op_sel_hi:[1,1,0]
	v_fma_mix_f32 v13, v15, v22, v13 op_sel:[0,1,0] op_sel_hi:[1,1,0]
	s_delay_alu instid0(VALU_DEP_3) | instskip(SKIP_1) | instid1(VALU_DEP_3)
	v_fma_mix_f32 v15, v15, v22, v17 op_sel:[1,1,0] op_sel_hi:[1,1,0]
	s_wait_loadcnt 0x1
	v_fma_mix_f32 v19, v16, v20, v14 op_sel_hi:[1,1,0]
	s_delay_alu instid0(VALU_DEP_3)
	v_fma_mix_f32 v18, v16, v20, v13 op_sel:[1,0,0] op_sel_hi:[1,1,0]
	s_wait_loadcnt 0x0
	v_fma_mix_f32 v17, v21, v20, v15 op_sel_hi:[1,1,0]
	s_wait_alu 0xfffe
	s_and_not1_b32 exec_lo, exec_lo, s6
	s_cbranch_execnz .LBB102_24
; %bb.25:
	s_or_b32 exec_lo, exec_lo, s6
.LBB102_26:
	s_wait_alu 0xfffe
	s_or_b32 exec_lo, exec_lo, s3
.LBB102_27:
	v_mbcnt_lo_u32_b32 v1, -1, 0
	s_mov_b32 s2, -1
	s_delay_alu instid0(VALU_DEP_1) | instskip(SKIP_2) | instid1(VALU_DEP_3)
	v_xor_b32_e32 v2, 8, v1
	v_xor_b32_e32 v7, 4, v1
	;; [unrolled: 1-line block ×3, first 2 shown]
	v_cmp_gt_i32_e32 vcc_lo, 32, v2
	s_wait_alu 0xfffd
	v_cndmask_b32_e32 v2, v1, v2, vcc_lo
	v_cmp_gt_i32_e32 vcc_lo, 32, v7
	s_wait_alu 0xfffd
	v_cndmask_b32_e32 v7, v1, v7, vcc_lo
	v_cmp_gt_i32_e32 vcc_lo, 32, v10
	s_delay_alu instid0(VALU_DEP_2)
	v_lshlrev_b32_e32 v7, 2, v7
	v_lshlrev_b32_e32 v2, 2, v2
	ds_bpermute_b32 v5, v2, v19
	s_wait_dscnt 0x0
	v_add_f32_e32 v5, v19, v5
	ds_bpermute_b32 v6, v2, v18
	ds_bpermute_b32 v2, v2, v17
	;; [unrolled: 1-line block ×3, first 2 shown]
	s_wait_dscnt 0x2
	v_add_f32_e32 v6, v18, v6
	s_wait_dscnt 0x1
	v_add_f32_e32 v2, v17, v2
	;; [unrolled: 2-line block ×3, first 2 shown]
	ds_bpermute_b32 v9, v7, v6
	ds_bpermute_b32 v7, v7, v2
	s_wait_alu 0xfffd
	v_cndmask_b32_e32 v10, v1, v10, vcc_lo
	s_wait_dscnt 0x1
	v_add_f32_e32 v6, v6, v9
	s_wait_dscnt 0x0
	s_delay_alu instid0(VALU_DEP_2) | instskip(SKIP_4) | instid1(VALU_DEP_1)
	v_dual_add_f32 v7, v2, v7 :: v_dual_lshlrev_b32 v10, 2, v10
	ds_bpermute_b32 v2, v10, v5
	ds_bpermute_b32 v8, v10, v6
	;; [unrolled: 1-line block ×3, first 2 shown]
	v_xor_b32_e32 v10, 1, v1
	v_cmp_gt_i32_e32 vcc_lo, 32, v10
	s_wait_alu 0xfffd
	v_cndmask_b32_e32 v1, v1, v10, vcc_lo
	v_cmp_eq_u32_e32 vcc_lo, 15, v0
	s_wait_dscnt 0x2
	s_delay_alu instid0(VALU_DEP_2)
	v_dual_add_f32 v1, v5, v2 :: v_dual_lshlrev_b32 v10, 2, v1
	s_wait_dscnt 0x0
	v_dual_add_f32 v2, v6, v8 :: v_dual_add_f32 v5, v7, v9
	ds_bpermute_b32 v6, v10, v1
	ds_bpermute_b32 v7, v10, v2
	;; [unrolled: 1-line block ×3, first 2 shown]
	s_and_b32 exec_lo, exec_lo, vcc_lo
	s_cbranch_execz .LBB102_10
; %bb.28:
	s_load_b64 s[0:1], s[0:1], 0x58
	s_wait_dscnt 0x1
	v_dual_add_f32 v0, v1, v6 :: v_dual_add_f32 v1, v2, v7
	s_wait_dscnt 0x0
	v_add_f32_e32 v2, v5, v8
	s_cmp_eq_f32 s16, 0
	s_delay_alu instid0(VALU_DEP_2) | instskip(NEXT) | instid1(VALU_DEP_2)
	v_dual_mul_f32 v0, s12, v0 :: v_dual_mul_f32 v1, s12, v1
	v_mul_f32_e32 v2, s12, v2
	s_cbranch_scc0 .LBB102_30
; %bb.29:
	s_wait_kmcnt 0x0
	v_mad_co_u64_u32 v[5:6], null, v3, 12, s[0:1]
	s_mov_b32 s2, 0
	v_mad_co_u64_u32 v[6:7], null, v4, 12, v[6:7]
	global_store_b96 v[5:6], v[0:2], off
.LBB102_30:
	s_wait_alu 0xfffe
	s_and_not1_b32 vcc_lo, exec_lo, s2
	s_wait_alu 0xfffe
	s_cbranch_vccnz .LBB102_10
; %bb.31:
	s_wait_kmcnt 0x0
	v_mad_co_u64_u32 v[6:7], null, v3, 12, s[0:1]
	s_delay_alu instid0(VALU_DEP_1) | instskip(NEXT) | instid1(VALU_DEP_1)
	v_mov_b32_e32 v3, v7
	v_mad_co_u64_u32 v[3:4], null, v4, 12, v[3:4]
	s_delay_alu instid0(VALU_DEP_1)
	v_mov_b32_e32 v7, v3
	global_load_b96 v[3:5], v[6:7], off
	s_wait_loadcnt 0x0
	v_dual_fmac_f32 v0, s16, v3 :: v_dual_fmac_f32 v1, s16, v4
	v_fmac_f32_e32 v2, s16, v5
	global_store_b96 v[6:7], v[0:2], off
	s_endpgm
	.section	.rodata,"a",@progbits
	.p2align	6, 0x0
	.amdhsa_kernel _ZN9rocsparseL18bsrxmvn_3x3_kernelILj256ELj16EfllDF16_DF16_fEEvT3_20rocsparse_direction_NS_24const_host_device_scalarIT1_EES1_PKS1_PKT2_SA_S7_PKT4_PKT5_S5_PT6_21rocsparse_index_base_b
		.amdhsa_group_segment_fixed_size 0
		.amdhsa_private_segment_fixed_size 0
		.amdhsa_kernarg_size 104
		.amdhsa_user_sgpr_count 2
		.amdhsa_user_sgpr_dispatch_ptr 0
		.amdhsa_user_sgpr_queue_ptr 0
		.amdhsa_user_sgpr_kernarg_segment_ptr 1
		.amdhsa_user_sgpr_dispatch_id 0
		.amdhsa_user_sgpr_private_segment_size 0
		.amdhsa_wavefront_size32 1
		.amdhsa_uses_dynamic_stack 0
		.amdhsa_enable_private_segment 0
		.amdhsa_system_sgpr_workgroup_id_x 1
		.amdhsa_system_sgpr_workgroup_id_y 0
		.amdhsa_system_sgpr_workgroup_id_z 0
		.amdhsa_system_sgpr_workgroup_info 0
		.amdhsa_system_vgpr_workitem_id 0
		.amdhsa_next_free_vgpr 27
		.amdhsa_next_free_sgpr 18
		.amdhsa_reserve_vcc 1
		.amdhsa_float_round_mode_32 0
		.amdhsa_float_round_mode_16_64 0
		.amdhsa_float_denorm_mode_32 3
		.amdhsa_float_denorm_mode_16_64 3
		.amdhsa_fp16_overflow 0
		.amdhsa_workgroup_processor_mode 1
		.amdhsa_memory_ordered 1
		.amdhsa_forward_progress 1
		.amdhsa_inst_pref_size 15
		.amdhsa_round_robin_scheduling 0
		.amdhsa_exception_fp_ieee_invalid_op 0
		.amdhsa_exception_fp_denorm_src 0
		.amdhsa_exception_fp_ieee_div_zero 0
		.amdhsa_exception_fp_ieee_overflow 0
		.amdhsa_exception_fp_ieee_underflow 0
		.amdhsa_exception_fp_ieee_inexact 0
		.amdhsa_exception_int_div_zero 0
	.end_amdhsa_kernel
	.section	.text._ZN9rocsparseL18bsrxmvn_3x3_kernelILj256ELj16EfllDF16_DF16_fEEvT3_20rocsparse_direction_NS_24const_host_device_scalarIT1_EES1_PKS1_PKT2_SA_S7_PKT4_PKT5_S5_PT6_21rocsparse_index_base_b,"axG",@progbits,_ZN9rocsparseL18bsrxmvn_3x3_kernelILj256ELj16EfllDF16_DF16_fEEvT3_20rocsparse_direction_NS_24const_host_device_scalarIT1_EES1_PKS1_PKT2_SA_S7_PKT4_PKT5_S5_PT6_21rocsparse_index_base_b,comdat
.Lfunc_end102:
	.size	_ZN9rocsparseL18bsrxmvn_3x3_kernelILj256ELj16EfllDF16_DF16_fEEvT3_20rocsparse_direction_NS_24const_host_device_scalarIT1_EES1_PKS1_PKT2_SA_S7_PKT4_PKT5_S5_PT6_21rocsparse_index_base_b, .Lfunc_end102-_ZN9rocsparseL18bsrxmvn_3x3_kernelILj256ELj16EfllDF16_DF16_fEEvT3_20rocsparse_direction_NS_24const_host_device_scalarIT1_EES1_PKS1_PKT2_SA_S7_PKT4_PKT5_S5_PT6_21rocsparse_index_base_b
                                        ; -- End function
	.set _ZN9rocsparseL18bsrxmvn_3x3_kernelILj256ELj16EfllDF16_DF16_fEEvT3_20rocsparse_direction_NS_24const_host_device_scalarIT1_EES1_PKS1_PKT2_SA_S7_PKT4_PKT5_S5_PT6_21rocsparse_index_base_b.num_vgpr, 27
	.set _ZN9rocsparseL18bsrxmvn_3x3_kernelILj256ELj16EfllDF16_DF16_fEEvT3_20rocsparse_direction_NS_24const_host_device_scalarIT1_EES1_PKS1_PKT2_SA_S7_PKT4_PKT5_S5_PT6_21rocsparse_index_base_b.num_agpr, 0
	.set _ZN9rocsparseL18bsrxmvn_3x3_kernelILj256ELj16EfllDF16_DF16_fEEvT3_20rocsparse_direction_NS_24const_host_device_scalarIT1_EES1_PKS1_PKT2_SA_S7_PKT4_PKT5_S5_PT6_21rocsparse_index_base_b.numbered_sgpr, 18
	.set _ZN9rocsparseL18bsrxmvn_3x3_kernelILj256ELj16EfllDF16_DF16_fEEvT3_20rocsparse_direction_NS_24const_host_device_scalarIT1_EES1_PKS1_PKT2_SA_S7_PKT4_PKT5_S5_PT6_21rocsparse_index_base_b.num_named_barrier, 0
	.set _ZN9rocsparseL18bsrxmvn_3x3_kernelILj256ELj16EfllDF16_DF16_fEEvT3_20rocsparse_direction_NS_24const_host_device_scalarIT1_EES1_PKS1_PKT2_SA_S7_PKT4_PKT5_S5_PT6_21rocsparse_index_base_b.private_seg_size, 0
	.set _ZN9rocsparseL18bsrxmvn_3x3_kernelILj256ELj16EfllDF16_DF16_fEEvT3_20rocsparse_direction_NS_24const_host_device_scalarIT1_EES1_PKS1_PKT2_SA_S7_PKT4_PKT5_S5_PT6_21rocsparse_index_base_b.uses_vcc, 1
	.set _ZN9rocsparseL18bsrxmvn_3x3_kernelILj256ELj16EfllDF16_DF16_fEEvT3_20rocsparse_direction_NS_24const_host_device_scalarIT1_EES1_PKS1_PKT2_SA_S7_PKT4_PKT5_S5_PT6_21rocsparse_index_base_b.uses_flat_scratch, 0
	.set _ZN9rocsparseL18bsrxmvn_3x3_kernelILj256ELj16EfllDF16_DF16_fEEvT3_20rocsparse_direction_NS_24const_host_device_scalarIT1_EES1_PKS1_PKT2_SA_S7_PKT4_PKT5_S5_PT6_21rocsparse_index_base_b.has_dyn_sized_stack, 0
	.set _ZN9rocsparseL18bsrxmvn_3x3_kernelILj256ELj16EfllDF16_DF16_fEEvT3_20rocsparse_direction_NS_24const_host_device_scalarIT1_EES1_PKS1_PKT2_SA_S7_PKT4_PKT5_S5_PT6_21rocsparse_index_base_b.has_recursion, 0
	.set _ZN9rocsparseL18bsrxmvn_3x3_kernelILj256ELj16EfllDF16_DF16_fEEvT3_20rocsparse_direction_NS_24const_host_device_scalarIT1_EES1_PKS1_PKT2_SA_S7_PKT4_PKT5_S5_PT6_21rocsparse_index_base_b.has_indirect_call, 0
	.section	.AMDGPU.csdata,"",@progbits
; Kernel info:
; codeLenInByte = 1900
; TotalNumSgprs: 20
; NumVgprs: 27
; ScratchSize: 0
; MemoryBound: 0
; FloatMode: 240
; IeeeMode: 1
; LDSByteSize: 0 bytes/workgroup (compile time only)
; SGPRBlocks: 0
; VGPRBlocks: 3
; NumSGPRsForWavesPerEU: 20
; NumVGPRsForWavesPerEU: 27
; Occupancy: 16
; WaveLimiterHint : 1
; COMPUTE_PGM_RSRC2:SCRATCH_EN: 0
; COMPUTE_PGM_RSRC2:USER_SGPR: 2
; COMPUTE_PGM_RSRC2:TRAP_HANDLER: 0
; COMPUTE_PGM_RSRC2:TGID_X_EN: 1
; COMPUTE_PGM_RSRC2:TGID_Y_EN: 0
; COMPUTE_PGM_RSRC2:TGID_Z_EN: 0
; COMPUTE_PGM_RSRC2:TIDIG_COMP_CNT: 0
	.section	.text._ZN9rocsparseL18bsrxmvn_3x3_kernelILj256ELj32EfllDF16_DF16_fEEvT3_20rocsparse_direction_NS_24const_host_device_scalarIT1_EES1_PKS1_PKT2_SA_S7_PKT4_PKT5_S5_PT6_21rocsparse_index_base_b,"axG",@progbits,_ZN9rocsparseL18bsrxmvn_3x3_kernelILj256ELj32EfllDF16_DF16_fEEvT3_20rocsparse_direction_NS_24const_host_device_scalarIT1_EES1_PKS1_PKT2_SA_S7_PKT4_PKT5_S5_PT6_21rocsparse_index_base_b,comdat
	.globl	_ZN9rocsparseL18bsrxmvn_3x3_kernelILj256ELj32EfllDF16_DF16_fEEvT3_20rocsparse_direction_NS_24const_host_device_scalarIT1_EES1_PKS1_PKT2_SA_S7_PKT4_PKT5_S5_PT6_21rocsparse_index_base_b ; -- Begin function _ZN9rocsparseL18bsrxmvn_3x3_kernelILj256ELj32EfllDF16_DF16_fEEvT3_20rocsparse_direction_NS_24const_host_device_scalarIT1_EES1_PKS1_PKT2_SA_S7_PKT4_PKT5_S5_PT6_21rocsparse_index_base_b
	.p2align	8
	.type	_ZN9rocsparseL18bsrxmvn_3x3_kernelILj256ELj32EfllDF16_DF16_fEEvT3_20rocsparse_direction_NS_24const_host_device_scalarIT1_EES1_PKS1_PKT2_SA_S7_PKT4_PKT5_S5_PT6_21rocsparse_index_base_b,@function
_ZN9rocsparseL18bsrxmvn_3x3_kernelILj256ELj32EfllDF16_DF16_fEEvT3_20rocsparse_direction_NS_24const_host_device_scalarIT1_EES1_PKS1_PKT2_SA_S7_PKT4_PKT5_S5_PT6_21rocsparse_index_base_b: ; @_ZN9rocsparseL18bsrxmvn_3x3_kernelILj256ELj32EfllDF16_DF16_fEEvT3_20rocsparse_direction_NS_24const_host_device_scalarIT1_EES1_PKS1_PKT2_SA_S7_PKT4_PKT5_S5_PT6_21rocsparse_index_base_b
; %bb.0:
	s_clause 0x2
	s_load_b64 s[2:3], s[0:1], 0x60
	s_load_b128 s[12:15], s[0:1], 0x10
	s_load_b64 s[16:17], s[0:1], 0x50
	s_wait_kmcnt 0x0
	s_bitcmp1_b32 s3, 0
	s_cselect_b32 s3, -1, 0
	s_delay_alu instid0(SALU_CYCLE_1)
	s_and_b32 vcc_lo, exec_lo, s3
	s_xor_b32 s3, s3, -1
	s_cbranch_vccnz .LBB103_2
; %bb.1:
	s_load_b32 s12, s[12:13], 0x0
.LBB103_2:
	s_and_not1_b32 vcc_lo, exec_lo, s3
	s_cbranch_vccnz .LBB103_4
; %bb.3:
	s_load_b32 s16, s[16:17], 0x0
.LBB103_4:
	s_wait_kmcnt 0x0
	s_cmp_neq_f32 s12, 0
	s_mov_b32 s6, 0
	s_cselect_b32 s3, -1, 0
	s_cmp_neq_f32 s16, 1.0
	s_cselect_b32 s4, -1, 0
	s_delay_alu instid0(SALU_CYCLE_1) | instskip(NEXT) | instid1(SALU_CYCLE_1)
	s_or_b32 s3, s3, s4
	s_and_not1_b32 vcc_lo, exec_lo, s3
	s_cbranch_vccnz .LBB103_10
; %bb.5:
	s_load_b64 s[4:5], s[0:1], 0x20
	v_lshrrev_b32_e32 v1, 5, v0
	v_mov_b32_e32 v6, 0
	s_delay_alu instid0(VALU_DEP_2)
	v_lshl_or_b32 v5, ttmp9, 3, v1
	s_wait_kmcnt 0x0
	s_cmp_lg_u64 s[4:5], 0
	s_cbranch_scc0 .LBB103_11
; %bb.6:
	s_mov_b32 s7, 0
                                        ; implicit-def: $vgpr3_vgpr4
                                        ; implicit-def: $vgpr1_vgpr2
	s_mov_b32 s3, exec_lo
	v_cmpx_gt_i64_e64 s[14:15], v[5:6]
	s_xor_b32 s8, exec_lo, s3
	s_cbranch_execz .LBB103_8
; %bb.7:
	v_lshlrev_b64_e32 v[1:2], 3, v[5:6]
	s_mov_b32 s3, 0
	s_mov_b32 s6, exec_lo
	s_delay_alu instid0(VALU_DEP_1) | instskip(NEXT) | instid1(VALU_DEP_1)
	v_add_co_u32 v1, vcc_lo, s4, v1
	v_add_co_ci_u32_e64 v2, null, s5, v2, vcc_lo
	global_load_b64 v[1:2], v[1:2], off
	s_wait_loadcnt 0x0
	v_sub_co_u32 v3, vcc_lo, v1, s2
	s_wait_alu 0xfffd
	v_subrev_co_ci_u32_e64 v4, null, 0, v2, vcc_lo
	v_dual_mov_b32 v1, s2 :: v_dual_mov_b32 v2, s3
.LBB103_8:
	s_or_b32 exec_lo, exec_lo, s8
	s_delay_alu instid0(SALU_CYCLE_1)
	s_and_b32 vcc_lo, exec_lo, s7
	s_wait_alu 0xfffe
	s_cbranch_vccnz .LBB103_12
.LBB103_9:
	s_and_saveexec_b32 s2, s6
	s_cbranch_execnz .LBB103_15
.LBB103_10:
	s_endpgm
.LBB103_11:
                                        ; implicit-def: $vgpr3_vgpr4
                                        ; implicit-def: $vgpr1_vgpr2
	s_cbranch_execz .LBB103_9
.LBB103_12:
	s_load_b64 s[4:5], s[0:1], 0x0
	s_wait_kmcnt 0x0
	v_cmp_gt_i64_e32 vcc_lo, s[4:5], v[5:6]
	s_and_saveexec_b32 s4, vcc_lo
; %bb.13:
	s_mov_b32 s3, 0
	s_or_b32 s6, s6, exec_lo
; %bb.14:
	s_wait_alu 0xfffe
	s_or_b32 exec_lo, exec_lo, s4
	v_dual_mov_b32 v1, s2 :: v_dual_mov_b32 v2, s3
	v_dual_mov_b32 v3, v5 :: v_dual_mov_b32 v4, v6
	s_and_saveexec_b32 s2, s6
	s_cbranch_execz .LBB103_10
.LBB103_15:
	s_load_b256 s[4:11], s[0:1], 0x28
	s_delay_alu instid0(VALU_DEP_1) | instskip(SKIP_2) | instid1(VALU_DEP_2)
	v_lshlrev_b64_e32 v[5:6], 3, v[3:4]
	v_dual_mov_b32 v17, 0 :: v_dual_and_b32 v0, 31, v0
	s_wait_kmcnt 0x0
	v_add_co_u32 v7, vcc_lo, s4, v5
	s_wait_alu 0xfffd
	s_delay_alu instid0(VALU_DEP_3)
	v_add_co_ci_u32_e64 v8, null, s5, v6, vcc_lo
	v_add_co_u32 v5, vcc_lo, s6, v5
	s_wait_alu 0xfffd
	v_add_co_ci_u32_e64 v6, null, s7, v6, vcc_lo
	global_load_b64 v[9:10], v[7:8], off
	v_add_co_u32 v7, vcc_lo, v7, 8
	s_wait_alu 0xfffd
	v_add_co_ci_u32_e64 v8, null, 0, v8, vcc_lo
	s_cmp_eq_u64 s[6:7], 0
	s_cselect_b32 vcc_lo, -1, 0
	s_wait_alu 0xfffe
	v_dual_cndmask_b32 v6, v6, v8 :: v_dual_cndmask_b32 v5, v5, v7
	global_load_b64 v[11:12], v[5:6], off
	s_clause 0x1
	s_load_b32 s3, s[0:1], 0x8
	s_load_b64 s[4:5], s[0:1], 0x48
	s_wait_kmcnt 0x0
	s_cmp_eq_u32 s3, 1
	s_wait_loadcnt 0x1
	v_sub_co_u32 v5, vcc_lo, v9, v1
	s_wait_alu 0xfffd
	v_sub_co_ci_u32_e64 v6, null, v10, v2, vcc_lo
	s_delay_alu instid0(VALU_DEP_2) | instskip(SKIP_1) | instid1(VALU_DEP_2)
	v_add_co_u32 v5, vcc_lo, v5, v0
	s_wait_alu 0xfffd
	v_add_co_ci_u32_e64 v6, null, 0, v6, vcc_lo
	s_delay_alu instid0(VALU_DEP_2) | instskip(NEXT) | instid1(VALU_DEP_1)
	v_mad_co_u64_u32 v[7:8], null, v5, 18, s[10:11]
	v_mad_co_u64_u32 v[8:9], null, v6, 18, v[8:9]
	s_wait_loadcnt 0x0
	v_sub_co_u32 v9, vcc_lo, v11, v1
	s_wait_alu 0xfffd
	v_sub_co_ci_u32_e64 v10, null, v12, v2, vcc_lo
	s_delay_alu instid0(VALU_DEP_1)
	v_cmp_lt_i64_e64 s2, v[5:6], v[9:10]
	s_cbranch_scc1 .LBB103_21
; %bb.16:
	v_dual_mov_b32 v18, 0 :: v_dual_mov_b32 v19, 0
	s_and_saveexec_b32 s6, s2
	s_cbranch_execz .LBB103_20
; %bb.17:
	v_lshlrev_b64_e32 v[13:14], 3, v[5:6]
	v_dual_mov_b32 v17, 0 :: v_dual_mov_b32 v12, v8
	v_dual_mov_b32 v11, v7 :: v_dual_mov_b32 v16, v6
	;; [unrolled: 1-line block ×3, first 2 shown]
	s_delay_alu instid0(VALU_DEP_4)
	v_add_co_u32 v13, vcc_lo, s8, v13
	s_wait_alu 0xfffd
	v_add_co_ci_u32_e64 v14, null, s9, v14, vcc_lo
	v_mov_b32_e32 v19, 0
	s_mov_b32 s7, 0
.LBB103_18:                             ; =>This Inner Loop Header: Depth=1
	global_load_b64 v[20:21], v[13:14], off
	s_wait_loadcnt 0x0
	v_sub_co_u32 v20, vcc_lo, v20, v1
	s_wait_alu 0xfffd
	v_sub_co_ci_u32_e64 v21, null, v21, v2, vcc_lo
	s_delay_alu instid0(VALU_DEP_2) | instskip(NEXT) | instid1(VALU_DEP_1)
	v_mad_co_u64_u32 v[24:25], null, v20, 6, s[4:5]
	v_mov_b32_e32 v20, v25
	s_delay_alu instid0(VALU_DEP_1) | instskip(NEXT) | instid1(VALU_DEP_1)
	v_mad_co_u64_u32 v[20:21], null, v21, 6, v[20:21]
	v_mov_b32_e32 v25, v20
	global_load_b128 v[20:23], v[11:12], off
	s_clause 0x1
	global_load_b32 v26, v[24:25], off
	global_load_u16 v24, v[24:25], off offset:4
	global_load_u16 v25, v[11:12], off offset:16
	v_add_co_u32 v11, vcc_lo, 0x240, v11
	s_wait_alu 0xfffd
	v_add_co_ci_u32_e64 v12, null, 0, v12, vcc_lo
	v_add_co_u32 v15, vcc_lo, v15, 32
	s_wait_alu 0xfffd
	v_add_co_ci_u32_e64 v16, null, 0, v16, vcc_lo
	;; [unrolled: 3-line block ×3, first 2 shown]
	s_delay_alu instid0(VALU_DEP_3)
	v_cmp_ge_i64_e64 s3, v[15:16], v[9:10]
	s_wait_alu 0xfffe
	s_or_b32 s7, s3, s7
	s_wait_loadcnt 0x2
	v_fma_mix_f32 v19, v20, v26, v19 op_sel_hi:[1,1,0]
	v_fma_mix_f32 v18, v21, v26, v18 op_sel:[1,0,0] op_sel_hi:[1,1,0]
	v_fma_mix_f32 v17, v23, v26, v17 op_sel_hi:[1,1,0]
	s_delay_alu instid0(VALU_DEP_3) | instskip(NEXT) | instid1(VALU_DEP_3)
	v_fma_mix_f32 v19, v20, v26, v19 op_sel:[1,1,0] op_sel_hi:[1,1,0]
	v_fma_mix_f32 v18, v22, v26, v18 op_sel:[0,1,0] op_sel_hi:[1,1,0]
	s_delay_alu instid0(VALU_DEP_3) | instskip(SKIP_1) | instid1(VALU_DEP_3)
	v_fma_mix_f32 v17, v23, v26, v17 op_sel:[1,1,0] op_sel_hi:[1,1,0]
	s_wait_loadcnt 0x1
	v_fma_mix_f32 v19, v21, v24, v19 op_sel_hi:[1,1,0]
	s_delay_alu instid0(VALU_DEP_3)
	v_fma_mix_f32 v18, v22, v24, v18 op_sel:[1,0,0] op_sel_hi:[1,1,0]
	s_wait_loadcnt 0x0
	v_fma_mix_f32 v17, v25, v24, v17 op_sel_hi:[1,1,0]
	s_wait_alu 0xfffe
	s_and_not1_b32 exec_lo, exec_lo, s7
	s_cbranch_execnz .LBB103_18
; %bb.19:
	s_or_b32 exec_lo, exec_lo, s7
.LBB103_20:
	s_wait_alu 0xfffe
	s_or_b32 exec_lo, exec_lo, s6
	s_cbranch_execz .LBB103_22
	s_branch .LBB103_27
.LBB103_21:
                                        ; implicit-def: $vgpr17
                                        ; implicit-def: $vgpr18
                                        ; implicit-def: $vgpr19
.LBB103_22:
	v_dual_mov_b32 v17, 0 :: v_dual_mov_b32 v18, 0
	v_mov_b32_e32 v19, 0
	s_and_saveexec_b32 s3, s2
	s_cbranch_execz .LBB103_26
; %bb.23:
	v_lshlrev_b64_e32 v[11:12], 3, v[5:6]
	v_dual_mov_b32 v17, 0 :: v_dual_mov_b32 v18, 0
	v_mov_b32_e32 v19, 0
	s_mov_b32 s6, 0
	s_delay_alu instid0(VALU_DEP_3)
	v_add_co_u32 v11, vcc_lo, s8, v11
	s_wait_alu 0xfffd
	v_add_co_ci_u32_e64 v12, null, s9, v12, vcc_lo
.LBB103_24:                             ; =>This Inner Loop Header: Depth=1
	global_load_b64 v[13:14], v[11:12], off
	s_wait_loadcnt 0x0
	v_sub_co_u32 v13, vcc_lo, v13, v1
	s_wait_alu 0xfffd
	v_sub_co_ci_u32_e64 v14, null, v14, v2, vcc_lo
	s_delay_alu instid0(VALU_DEP_2) | instskip(NEXT) | instid1(VALU_DEP_1)
	v_mad_co_u64_u32 v[20:21], null, v13, 6, s[4:5]
	v_mov_b32_e32 v13, v21
	s_delay_alu instid0(VALU_DEP_1) | instskip(NEXT) | instid1(VALU_DEP_1)
	v_mad_co_u64_u32 v[13:14], null, v14, 6, v[13:14]
	v_mov_b32_e32 v21, v13
	global_load_b128 v[13:16], v[7:8], off
	s_clause 0x1
	global_load_b32 v22, v[20:21], off
	global_load_u16 v20, v[20:21], off offset:4
	global_load_u16 v21, v[7:8], off offset:16
	v_add_co_u32 v7, vcc_lo, 0x240, v7
	s_wait_alu 0xfffd
	v_add_co_ci_u32_e64 v8, null, 0, v8, vcc_lo
	v_add_co_u32 v5, vcc_lo, v5, 32
	s_wait_alu 0xfffd
	v_add_co_ci_u32_e64 v6, null, 0, v6, vcc_lo
	;; [unrolled: 3-line block ×3, first 2 shown]
	s_delay_alu instid0(VALU_DEP_3)
	v_cmp_ge_i64_e64 s2, v[5:6], v[9:10]
	s_wait_alu 0xfffe
	s_or_b32 s6, s2, s6
	s_wait_loadcnt 0x2
	v_fma_mix_f32 v19, v13, v22, v19 op_sel_hi:[1,1,0]
	v_fma_mix_f32 v13, v13, v22, v18 op_sel:[1,0,0] op_sel_hi:[1,1,0]
	v_fma_mix_f32 v17, v14, v22, v17 op_sel_hi:[1,1,0]
	s_delay_alu instid0(VALU_DEP_3) | instskip(NEXT) | instid1(VALU_DEP_3)
	v_fma_mix_f32 v14, v14, v22, v19 op_sel:[1,1,0] op_sel_hi:[1,1,0]
	v_fma_mix_f32 v13, v15, v22, v13 op_sel:[0,1,0] op_sel_hi:[1,1,0]
	s_delay_alu instid0(VALU_DEP_3) | instskip(SKIP_1) | instid1(VALU_DEP_3)
	v_fma_mix_f32 v15, v15, v22, v17 op_sel:[1,1,0] op_sel_hi:[1,1,0]
	s_wait_loadcnt 0x1
	v_fma_mix_f32 v19, v16, v20, v14 op_sel_hi:[1,1,0]
	s_delay_alu instid0(VALU_DEP_3)
	v_fma_mix_f32 v18, v16, v20, v13 op_sel:[1,0,0] op_sel_hi:[1,1,0]
	s_wait_loadcnt 0x0
	v_fma_mix_f32 v17, v21, v20, v15 op_sel_hi:[1,1,0]
	s_wait_alu 0xfffe
	s_and_not1_b32 exec_lo, exec_lo, s6
	s_cbranch_execnz .LBB103_24
; %bb.25:
	s_or_b32 exec_lo, exec_lo, s6
.LBB103_26:
	s_wait_alu 0xfffe
	s_or_b32 exec_lo, exec_lo, s3
.LBB103_27:
	v_mbcnt_lo_u32_b32 v1, -1, 0
	s_mov_b32 s2, -1
	s_delay_alu instid0(VALU_DEP_1) | instskip(SKIP_2) | instid1(VALU_DEP_3)
	v_xor_b32_e32 v2, 16, v1
	v_xor_b32_e32 v7, 8, v1
	v_xor_b32_e32 v10, 4, v1
	v_cmp_gt_i32_e32 vcc_lo, 32, v2
	s_wait_alu 0xfffd
	v_cndmask_b32_e32 v2, v1, v2, vcc_lo
	v_cmp_gt_i32_e32 vcc_lo, 32, v7
	s_wait_alu 0xfffd
	v_cndmask_b32_e32 v7, v1, v7, vcc_lo
	v_cmp_gt_i32_e32 vcc_lo, 32, v10
	s_delay_alu instid0(VALU_DEP_2)
	v_lshlrev_b32_e32 v7, 2, v7
	v_lshlrev_b32_e32 v2, 2, v2
	ds_bpermute_b32 v5, v2, v19
	s_wait_dscnt 0x0
	v_add_f32_e32 v5, v19, v5
	ds_bpermute_b32 v6, v2, v18
	ds_bpermute_b32 v2, v2, v17
	;; [unrolled: 1-line block ×3, first 2 shown]
	s_wait_dscnt 0x2
	v_add_f32_e32 v6, v18, v6
	s_wait_dscnt 0x1
	v_add_f32_e32 v2, v17, v2
	;; [unrolled: 2-line block ×3, first 2 shown]
	ds_bpermute_b32 v9, v7, v6
	ds_bpermute_b32 v7, v7, v2
	s_wait_dscnt 0x0
	v_add_f32_e32 v2, v2, v7
	s_wait_alu 0xfffd
	v_cndmask_b32_e32 v10, v1, v10, vcc_lo
	s_delay_alu instid0(VALU_DEP_1)
	v_lshlrev_b32_e32 v10, 2, v10
	ds_bpermute_b32 v7, v10, v5
	v_add_f32_e32 v6, v6, v9
	ds_bpermute_b32 v9, v10, v2
	s_wait_dscnt 0x1
	v_add_f32_e32 v5, v5, v7
	ds_bpermute_b32 v8, v10, v6
	v_xor_b32_e32 v10, 2, v1
	s_wait_dscnt 0x1
	v_add_f32_e32 v7, v2, v9
	s_delay_alu instid0(VALU_DEP_2) | instskip(SKIP_2) | instid1(VALU_DEP_1)
	v_cmp_gt_i32_e32 vcc_lo, 32, v10
	s_wait_alu 0xfffd
	v_cndmask_b32_e32 v10, v1, v10, vcc_lo
	v_lshlrev_b32_e32 v10, 2, v10
	ds_bpermute_b32 v2, v10, v5
	s_wait_dscnt 0x1
	v_add_f32_e32 v6, v6, v8
	ds_bpermute_b32 v9, v10, v7
	ds_bpermute_b32 v8, v10, v6
	v_xor_b32_e32 v10, 1, v1
	s_delay_alu instid0(VALU_DEP_1) | instskip(SKIP_4) | instid1(VALU_DEP_2)
	v_cmp_gt_i32_e32 vcc_lo, 32, v10
	s_wait_alu 0xfffd
	v_cndmask_b32_e32 v1, v1, v10, vcc_lo
	v_cmp_eq_u32_e32 vcc_lo, 31, v0
	s_wait_dscnt 0x2
	v_dual_add_f32 v1, v5, v2 :: v_dual_lshlrev_b32 v10, 2, v1
	s_wait_dscnt 0x0
	v_dual_add_f32 v5, v7, v9 :: v_dual_add_f32 v2, v6, v8
	ds_bpermute_b32 v6, v10, v1
	ds_bpermute_b32 v8, v10, v5
	;; [unrolled: 1-line block ×3, first 2 shown]
	s_and_b32 exec_lo, exec_lo, vcc_lo
	s_cbranch_execz .LBB103_10
; %bb.28:
	s_load_b64 s[0:1], s[0:1], 0x58
	s_wait_dscnt 0x0
	v_dual_add_f32 v0, v1, v6 :: v_dual_add_f32 v1, v2, v7
	v_add_f32_e32 v2, v5, v8
	s_cmp_eq_f32 s16, 0
	s_delay_alu instid0(VALU_DEP_2) | instskip(NEXT) | instid1(VALU_DEP_2)
	v_dual_mul_f32 v0, s12, v0 :: v_dual_mul_f32 v1, s12, v1
	v_mul_f32_e32 v2, s12, v2
	s_cbranch_scc0 .LBB103_30
; %bb.29:
	s_wait_kmcnt 0x0
	v_mad_co_u64_u32 v[5:6], null, v3, 12, s[0:1]
	s_mov_b32 s2, 0
	v_mad_co_u64_u32 v[6:7], null, v4, 12, v[6:7]
	global_store_b96 v[5:6], v[0:2], off
.LBB103_30:
	s_wait_alu 0xfffe
	s_and_not1_b32 vcc_lo, exec_lo, s2
	s_wait_alu 0xfffe
	s_cbranch_vccnz .LBB103_10
; %bb.31:
	s_wait_kmcnt 0x0
	v_mad_co_u64_u32 v[6:7], null, v3, 12, s[0:1]
	s_delay_alu instid0(VALU_DEP_1) | instskip(NEXT) | instid1(VALU_DEP_1)
	v_mov_b32_e32 v3, v7
	v_mad_co_u64_u32 v[3:4], null, v4, 12, v[3:4]
	s_delay_alu instid0(VALU_DEP_1)
	v_mov_b32_e32 v7, v3
	global_load_b96 v[3:5], v[6:7], off
	s_wait_loadcnt 0x0
	v_dual_fmac_f32 v0, s16, v3 :: v_dual_fmac_f32 v1, s16, v4
	v_fmac_f32_e32 v2, s16, v5
	global_store_b96 v[6:7], v[0:2], off
	s_endpgm
	.section	.rodata,"a",@progbits
	.p2align	6, 0x0
	.amdhsa_kernel _ZN9rocsparseL18bsrxmvn_3x3_kernelILj256ELj32EfllDF16_DF16_fEEvT3_20rocsparse_direction_NS_24const_host_device_scalarIT1_EES1_PKS1_PKT2_SA_S7_PKT4_PKT5_S5_PT6_21rocsparse_index_base_b
		.amdhsa_group_segment_fixed_size 0
		.amdhsa_private_segment_fixed_size 0
		.amdhsa_kernarg_size 104
		.amdhsa_user_sgpr_count 2
		.amdhsa_user_sgpr_dispatch_ptr 0
		.amdhsa_user_sgpr_queue_ptr 0
		.amdhsa_user_sgpr_kernarg_segment_ptr 1
		.amdhsa_user_sgpr_dispatch_id 0
		.amdhsa_user_sgpr_private_segment_size 0
		.amdhsa_wavefront_size32 1
		.amdhsa_uses_dynamic_stack 0
		.amdhsa_enable_private_segment 0
		.amdhsa_system_sgpr_workgroup_id_x 1
		.amdhsa_system_sgpr_workgroup_id_y 0
		.amdhsa_system_sgpr_workgroup_id_z 0
		.amdhsa_system_sgpr_workgroup_info 0
		.amdhsa_system_vgpr_workitem_id 0
		.amdhsa_next_free_vgpr 27
		.amdhsa_next_free_sgpr 18
		.amdhsa_reserve_vcc 1
		.amdhsa_float_round_mode_32 0
		.amdhsa_float_round_mode_16_64 0
		.amdhsa_float_denorm_mode_32 3
		.amdhsa_float_denorm_mode_16_64 3
		.amdhsa_fp16_overflow 0
		.amdhsa_workgroup_processor_mode 1
		.amdhsa_memory_ordered 1
		.amdhsa_forward_progress 1
		.amdhsa_inst_pref_size 16
		.amdhsa_round_robin_scheduling 0
		.amdhsa_exception_fp_ieee_invalid_op 0
		.amdhsa_exception_fp_denorm_src 0
		.amdhsa_exception_fp_ieee_div_zero 0
		.amdhsa_exception_fp_ieee_overflow 0
		.amdhsa_exception_fp_ieee_underflow 0
		.amdhsa_exception_fp_ieee_inexact 0
		.amdhsa_exception_int_div_zero 0
	.end_amdhsa_kernel
	.section	.text._ZN9rocsparseL18bsrxmvn_3x3_kernelILj256ELj32EfllDF16_DF16_fEEvT3_20rocsparse_direction_NS_24const_host_device_scalarIT1_EES1_PKS1_PKT2_SA_S7_PKT4_PKT5_S5_PT6_21rocsparse_index_base_b,"axG",@progbits,_ZN9rocsparseL18bsrxmvn_3x3_kernelILj256ELj32EfllDF16_DF16_fEEvT3_20rocsparse_direction_NS_24const_host_device_scalarIT1_EES1_PKS1_PKT2_SA_S7_PKT4_PKT5_S5_PT6_21rocsparse_index_base_b,comdat
.Lfunc_end103:
	.size	_ZN9rocsparseL18bsrxmvn_3x3_kernelILj256ELj32EfllDF16_DF16_fEEvT3_20rocsparse_direction_NS_24const_host_device_scalarIT1_EES1_PKS1_PKT2_SA_S7_PKT4_PKT5_S5_PT6_21rocsparse_index_base_b, .Lfunc_end103-_ZN9rocsparseL18bsrxmvn_3x3_kernelILj256ELj32EfllDF16_DF16_fEEvT3_20rocsparse_direction_NS_24const_host_device_scalarIT1_EES1_PKS1_PKT2_SA_S7_PKT4_PKT5_S5_PT6_21rocsparse_index_base_b
                                        ; -- End function
	.set _ZN9rocsparseL18bsrxmvn_3x3_kernelILj256ELj32EfllDF16_DF16_fEEvT3_20rocsparse_direction_NS_24const_host_device_scalarIT1_EES1_PKS1_PKT2_SA_S7_PKT4_PKT5_S5_PT6_21rocsparse_index_base_b.num_vgpr, 27
	.set _ZN9rocsparseL18bsrxmvn_3x3_kernelILj256ELj32EfllDF16_DF16_fEEvT3_20rocsparse_direction_NS_24const_host_device_scalarIT1_EES1_PKS1_PKT2_SA_S7_PKT4_PKT5_S5_PT6_21rocsparse_index_base_b.num_agpr, 0
	.set _ZN9rocsparseL18bsrxmvn_3x3_kernelILj256ELj32EfllDF16_DF16_fEEvT3_20rocsparse_direction_NS_24const_host_device_scalarIT1_EES1_PKS1_PKT2_SA_S7_PKT4_PKT5_S5_PT6_21rocsparse_index_base_b.numbered_sgpr, 18
	.set _ZN9rocsparseL18bsrxmvn_3x3_kernelILj256ELj32EfllDF16_DF16_fEEvT3_20rocsparse_direction_NS_24const_host_device_scalarIT1_EES1_PKS1_PKT2_SA_S7_PKT4_PKT5_S5_PT6_21rocsparse_index_base_b.num_named_barrier, 0
	.set _ZN9rocsparseL18bsrxmvn_3x3_kernelILj256ELj32EfllDF16_DF16_fEEvT3_20rocsparse_direction_NS_24const_host_device_scalarIT1_EES1_PKS1_PKT2_SA_S7_PKT4_PKT5_S5_PT6_21rocsparse_index_base_b.private_seg_size, 0
	.set _ZN9rocsparseL18bsrxmvn_3x3_kernelILj256ELj32EfllDF16_DF16_fEEvT3_20rocsparse_direction_NS_24const_host_device_scalarIT1_EES1_PKS1_PKT2_SA_S7_PKT4_PKT5_S5_PT6_21rocsparse_index_base_b.uses_vcc, 1
	.set _ZN9rocsparseL18bsrxmvn_3x3_kernelILj256ELj32EfllDF16_DF16_fEEvT3_20rocsparse_direction_NS_24const_host_device_scalarIT1_EES1_PKS1_PKT2_SA_S7_PKT4_PKT5_S5_PT6_21rocsparse_index_base_b.uses_flat_scratch, 0
	.set _ZN9rocsparseL18bsrxmvn_3x3_kernelILj256ELj32EfllDF16_DF16_fEEvT3_20rocsparse_direction_NS_24const_host_device_scalarIT1_EES1_PKS1_PKT2_SA_S7_PKT4_PKT5_S5_PT6_21rocsparse_index_base_b.has_dyn_sized_stack, 0
	.set _ZN9rocsparseL18bsrxmvn_3x3_kernelILj256ELj32EfllDF16_DF16_fEEvT3_20rocsparse_direction_NS_24const_host_device_scalarIT1_EES1_PKS1_PKT2_SA_S7_PKT4_PKT5_S5_PT6_21rocsparse_index_base_b.has_recursion, 0
	.set _ZN9rocsparseL18bsrxmvn_3x3_kernelILj256ELj32EfllDF16_DF16_fEEvT3_20rocsparse_direction_NS_24const_host_device_scalarIT1_EES1_PKS1_PKT2_SA_S7_PKT4_PKT5_S5_PT6_21rocsparse_index_base_b.has_indirect_call, 0
	.section	.AMDGPU.csdata,"",@progbits
; Kernel info:
; codeLenInByte = 1964
; TotalNumSgprs: 20
; NumVgprs: 27
; ScratchSize: 0
; MemoryBound: 0
; FloatMode: 240
; IeeeMode: 1
; LDSByteSize: 0 bytes/workgroup (compile time only)
; SGPRBlocks: 0
; VGPRBlocks: 3
; NumSGPRsForWavesPerEU: 20
; NumVGPRsForWavesPerEU: 27
; Occupancy: 16
; WaveLimiterHint : 1
; COMPUTE_PGM_RSRC2:SCRATCH_EN: 0
; COMPUTE_PGM_RSRC2:USER_SGPR: 2
; COMPUTE_PGM_RSRC2:TRAP_HANDLER: 0
; COMPUTE_PGM_RSRC2:TGID_X_EN: 1
; COMPUTE_PGM_RSRC2:TGID_Y_EN: 0
; COMPUTE_PGM_RSRC2:TGID_Z_EN: 0
; COMPUTE_PGM_RSRC2:TIDIG_COMP_CNT: 0
	.section	.text._ZN9rocsparseL18bsrxmvn_3x3_kernelILj256ELj64EfllDF16_DF16_fEEvT3_20rocsparse_direction_NS_24const_host_device_scalarIT1_EES1_PKS1_PKT2_SA_S7_PKT4_PKT5_S5_PT6_21rocsparse_index_base_b,"axG",@progbits,_ZN9rocsparseL18bsrxmvn_3x3_kernelILj256ELj64EfllDF16_DF16_fEEvT3_20rocsparse_direction_NS_24const_host_device_scalarIT1_EES1_PKS1_PKT2_SA_S7_PKT4_PKT5_S5_PT6_21rocsparse_index_base_b,comdat
	.globl	_ZN9rocsparseL18bsrxmvn_3x3_kernelILj256ELj64EfllDF16_DF16_fEEvT3_20rocsparse_direction_NS_24const_host_device_scalarIT1_EES1_PKS1_PKT2_SA_S7_PKT4_PKT5_S5_PT6_21rocsparse_index_base_b ; -- Begin function _ZN9rocsparseL18bsrxmvn_3x3_kernelILj256ELj64EfllDF16_DF16_fEEvT3_20rocsparse_direction_NS_24const_host_device_scalarIT1_EES1_PKS1_PKT2_SA_S7_PKT4_PKT5_S5_PT6_21rocsparse_index_base_b
	.p2align	8
	.type	_ZN9rocsparseL18bsrxmvn_3x3_kernelILj256ELj64EfllDF16_DF16_fEEvT3_20rocsparse_direction_NS_24const_host_device_scalarIT1_EES1_PKS1_PKT2_SA_S7_PKT4_PKT5_S5_PT6_21rocsparse_index_base_b,@function
_ZN9rocsparseL18bsrxmvn_3x3_kernelILj256ELj64EfllDF16_DF16_fEEvT3_20rocsparse_direction_NS_24const_host_device_scalarIT1_EES1_PKS1_PKT2_SA_S7_PKT4_PKT5_S5_PT6_21rocsparse_index_base_b: ; @_ZN9rocsparseL18bsrxmvn_3x3_kernelILj256ELj64EfllDF16_DF16_fEEvT3_20rocsparse_direction_NS_24const_host_device_scalarIT1_EES1_PKS1_PKT2_SA_S7_PKT4_PKT5_S5_PT6_21rocsparse_index_base_b
; %bb.0:
	s_clause 0x2
	s_load_b64 s[2:3], s[0:1], 0x60
	s_load_b128 s[12:15], s[0:1], 0x10
	s_load_b64 s[16:17], s[0:1], 0x50
	s_wait_kmcnt 0x0
	s_bitcmp1_b32 s3, 0
	s_cselect_b32 s3, -1, 0
	s_delay_alu instid0(SALU_CYCLE_1)
	s_and_b32 vcc_lo, exec_lo, s3
	s_xor_b32 s3, s3, -1
	s_cbranch_vccnz .LBB104_2
; %bb.1:
	s_load_b32 s12, s[12:13], 0x0
.LBB104_2:
	s_and_not1_b32 vcc_lo, exec_lo, s3
	s_cbranch_vccnz .LBB104_4
; %bb.3:
	s_load_b32 s16, s[16:17], 0x0
.LBB104_4:
	s_wait_kmcnt 0x0
	s_cmp_neq_f32 s12, 0
	s_mov_b32 s6, 0
	s_cselect_b32 s3, -1, 0
	s_cmp_neq_f32 s16, 1.0
	s_cselect_b32 s4, -1, 0
	s_delay_alu instid0(SALU_CYCLE_1) | instskip(NEXT) | instid1(SALU_CYCLE_1)
	s_or_b32 s3, s3, s4
	s_and_not1_b32 vcc_lo, exec_lo, s3
	s_cbranch_vccnz .LBB104_10
; %bb.5:
	s_load_b64 s[4:5], s[0:1], 0x20
	v_lshrrev_b32_e32 v1, 6, v0
	v_mov_b32_e32 v6, 0
	s_delay_alu instid0(VALU_DEP_2)
	v_lshl_or_b32 v5, ttmp9, 2, v1
	s_wait_kmcnt 0x0
	s_cmp_lg_u64 s[4:5], 0
	s_cbranch_scc0 .LBB104_11
; %bb.6:
	s_mov_b32 s7, 0
                                        ; implicit-def: $vgpr3_vgpr4
                                        ; implicit-def: $vgpr1_vgpr2
	s_mov_b32 s3, exec_lo
	v_cmpx_gt_i64_e64 s[14:15], v[5:6]
	s_xor_b32 s8, exec_lo, s3
	s_cbranch_execz .LBB104_8
; %bb.7:
	v_lshlrev_b64_e32 v[1:2], 3, v[5:6]
	s_mov_b32 s3, 0
	s_mov_b32 s6, exec_lo
	s_delay_alu instid0(VALU_DEP_1) | instskip(NEXT) | instid1(VALU_DEP_1)
	v_add_co_u32 v1, vcc_lo, s4, v1
	v_add_co_ci_u32_e64 v2, null, s5, v2, vcc_lo
	global_load_b64 v[1:2], v[1:2], off
	s_wait_loadcnt 0x0
	v_sub_co_u32 v3, vcc_lo, v1, s2
	s_wait_alu 0xfffd
	v_subrev_co_ci_u32_e64 v4, null, 0, v2, vcc_lo
	v_dual_mov_b32 v1, s2 :: v_dual_mov_b32 v2, s3
.LBB104_8:
	s_or_b32 exec_lo, exec_lo, s8
	s_delay_alu instid0(SALU_CYCLE_1)
	s_and_b32 vcc_lo, exec_lo, s7
	s_wait_alu 0xfffe
	s_cbranch_vccnz .LBB104_12
.LBB104_9:
	s_and_saveexec_b32 s2, s6
	s_cbranch_execnz .LBB104_15
.LBB104_10:
	s_endpgm
.LBB104_11:
                                        ; implicit-def: $vgpr3_vgpr4
                                        ; implicit-def: $vgpr1_vgpr2
	s_cbranch_execz .LBB104_9
.LBB104_12:
	s_load_b64 s[4:5], s[0:1], 0x0
	s_wait_kmcnt 0x0
	v_cmp_gt_i64_e32 vcc_lo, s[4:5], v[5:6]
	s_and_saveexec_b32 s4, vcc_lo
; %bb.13:
	s_mov_b32 s3, 0
	s_or_b32 s6, s6, exec_lo
; %bb.14:
	s_wait_alu 0xfffe
	s_or_b32 exec_lo, exec_lo, s4
	v_dual_mov_b32 v1, s2 :: v_dual_mov_b32 v2, s3
	v_dual_mov_b32 v3, v5 :: v_dual_mov_b32 v4, v6
	s_and_saveexec_b32 s2, s6
	s_cbranch_execz .LBB104_10
.LBB104_15:
	s_load_b256 s[4:11], s[0:1], 0x28
	s_delay_alu instid0(VALU_DEP_1) | instskip(SKIP_2) | instid1(VALU_DEP_2)
	v_lshlrev_b64_e32 v[5:6], 3, v[3:4]
	v_dual_mov_b32 v17, 0 :: v_dual_and_b32 v0, 63, v0
	s_wait_kmcnt 0x0
	v_add_co_u32 v7, vcc_lo, s4, v5
	s_wait_alu 0xfffd
	s_delay_alu instid0(VALU_DEP_3)
	v_add_co_ci_u32_e64 v8, null, s5, v6, vcc_lo
	v_add_co_u32 v5, vcc_lo, s6, v5
	s_wait_alu 0xfffd
	v_add_co_ci_u32_e64 v6, null, s7, v6, vcc_lo
	global_load_b64 v[9:10], v[7:8], off
	v_add_co_u32 v7, vcc_lo, v7, 8
	s_wait_alu 0xfffd
	v_add_co_ci_u32_e64 v8, null, 0, v8, vcc_lo
	s_cmp_eq_u64 s[6:7], 0
	s_cselect_b32 vcc_lo, -1, 0
	s_wait_alu 0xfffe
	v_dual_cndmask_b32 v6, v6, v8 :: v_dual_cndmask_b32 v5, v5, v7
	global_load_b64 v[11:12], v[5:6], off
	s_clause 0x1
	s_load_b32 s3, s[0:1], 0x8
	s_load_b64 s[4:5], s[0:1], 0x48
	s_wait_kmcnt 0x0
	s_cmp_eq_u32 s3, 1
	s_wait_loadcnt 0x1
	v_sub_co_u32 v5, vcc_lo, v9, v1
	s_wait_alu 0xfffd
	v_sub_co_ci_u32_e64 v6, null, v10, v2, vcc_lo
	s_delay_alu instid0(VALU_DEP_2) | instskip(SKIP_1) | instid1(VALU_DEP_2)
	v_add_co_u32 v5, vcc_lo, v5, v0
	s_wait_alu 0xfffd
	v_add_co_ci_u32_e64 v6, null, 0, v6, vcc_lo
	s_delay_alu instid0(VALU_DEP_2) | instskip(NEXT) | instid1(VALU_DEP_1)
	v_mad_co_u64_u32 v[7:8], null, v5, 18, s[10:11]
	v_mad_co_u64_u32 v[8:9], null, v6, 18, v[8:9]
	s_wait_loadcnt 0x0
	v_sub_co_u32 v9, vcc_lo, v11, v1
	s_wait_alu 0xfffd
	v_sub_co_ci_u32_e64 v10, null, v12, v2, vcc_lo
	s_delay_alu instid0(VALU_DEP_1)
	v_cmp_lt_i64_e64 s2, v[5:6], v[9:10]
	s_cbranch_scc1 .LBB104_21
; %bb.16:
	v_dual_mov_b32 v18, 0 :: v_dual_mov_b32 v19, 0
	s_and_saveexec_b32 s6, s2
	s_cbranch_execz .LBB104_20
; %bb.17:
	v_lshlrev_b64_e32 v[13:14], 3, v[5:6]
	v_dual_mov_b32 v17, 0 :: v_dual_mov_b32 v12, v8
	v_dual_mov_b32 v11, v7 :: v_dual_mov_b32 v16, v6
	;; [unrolled: 1-line block ×3, first 2 shown]
	s_delay_alu instid0(VALU_DEP_4)
	v_add_co_u32 v13, vcc_lo, s8, v13
	s_wait_alu 0xfffd
	v_add_co_ci_u32_e64 v14, null, s9, v14, vcc_lo
	v_mov_b32_e32 v19, 0
	s_mov_b32 s7, 0
.LBB104_18:                             ; =>This Inner Loop Header: Depth=1
	global_load_b64 v[20:21], v[13:14], off
	s_wait_loadcnt 0x0
	v_sub_co_u32 v20, vcc_lo, v20, v1
	s_wait_alu 0xfffd
	v_sub_co_ci_u32_e64 v21, null, v21, v2, vcc_lo
	s_delay_alu instid0(VALU_DEP_2) | instskip(NEXT) | instid1(VALU_DEP_1)
	v_mad_co_u64_u32 v[24:25], null, v20, 6, s[4:5]
	v_mov_b32_e32 v20, v25
	s_delay_alu instid0(VALU_DEP_1) | instskip(NEXT) | instid1(VALU_DEP_1)
	v_mad_co_u64_u32 v[20:21], null, v21, 6, v[20:21]
	v_mov_b32_e32 v25, v20
	global_load_b128 v[20:23], v[11:12], off
	s_clause 0x1
	global_load_b32 v26, v[24:25], off
	global_load_u16 v24, v[24:25], off offset:4
	global_load_u16 v25, v[11:12], off offset:16
	v_add_co_u32 v11, vcc_lo, 0x480, v11
	s_wait_alu 0xfffd
	v_add_co_ci_u32_e64 v12, null, 0, v12, vcc_lo
	v_add_co_u32 v15, vcc_lo, v15, 64
	s_wait_alu 0xfffd
	v_add_co_ci_u32_e64 v16, null, 0, v16, vcc_lo
	;; [unrolled: 3-line block ×3, first 2 shown]
	s_delay_alu instid0(VALU_DEP_3)
	v_cmp_ge_i64_e64 s3, v[15:16], v[9:10]
	s_wait_alu 0xfffe
	s_or_b32 s7, s3, s7
	s_wait_loadcnt 0x2
	v_fma_mix_f32 v19, v20, v26, v19 op_sel_hi:[1,1,0]
	v_fma_mix_f32 v18, v21, v26, v18 op_sel:[1,0,0] op_sel_hi:[1,1,0]
	v_fma_mix_f32 v17, v23, v26, v17 op_sel_hi:[1,1,0]
	s_delay_alu instid0(VALU_DEP_3) | instskip(NEXT) | instid1(VALU_DEP_3)
	v_fma_mix_f32 v19, v20, v26, v19 op_sel:[1,1,0] op_sel_hi:[1,1,0]
	v_fma_mix_f32 v18, v22, v26, v18 op_sel:[0,1,0] op_sel_hi:[1,1,0]
	s_delay_alu instid0(VALU_DEP_3) | instskip(SKIP_1) | instid1(VALU_DEP_3)
	v_fma_mix_f32 v17, v23, v26, v17 op_sel:[1,1,0] op_sel_hi:[1,1,0]
	s_wait_loadcnt 0x1
	v_fma_mix_f32 v19, v21, v24, v19 op_sel_hi:[1,1,0]
	s_delay_alu instid0(VALU_DEP_3)
	v_fma_mix_f32 v18, v22, v24, v18 op_sel:[1,0,0] op_sel_hi:[1,1,0]
	s_wait_loadcnt 0x0
	v_fma_mix_f32 v17, v25, v24, v17 op_sel_hi:[1,1,0]
	s_wait_alu 0xfffe
	s_and_not1_b32 exec_lo, exec_lo, s7
	s_cbranch_execnz .LBB104_18
; %bb.19:
	s_or_b32 exec_lo, exec_lo, s7
.LBB104_20:
	s_wait_alu 0xfffe
	s_or_b32 exec_lo, exec_lo, s6
	s_cbranch_execz .LBB104_22
	s_branch .LBB104_27
.LBB104_21:
                                        ; implicit-def: $vgpr17
                                        ; implicit-def: $vgpr18
                                        ; implicit-def: $vgpr19
.LBB104_22:
	v_dual_mov_b32 v17, 0 :: v_dual_mov_b32 v18, 0
	v_mov_b32_e32 v19, 0
	s_and_saveexec_b32 s3, s2
	s_cbranch_execz .LBB104_26
; %bb.23:
	v_lshlrev_b64_e32 v[11:12], 3, v[5:6]
	v_dual_mov_b32 v17, 0 :: v_dual_mov_b32 v18, 0
	v_mov_b32_e32 v19, 0
	s_mov_b32 s6, 0
	s_delay_alu instid0(VALU_DEP_3)
	v_add_co_u32 v11, vcc_lo, s8, v11
	s_wait_alu 0xfffd
	v_add_co_ci_u32_e64 v12, null, s9, v12, vcc_lo
.LBB104_24:                             ; =>This Inner Loop Header: Depth=1
	global_load_b64 v[13:14], v[11:12], off
	s_wait_loadcnt 0x0
	v_sub_co_u32 v13, vcc_lo, v13, v1
	s_wait_alu 0xfffd
	v_sub_co_ci_u32_e64 v14, null, v14, v2, vcc_lo
	s_delay_alu instid0(VALU_DEP_2) | instskip(NEXT) | instid1(VALU_DEP_1)
	v_mad_co_u64_u32 v[20:21], null, v13, 6, s[4:5]
	v_mov_b32_e32 v13, v21
	s_delay_alu instid0(VALU_DEP_1) | instskip(NEXT) | instid1(VALU_DEP_1)
	v_mad_co_u64_u32 v[13:14], null, v14, 6, v[13:14]
	v_mov_b32_e32 v21, v13
	global_load_b128 v[13:16], v[7:8], off
	s_clause 0x1
	global_load_b32 v22, v[20:21], off
	global_load_u16 v20, v[20:21], off offset:4
	global_load_u16 v21, v[7:8], off offset:16
	v_add_co_u32 v7, vcc_lo, 0x480, v7
	s_wait_alu 0xfffd
	v_add_co_ci_u32_e64 v8, null, 0, v8, vcc_lo
	v_add_co_u32 v5, vcc_lo, v5, 64
	s_wait_alu 0xfffd
	v_add_co_ci_u32_e64 v6, null, 0, v6, vcc_lo
	;; [unrolled: 3-line block ×3, first 2 shown]
	s_delay_alu instid0(VALU_DEP_3)
	v_cmp_ge_i64_e64 s2, v[5:6], v[9:10]
	s_wait_alu 0xfffe
	s_or_b32 s6, s2, s6
	s_wait_loadcnt 0x2
	v_fma_mix_f32 v19, v13, v22, v19 op_sel_hi:[1,1,0]
	v_fma_mix_f32 v13, v13, v22, v18 op_sel:[1,0,0] op_sel_hi:[1,1,0]
	v_fma_mix_f32 v17, v14, v22, v17 op_sel_hi:[1,1,0]
	s_delay_alu instid0(VALU_DEP_3) | instskip(NEXT) | instid1(VALU_DEP_3)
	v_fma_mix_f32 v14, v14, v22, v19 op_sel:[1,1,0] op_sel_hi:[1,1,0]
	v_fma_mix_f32 v13, v15, v22, v13 op_sel:[0,1,0] op_sel_hi:[1,1,0]
	s_delay_alu instid0(VALU_DEP_3) | instskip(SKIP_1) | instid1(VALU_DEP_3)
	v_fma_mix_f32 v15, v15, v22, v17 op_sel:[1,1,0] op_sel_hi:[1,1,0]
	s_wait_loadcnt 0x1
	v_fma_mix_f32 v19, v16, v20, v14 op_sel_hi:[1,1,0]
	s_delay_alu instid0(VALU_DEP_3)
	v_fma_mix_f32 v18, v16, v20, v13 op_sel:[1,0,0] op_sel_hi:[1,1,0]
	s_wait_loadcnt 0x0
	v_fma_mix_f32 v17, v21, v20, v15 op_sel_hi:[1,1,0]
	s_wait_alu 0xfffe
	s_and_not1_b32 exec_lo, exec_lo, s6
	s_cbranch_execnz .LBB104_24
; %bb.25:
	s_or_b32 exec_lo, exec_lo, s6
.LBB104_26:
	s_wait_alu 0xfffe
	s_or_b32 exec_lo, exec_lo, s3
.LBB104_27:
	v_mbcnt_lo_u32_b32 v1, -1, 0
	s_mov_b32 s2, -1
	s_delay_alu instid0(VALU_DEP_1) | instskip(SKIP_2) | instid1(VALU_DEP_3)
	v_or_b32_e32 v2, 32, v1
	v_xor_b32_e32 v7, 16, v1
	v_xor_b32_e32 v10, 8, v1
	v_cmp_gt_i32_e32 vcc_lo, 32, v2
	s_wait_alu 0xfffd
	v_cndmask_b32_e32 v2, v1, v2, vcc_lo
	v_cmp_gt_i32_e32 vcc_lo, 32, v7
	s_wait_alu 0xfffd
	v_cndmask_b32_e32 v7, v1, v7, vcc_lo
	v_cmp_gt_i32_e32 vcc_lo, 32, v10
	s_delay_alu instid0(VALU_DEP_2)
	v_lshlrev_b32_e32 v7, 2, v7
	v_lshlrev_b32_e32 v2, 2, v2
	s_wait_alu 0xfffd
	v_cndmask_b32_e32 v10, v1, v10, vcc_lo
	ds_bpermute_b32 v5, v2, v19
	s_wait_dscnt 0x0
	v_add_f32_e32 v5, v19, v5
	ds_bpermute_b32 v6, v2, v18
	ds_bpermute_b32 v2, v2, v17
	;; [unrolled: 1-line block ×3, first 2 shown]
	v_lshlrev_b32_e32 v10, 2, v10
	s_wait_dscnt 0x2
	v_add_f32_e32 v6, v18, v6
	s_wait_dscnt 0x1
	v_add_f32_e32 v2, v17, v2
	;; [unrolled: 2-line block ×3, first 2 shown]
	ds_bpermute_b32 v9, v7, v6
	ds_bpermute_b32 v7, v7, v2
	s_wait_dscnt 0x0
	v_add_f32_e32 v2, v2, v7
	ds_bpermute_b32 v7, v10, v5
	v_add_f32_e32 v6, v6, v9
	ds_bpermute_b32 v9, v10, v2
	s_wait_dscnt 0x1
	v_add_f32_e32 v5, v5, v7
	ds_bpermute_b32 v8, v10, v6
	v_xor_b32_e32 v10, 4, v1
	s_wait_dscnt 0x1
	v_add_f32_e32 v2, v2, v9
	s_delay_alu instid0(VALU_DEP_2) | instskip(SKIP_2) | instid1(VALU_DEP_1)
	v_cmp_gt_i32_e32 vcc_lo, 32, v10
	s_wait_alu 0xfffd
	v_cndmask_b32_e32 v10, v1, v10, vcc_lo
	v_lshlrev_b32_e32 v10, 2, v10
	ds_bpermute_b32 v7, v10, v5
	s_wait_dscnt 0x0
	v_dual_add_f32 v5, v5, v7 :: v_dual_add_f32 v6, v6, v8
	ds_bpermute_b32 v9, v10, v2
	ds_bpermute_b32 v8, v10, v6
	v_xor_b32_e32 v10, 2, v1
	s_delay_alu instid0(VALU_DEP_1) | instskip(SKIP_3) | instid1(VALU_DEP_1)
	v_cmp_gt_i32_e32 vcc_lo, 32, v10
	s_wait_alu 0xfffd
	v_cndmask_b32_e32 v10, v1, v10, vcc_lo
	s_wait_dscnt 0x1
	v_dual_add_f32 v7, v2, v9 :: v_dual_lshlrev_b32 v10, 2, v10
	s_wait_dscnt 0x0
	v_add_f32_e32 v6, v6, v8
	ds_bpermute_b32 v2, v10, v5
	ds_bpermute_b32 v9, v10, v7
	;; [unrolled: 1-line block ×3, first 2 shown]
	v_xor_b32_e32 v10, 1, v1
	s_delay_alu instid0(VALU_DEP_1) | instskip(SKIP_4) | instid1(VALU_DEP_2)
	v_cmp_gt_i32_e32 vcc_lo, 32, v10
	s_wait_alu 0xfffd
	v_cndmask_b32_e32 v1, v1, v10, vcc_lo
	v_cmp_eq_u32_e32 vcc_lo, 63, v0
	s_wait_dscnt 0x2
	v_dual_add_f32 v1, v5, v2 :: v_dual_lshlrev_b32 v10, 2, v1
	s_wait_dscnt 0x0
	v_dual_add_f32 v5, v7, v9 :: v_dual_add_f32 v2, v6, v8
	ds_bpermute_b32 v6, v10, v1
	ds_bpermute_b32 v8, v10, v5
	;; [unrolled: 1-line block ×3, first 2 shown]
	s_and_b32 exec_lo, exec_lo, vcc_lo
	s_cbranch_execz .LBB104_10
; %bb.28:
	s_load_b64 s[0:1], s[0:1], 0x58
	s_wait_dscnt 0x0
	v_dual_add_f32 v0, v1, v6 :: v_dual_add_f32 v1, v2, v7
	v_add_f32_e32 v2, v5, v8
	s_cmp_eq_f32 s16, 0
	s_delay_alu instid0(VALU_DEP_2) | instskip(NEXT) | instid1(VALU_DEP_2)
	v_dual_mul_f32 v0, s12, v0 :: v_dual_mul_f32 v1, s12, v1
	v_mul_f32_e32 v2, s12, v2
	s_cbranch_scc0 .LBB104_30
; %bb.29:
	s_wait_kmcnt 0x0
	v_mad_co_u64_u32 v[5:6], null, v3, 12, s[0:1]
	s_mov_b32 s2, 0
	v_mad_co_u64_u32 v[6:7], null, v4, 12, v[6:7]
	global_store_b96 v[5:6], v[0:2], off
.LBB104_30:
	s_wait_alu 0xfffe
	s_and_not1_b32 vcc_lo, exec_lo, s2
	s_wait_alu 0xfffe
	s_cbranch_vccnz .LBB104_10
; %bb.31:
	s_wait_kmcnt 0x0
	v_mad_co_u64_u32 v[6:7], null, v3, 12, s[0:1]
	s_delay_alu instid0(VALU_DEP_1) | instskip(NEXT) | instid1(VALU_DEP_1)
	v_mov_b32_e32 v3, v7
	v_mad_co_u64_u32 v[3:4], null, v4, 12, v[3:4]
	s_delay_alu instid0(VALU_DEP_1)
	v_mov_b32_e32 v7, v3
	global_load_b96 v[3:5], v[6:7], off
	s_wait_loadcnt 0x0
	v_dual_fmac_f32 v0, s16, v3 :: v_dual_fmac_f32 v1, s16, v4
	v_fmac_f32_e32 v2, s16, v5
	global_store_b96 v[6:7], v[0:2], off
	s_endpgm
	.section	.rodata,"a",@progbits
	.p2align	6, 0x0
	.amdhsa_kernel _ZN9rocsparseL18bsrxmvn_3x3_kernelILj256ELj64EfllDF16_DF16_fEEvT3_20rocsparse_direction_NS_24const_host_device_scalarIT1_EES1_PKS1_PKT2_SA_S7_PKT4_PKT5_S5_PT6_21rocsparse_index_base_b
		.amdhsa_group_segment_fixed_size 0
		.amdhsa_private_segment_fixed_size 0
		.amdhsa_kernarg_size 104
		.amdhsa_user_sgpr_count 2
		.amdhsa_user_sgpr_dispatch_ptr 0
		.amdhsa_user_sgpr_queue_ptr 0
		.amdhsa_user_sgpr_kernarg_segment_ptr 1
		.amdhsa_user_sgpr_dispatch_id 0
		.amdhsa_user_sgpr_private_segment_size 0
		.amdhsa_wavefront_size32 1
		.amdhsa_uses_dynamic_stack 0
		.amdhsa_enable_private_segment 0
		.amdhsa_system_sgpr_workgroup_id_x 1
		.amdhsa_system_sgpr_workgroup_id_y 0
		.amdhsa_system_sgpr_workgroup_id_z 0
		.amdhsa_system_sgpr_workgroup_info 0
		.amdhsa_system_vgpr_workitem_id 0
		.amdhsa_next_free_vgpr 27
		.amdhsa_next_free_sgpr 18
		.amdhsa_reserve_vcc 1
		.amdhsa_float_round_mode_32 0
		.amdhsa_float_round_mode_16_64 0
		.amdhsa_float_denorm_mode_32 3
		.amdhsa_float_denorm_mode_16_64 3
		.amdhsa_fp16_overflow 0
		.amdhsa_workgroup_processor_mode 1
		.amdhsa_memory_ordered 1
		.amdhsa_forward_progress 1
		.amdhsa_inst_pref_size 16
		.amdhsa_round_robin_scheduling 0
		.amdhsa_exception_fp_ieee_invalid_op 0
		.amdhsa_exception_fp_denorm_src 0
		.amdhsa_exception_fp_ieee_div_zero 0
		.amdhsa_exception_fp_ieee_overflow 0
		.amdhsa_exception_fp_ieee_underflow 0
		.amdhsa_exception_fp_ieee_inexact 0
		.amdhsa_exception_int_div_zero 0
	.end_amdhsa_kernel
	.section	.text._ZN9rocsparseL18bsrxmvn_3x3_kernelILj256ELj64EfllDF16_DF16_fEEvT3_20rocsparse_direction_NS_24const_host_device_scalarIT1_EES1_PKS1_PKT2_SA_S7_PKT4_PKT5_S5_PT6_21rocsparse_index_base_b,"axG",@progbits,_ZN9rocsparseL18bsrxmvn_3x3_kernelILj256ELj64EfllDF16_DF16_fEEvT3_20rocsparse_direction_NS_24const_host_device_scalarIT1_EES1_PKS1_PKT2_SA_S7_PKT4_PKT5_S5_PT6_21rocsparse_index_base_b,comdat
.Lfunc_end104:
	.size	_ZN9rocsparseL18bsrxmvn_3x3_kernelILj256ELj64EfllDF16_DF16_fEEvT3_20rocsparse_direction_NS_24const_host_device_scalarIT1_EES1_PKS1_PKT2_SA_S7_PKT4_PKT5_S5_PT6_21rocsparse_index_base_b, .Lfunc_end104-_ZN9rocsparseL18bsrxmvn_3x3_kernelILj256ELj64EfllDF16_DF16_fEEvT3_20rocsparse_direction_NS_24const_host_device_scalarIT1_EES1_PKS1_PKT2_SA_S7_PKT4_PKT5_S5_PT6_21rocsparse_index_base_b
                                        ; -- End function
	.set _ZN9rocsparseL18bsrxmvn_3x3_kernelILj256ELj64EfllDF16_DF16_fEEvT3_20rocsparse_direction_NS_24const_host_device_scalarIT1_EES1_PKS1_PKT2_SA_S7_PKT4_PKT5_S5_PT6_21rocsparse_index_base_b.num_vgpr, 27
	.set _ZN9rocsparseL18bsrxmvn_3x3_kernelILj256ELj64EfllDF16_DF16_fEEvT3_20rocsparse_direction_NS_24const_host_device_scalarIT1_EES1_PKS1_PKT2_SA_S7_PKT4_PKT5_S5_PT6_21rocsparse_index_base_b.num_agpr, 0
	.set _ZN9rocsparseL18bsrxmvn_3x3_kernelILj256ELj64EfllDF16_DF16_fEEvT3_20rocsparse_direction_NS_24const_host_device_scalarIT1_EES1_PKS1_PKT2_SA_S7_PKT4_PKT5_S5_PT6_21rocsparse_index_base_b.numbered_sgpr, 18
	.set _ZN9rocsparseL18bsrxmvn_3x3_kernelILj256ELj64EfllDF16_DF16_fEEvT3_20rocsparse_direction_NS_24const_host_device_scalarIT1_EES1_PKS1_PKT2_SA_S7_PKT4_PKT5_S5_PT6_21rocsparse_index_base_b.num_named_barrier, 0
	.set _ZN9rocsparseL18bsrxmvn_3x3_kernelILj256ELj64EfllDF16_DF16_fEEvT3_20rocsparse_direction_NS_24const_host_device_scalarIT1_EES1_PKS1_PKT2_SA_S7_PKT4_PKT5_S5_PT6_21rocsparse_index_base_b.private_seg_size, 0
	.set _ZN9rocsparseL18bsrxmvn_3x3_kernelILj256ELj64EfllDF16_DF16_fEEvT3_20rocsparse_direction_NS_24const_host_device_scalarIT1_EES1_PKS1_PKT2_SA_S7_PKT4_PKT5_S5_PT6_21rocsparse_index_base_b.uses_vcc, 1
	.set _ZN9rocsparseL18bsrxmvn_3x3_kernelILj256ELj64EfllDF16_DF16_fEEvT3_20rocsparse_direction_NS_24const_host_device_scalarIT1_EES1_PKS1_PKT2_SA_S7_PKT4_PKT5_S5_PT6_21rocsparse_index_base_b.uses_flat_scratch, 0
	.set _ZN9rocsparseL18bsrxmvn_3x3_kernelILj256ELj64EfllDF16_DF16_fEEvT3_20rocsparse_direction_NS_24const_host_device_scalarIT1_EES1_PKS1_PKT2_SA_S7_PKT4_PKT5_S5_PT6_21rocsparse_index_base_b.has_dyn_sized_stack, 0
	.set _ZN9rocsparseL18bsrxmvn_3x3_kernelILj256ELj64EfllDF16_DF16_fEEvT3_20rocsparse_direction_NS_24const_host_device_scalarIT1_EES1_PKS1_PKT2_SA_S7_PKT4_PKT5_S5_PT6_21rocsparse_index_base_b.has_recursion, 0
	.set _ZN9rocsparseL18bsrxmvn_3x3_kernelILj256ELj64EfllDF16_DF16_fEEvT3_20rocsparse_direction_NS_24const_host_device_scalarIT1_EES1_PKS1_PKT2_SA_S7_PKT4_PKT5_S5_PT6_21rocsparse_index_base_b.has_indirect_call, 0
	.section	.AMDGPU.csdata,"",@progbits
; Kernel info:
; codeLenInByte = 2028
; TotalNumSgprs: 20
; NumVgprs: 27
; ScratchSize: 0
; MemoryBound: 0
; FloatMode: 240
; IeeeMode: 1
; LDSByteSize: 0 bytes/workgroup (compile time only)
; SGPRBlocks: 0
; VGPRBlocks: 3
; NumSGPRsForWavesPerEU: 20
; NumVGPRsForWavesPerEU: 27
; Occupancy: 16
; WaveLimiterHint : 1
; COMPUTE_PGM_RSRC2:SCRATCH_EN: 0
; COMPUTE_PGM_RSRC2:USER_SGPR: 2
; COMPUTE_PGM_RSRC2:TRAP_HANDLER: 0
; COMPUTE_PGM_RSRC2:TGID_X_EN: 1
; COMPUTE_PGM_RSRC2:TGID_Y_EN: 0
; COMPUTE_PGM_RSRC2:TGID_Z_EN: 0
; COMPUTE_PGM_RSRC2:TIDIG_COMP_CNT: 0
	.section	.text._ZN9rocsparseL18bsrxmvn_3x3_kernelILj256ELj4Efii18rocsparse_bfloat16S1_fEEvT3_20rocsparse_direction_NS_24const_host_device_scalarIT1_EES2_PKS2_PKT2_SB_S8_PKT4_PKT5_S6_PT6_21rocsparse_index_base_b,"axG",@progbits,_ZN9rocsparseL18bsrxmvn_3x3_kernelILj256ELj4Efii18rocsparse_bfloat16S1_fEEvT3_20rocsparse_direction_NS_24const_host_device_scalarIT1_EES2_PKS2_PKT2_SB_S8_PKT4_PKT5_S6_PT6_21rocsparse_index_base_b,comdat
	.globl	_ZN9rocsparseL18bsrxmvn_3x3_kernelILj256ELj4Efii18rocsparse_bfloat16S1_fEEvT3_20rocsparse_direction_NS_24const_host_device_scalarIT1_EES2_PKS2_PKT2_SB_S8_PKT4_PKT5_S6_PT6_21rocsparse_index_base_b ; -- Begin function _ZN9rocsparseL18bsrxmvn_3x3_kernelILj256ELj4Efii18rocsparse_bfloat16S1_fEEvT3_20rocsparse_direction_NS_24const_host_device_scalarIT1_EES2_PKS2_PKT2_SB_S8_PKT4_PKT5_S6_PT6_21rocsparse_index_base_b
	.p2align	8
	.type	_ZN9rocsparseL18bsrxmvn_3x3_kernelILj256ELj4Efii18rocsparse_bfloat16S1_fEEvT3_20rocsparse_direction_NS_24const_host_device_scalarIT1_EES2_PKS2_PKT2_SB_S8_PKT4_PKT5_S6_PT6_21rocsparse_index_base_b,@function
_ZN9rocsparseL18bsrxmvn_3x3_kernelILj256ELj4Efii18rocsparse_bfloat16S1_fEEvT3_20rocsparse_direction_NS_24const_host_device_scalarIT1_EES2_PKS2_PKT2_SB_S8_PKT4_PKT5_S6_PT6_21rocsparse_index_base_b: ; @_ZN9rocsparseL18bsrxmvn_3x3_kernelILj256ELj4Efii18rocsparse_bfloat16S1_fEEvT3_20rocsparse_direction_NS_24const_host_device_scalarIT1_EES2_PKS2_PKT2_SB_S8_PKT4_PKT5_S6_PT6_21rocsparse_index_base_b
; %bb.0:
	s_clause 0x2
	s_load_b64 s[16:17], s[0:1], 0x58
	s_load_b64 s[14:15], s[0:1], 0x8
	;; [unrolled: 1-line block ×3, first 2 shown]
	s_wait_kmcnt 0x0
	s_bitcmp1_b32 s17, 0
	s_cselect_b32 s2, -1, 0
	s_delay_alu instid0(SALU_CYCLE_1)
	s_and_b32 vcc_lo, exec_lo, s2
	s_xor_b32 s2, s2, -1
	s_cbranch_vccnz .LBB105_2
; %bb.1:
	s_load_b32 s14, s[14:15], 0x0
.LBB105_2:
	s_and_not1_b32 vcc_lo, exec_lo, s2
	s_cbranch_vccnz .LBB105_4
; %bb.3:
	s_load_b32 s12, s[12:13], 0x0
.LBB105_4:
	s_wait_kmcnt 0x0
	s_cmp_neq_f32 s14, 0
	s_mov_b32 s6, 0
	s_cselect_b32 s2, -1, 0
	s_cmp_neq_f32 s12, 1.0
	s_cselect_b32 s3, -1, 0
	s_delay_alu instid0(SALU_CYCLE_1) | instskip(NEXT) | instid1(SALU_CYCLE_1)
	s_or_b32 s2, s2, s3
	s_and_not1_b32 vcc_lo, exec_lo, s2
	s_cbranch_vccnz .LBB105_10
; %bb.5:
	s_clause 0x1
	s_load_b64 s[4:5], s[0:1], 0x18
	s_load_b64 s[2:3], s[0:1], 0x0
	v_lshrrev_b32_e32 v1, 2, v0
	s_delay_alu instid0(VALU_DEP_1)
	v_lshl_or_b32 v1, ttmp9, 6, v1
	s_wait_kmcnt 0x0
	s_cmp_lg_u64 s[4:5], 0
	s_cbranch_scc0 .LBB105_11
; %bb.6:
	s_load_b32 s6, s[0:1], 0x10
	s_mov_b32 s7, 0
                                        ; implicit-def: $vgpr2
	s_wait_kmcnt 0x0
	v_cmp_gt_i32_e32 vcc_lo, s6, v1
	s_mov_b32 s6, 0
	s_and_saveexec_b32 s8, vcc_lo
	s_delay_alu instid0(SALU_CYCLE_1)
	s_xor_b32 s8, exec_lo, s8
	s_cbranch_execz .LBB105_8
; %bb.7:
	v_ashrrev_i32_e32 v2, 31, v1
	s_mov_b32 s6, exec_lo
	s_delay_alu instid0(VALU_DEP_1) | instskip(NEXT) | instid1(VALU_DEP_1)
	v_lshlrev_b64_e32 v[2:3], 2, v[1:2]
	v_add_co_u32 v2, vcc_lo, s4, v2
	s_delay_alu instid0(VALU_DEP_1)
	v_add_co_ci_u32_e64 v3, null, s5, v3, vcc_lo
	global_load_b32 v2, v[2:3], off
	s_wait_loadcnt 0x0
	v_subrev_nc_u32_e32 v2, s16, v2
.LBB105_8:
	s_or_b32 exec_lo, exec_lo, s8
	s_delay_alu instid0(SALU_CYCLE_1)
	s_and_b32 vcc_lo, exec_lo, s7
	s_wait_alu 0xfffe
	s_cbranch_vccz .LBB105_12
.LBB105_9:
	v_cmp_gt_i32_e32 vcc_lo, s2, v1
	s_and_not1_b32 s2, s6, exec_lo
	s_and_b32 s4, vcc_lo, exec_lo
	s_wait_alu 0xfffe
	s_or_b32 s6, s2, s4
	s_wait_alu 0xfffe
	s_and_saveexec_b32 s2, s6
	s_cbranch_execnz .LBB105_13
.LBB105_10:
	s_endpgm
.LBB105_11:
                                        ; implicit-def: $vgpr2
	s_cbranch_execnz .LBB105_9
.LBB105_12:
	v_mov_b32_e32 v1, v2
	s_and_saveexec_b32 s2, s6
	s_cbranch_execz .LBB105_10
.LBB105_13:
	s_load_b256 s[4:11], s[0:1], 0x20
	s_delay_alu instid0(VALU_DEP_1) | instskip(SKIP_1) | instid1(VALU_DEP_2)
	v_ashrrev_i32_e32 v2, 31, v1
	v_and_b32_e32 v0, 3, v0
	v_lshlrev_b64_e32 v[2:3], 2, v[1:2]
	s_wait_kmcnt 0x0
	s_delay_alu instid0(VALU_DEP_1) | instskip(SKIP_1) | instid1(VALU_DEP_2)
	v_add_co_u32 v4, vcc_lo, s4, v2
	s_wait_alu 0xfffd
	v_add_co_ci_u32_e64 v5, null, s5, v3, vcc_lo
	v_add_co_u32 v2, vcc_lo, s6, v2
	s_wait_alu 0xfffd
	v_add_co_ci_u32_e64 v3, null, s7, v3, vcc_lo
	;; [unrolled: 3-line block ×3, first 2 shown]
	s_cmp_eq_u64 s[6:7], 0
	global_load_b32 v4, v[4:5], off
	s_cselect_b32 vcc_lo, -1, 0
	s_load_b64 s[4:5], s[0:1], 0x40
	v_dual_cndmask_b32 v3, v3, v7 :: v_dual_cndmask_b32 v2, v2, v6
	s_cmp_eq_u32 s3, 1
	global_load_b32 v3, v[2:3], off
	s_wait_loadcnt 0x1
	v_subrev_nc_u32_e32 v2, s16, v4
	s_delay_alu instid0(VALU_DEP_1) | instskip(SKIP_2) | instid1(VALU_DEP_2)
	v_add_nc_u32_e32 v2, v2, v0
	s_wait_loadcnt 0x0
	v_subrev_nc_u32_e32 v13, s16, v3
	v_mad_co_i64_i32 v[4:5], null, v2, 18, s[10:11]
	s_delay_alu instid0(VALU_DEP_2)
	v_cmp_lt_i32_e64 s2, v2, v13
	s_cbranch_scc1 .LBB105_19
; %bb.14:
	v_dual_mov_b32 v10, 0 :: v_dual_mov_b32 v11, 0
	v_mov_b32_e32 v12, 0
	s_and_saveexec_b32 s3, s2
	s_cbranch_execz .LBB105_18
; %bb.15:
	v_dual_mov_b32 v10, 0 :: v_dual_mov_b32 v7, v5
	v_dual_mov_b32 v6, v4 :: v_dual_mov_b32 v11, 0
	v_mov_b32_e32 v8, v2
	v_mov_b32_e32 v12, 0
	s_mov_b32 s6, 0
.LBB105_16:                             ; =>This Inner Loop Header: Depth=1
	s_delay_alu instid0(VALU_DEP_2) | instskip(NEXT) | instid1(VALU_DEP_1)
	v_ashrrev_i32_e32 v9, 31, v8
	v_lshlrev_b64_e32 v[14:15], 2, v[8:9]
	s_delay_alu instid0(VALU_DEP_1) | instskip(SKIP_1) | instid1(VALU_DEP_2)
	v_add_co_u32 v14, vcc_lo, s8, v14
	s_wait_alu 0xfffd
	v_add_co_ci_u32_e64 v15, null, s9, v15, vcc_lo
	global_load_b32 v3, v[14:15], off
	global_load_b128 v[14:17], v[6:7], off
	s_wait_loadcnt 0x1
	v_subrev_nc_u32_e32 v3, s16, v3
	s_wait_loadcnt 0x0
	v_lshlrev_b32_e32 v20, 16, v15
	v_and_b32_e32 v15, 0xffff0000, v15
	s_delay_alu instid0(VALU_DEP_3) | instskip(NEXT) | instid1(VALU_DEP_1)
	v_lshl_add_u32 v18, v3, 1, v3
	v_ashrrev_i32_e32 v19, 31, v18
	s_delay_alu instid0(VALU_DEP_1) | instskip(SKIP_1) | instid1(VALU_DEP_1)
	v_lshlrev_b64_e32 v[18:19], 1, v[18:19]
	s_wait_kmcnt 0x0
	v_add_co_u32 v18, vcc_lo, s4, v18
	s_wait_alu 0xfffd
	s_delay_alu instid0(VALU_DEP_2)
	v_add_co_ci_u32_e64 v19, null, s5, v19, vcc_lo
	global_load_b32 v3, v[18:19], off
	global_load_u16 v9, v[6:7], off offset:16
	global_load_u16 v18, v[18:19], off offset:4
	v_add_co_u32 v6, vcc_lo, 0x48, v6
	s_wait_alu 0xfffd
	v_add_co_ci_u32_e64 v7, null, 0, v7, vcc_lo
	s_wait_loadcnt 0x2
	v_lshlrev_b32_e32 v23, 16, v3
	v_add_nc_u32_e32 v8, 4, v8
	v_and_b32_e32 v3, 0xffff0000, v3
	s_delay_alu instid0(VALU_DEP_3)
	v_fmac_f32_e32 v11, v15, v23
	s_wait_loadcnt 0x0
	v_lshlrev_b32_e32 v15, 16, v18
	v_lshlrev_b32_e32 v22, 16, v17
	;; [unrolled: 1-line block ×3, first 2 shown]
	v_cmp_ge_i32_e32 vcc_lo, v8, v13
	s_delay_alu instid0(VALU_DEP_3) | instskip(NEXT) | instid1(VALU_DEP_3)
	v_dual_fmac_f32 v10, v22, v23 :: v_dual_lshlrev_b32 v21, 16, v16
	v_fmac_f32_e32 v12, v19, v23
	v_and_b32_e32 v14, 0xffff0000, v14
	v_and_b32_e32 v16, 0xffff0000, v16
	s_wait_alu 0xfffe
	s_or_b32 s6, vcc_lo, s6
	v_fmac_f32_e32 v11, v21, v3
	v_dual_fmac_f32 v12, v14, v3 :: v_dual_and_b32 v17, 0xffff0000, v17
	v_lshlrev_b32_e32 v9, 16, v9
	s_delay_alu instid0(VALU_DEP_3) | instskip(NEXT) | instid1(VALU_DEP_3)
	v_fmac_f32_e32 v11, v16, v15
	v_fmac_f32_e32 v10, v17, v3
	s_delay_alu instid0(VALU_DEP_4) | instskip(NEXT) | instid1(VALU_DEP_2)
	v_fmac_f32_e32 v12, v20, v15
	v_fmac_f32_e32 v10, v9, v15
	s_wait_alu 0xfffe
	s_and_not1_b32 exec_lo, exec_lo, s6
	s_cbranch_execnz .LBB105_16
; %bb.17:
	s_or_b32 exec_lo, exec_lo, s6
.LBB105_18:
	s_wait_alu 0xfffe
	s_or_b32 exec_lo, exec_lo, s3
	s_cbranch_execz .LBB105_20
	s_branch .LBB105_25
.LBB105_19:
                                        ; implicit-def: $vgpr10
                                        ; implicit-def: $vgpr11
                                        ; implicit-def: $vgpr12
.LBB105_20:
	v_dual_mov_b32 v10, 0 :: v_dual_mov_b32 v11, 0
	v_mov_b32_e32 v12, 0
	s_and_saveexec_b32 s3, s2
	s_cbranch_execz .LBB105_24
; %bb.21:
	v_dual_mov_b32 v10, 0 :: v_dual_mov_b32 v11, 0
	v_mov_b32_e32 v12, 0
	s_mov_b32 s2, 0
.LBB105_22:                             ; =>This Inner Loop Header: Depth=1
	v_ashrrev_i32_e32 v3, 31, v2
	s_delay_alu instid0(VALU_DEP_1) | instskip(NEXT) | instid1(VALU_DEP_1)
	v_lshlrev_b64_e32 v[6:7], 2, v[2:3]
	v_add_co_u32 v6, vcc_lo, s8, v6
	s_wait_alu 0xfffd
	s_delay_alu instid0(VALU_DEP_2) | instskip(SKIP_4) | instid1(VALU_DEP_1)
	v_add_co_ci_u32_e64 v7, null, s9, v7, vcc_lo
	global_load_b32 v3, v[6:7], off
	global_load_b128 v[6:9], v[4:5], off
	s_wait_loadcnt 0x1
	v_subrev_nc_u32_e32 v3, s16, v3
	v_lshl_add_u32 v14, v3, 1, v3
	s_delay_alu instid0(VALU_DEP_1) | instskip(NEXT) | instid1(VALU_DEP_1)
	v_ashrrev_i32_e32 v15, 31, v14
	v_lshlrev_b64_e32 v[14:15], 1, v[14:15]
	s_wait_kmcnt 0x0
	s_delay_alu instid0(VALU_DEP_1) | instskip(SKIP_1) | instid1(VALU_DEP_2)
	v_add_co_u32 v14, vcc_lo, s4, v14
	s_wait_alu 0xfffd
	v_add_co_ci_u32_e64 v15, null, s5, v15, vcc_lo
	global_load_b32 v3, v[14:15], off
	global_load_u16 v16, v[4:5], off offset:16
	global_load_u16 v14, v[14:15], off offset:4
	v_add_co_u32 v4, vcc_lo, 0x48, v4
	s_wait_alu 0xfffd
	v_add_co_ci_u32_e64 v5, null, 0, v5, vcc_lo
	s_wait_loadcnt 0x2
	v_lshlrev_b32_e32 v20, 16, v3
	v_lshlrev_b32_e32 v17, 16, v7
	;; [unrolled: 1-line block ×3, first 2 shown]
	s_wait_loadcnt 0x1
	v_lshlrev_b32_e32 v16, 16, v16
	s_delay_alu instid0(VALU_DEP_3) | instskip(NEXT) | instid1(VALU_DEP_3)
	v_dual_fmac_f32 v10, v17, v20 :: v_dual_and_b32 v3, 0xffff0000, v3
	v_dual_fmac_f32 v12, v15, v20 :: v_dual_lshlrev_b32 v19, 16, v9
	v_and_b32_e32 v9, 0xffff0000, v9
	v_lshlrev_b32_e32 v18, 16, v8
	v_and_b32_e32 v6, 0xffff0000, v6
	v_and_b32_e32 v8, 0xffff0000, v8
	s_delay_alu instid0(VALU_DEP_2)
	v_dual_fmac_f32 v11, v6, v20 :: v_dual_add_nc_u32 v2, 4, v2
	s_wait_loadcnt 0x0
	v_lshlrev_b32_e32 v6, 16, v14
	v_and_b32_e32 v7, 0xffff0000, v7
	v_fmac_f32_e32 v10, v8, v3
	v_cmp_ge_i32_e32 vcc_lo, v2, v13
	s_delay_alu instid0(VALU_DEP_2) | instskip(NEXT) | instid1(VALU_DEP_4)
	v_fmac_f32_e32 v10, v16, v6
	v_fmac_f32_e32 v12, v7, v3
	;; [unrolled: 1-line block ×3, first 2 shown]
	s_wait_alu 0xfffe
	s_or_b32 s2, vcc_lo, s2
	s_delay_alu instid0(VALU_DEP_2) | instskip(NEXT) | instid1(VALU_DEP_2)
	v_fmac_f32_e32 v12, v19, v6
	v_fmac_f32_e32 v11, v9, v6
	s_wait_alu 0xfffe
	s_and_not1_b32 exec_lo, exec_lo, s2
	s_cbranch_execnz .LBB105_22
; %bb.23:
	s_or_b32 exec_lo, exec_lo, s2
.LBB105_24:
	s_wait_alu 0xfffe
	s_or_b32 exec_lo, exec_lo, s3
.LBB105_25:
	v_mbcnt_lo_u32_b32 v2, -1, 0
	s_mov_b32 s2, -1
	s_delay_alu instid0(VALU_DEP_1) | instskip(NEXT) | instid1(VALU_DEP_1)
	v_xor_b32_e32 v3, 2, v2
	v_cmp_gt_i32_e32 vcc_lo, 32, v3
	s_wait_alu 0xfffd
	v_cndmask_b32_e32 v3, v2, v3, vcc_lo
	s_delay_alu instid0(VALU_DEP_1) | instskip(SKIP_4) | instid1(VALU_DEP_1)
	v_lshlrev_b32_e32 v3, 2, v3
	ds_bpermute_b32 v4, v3, v12
	ds_bpermute_b32 v5, v3, v11
	ds_bpermute_b32 v6, v3, v10
	v_xor_b32_e32 v3, 1, v2
	v_cmp_gt_i32_e32 vcc_lo, 32, v3
	s_wait_alu 0xfffd
	v_cndmask_b32_e32 v2, v2, v3, vcc_lo
	v_cmp_eq_u32_e32 vcc_lo, 3, v0
	s_wait_dscnt 0x1
	v_add_f32_e32 v3, v11, v5
	s_delay_alu instid0(VALU_DEP_3)
	v_dual_add_f32 v2, v12, v4 :: v_dual_lshlrev_b32 v7, 2, v2
	s_wait_dscnt 0x0
	v_add_f32_e32 v4, v10, v6
	ds_bpermute_b32 v6, v7, v3
	ds_bpermute_b32 v5, v7, v2
	;; [unrolled: 1-line block ×3, first 2 shown]
	s_and_b32 exec_lo, exec_lo, vcc_lo
	s_cbranch_execz .LBB105_10
; %bb.26:
	s_load_b64 s[0:1], s[0:1], 0x50
	s_wait_dscnt 0x1
	v_add_f32_e32 v0, v2, v5
	v_add_f32_e32 v2, v3, v6
	s_wait_dscnt 0x0
	v_add_f32_e32 v4, v4, v7
	v_lshl_add_u32 v3, v1, 1, v1
	s_cmp_eq_f32 s12, 0
	v_dual_mul_f32 v1, s14, v2 :: v_dual_mul_f32 v0, s14, v0
	s_delay_alu instid0(VALU_DEP_3) | instskip(NEXT) | instid1(VALU_DEP_3)
	v_mul_f32_e32 v2, s14, v4
	v_ashrrev_i32_e32 v4, 31, v3
	s_cbranch_scc0 .LBB105_28
; %bb.27:
	s_delay_alu instid0(VALU_DEP_1) | instskip(SKIP_2) | instid1(VALU_DEP_1)
	v_lshlrev_b64_e32 v[5:6], 2, v[3:4]
	s_mov_b32 s2, 0
	s_wait_kmcnt 0x0
	v_add_co_u32 v5, vcc_lo, s0, v5
	s_wait_alu 0xfffd
	s_delay_alu instid0(VALU_DEP_2)
	v_add_co_ci_u32_e64 v6, null, s1, v6, vcc_lo
	global_store_b96 v[5:6], v[0:2], off
.LBB105_28:
	s_wait_alu 0xfffe
	s_and_not1_b32 vcc_lo, exec_lo, s2
	s_wait_alu 0xfffe
	s_cbranch_vccnz .LBB105_10
; %bb.29:
	v_lshlrev_b64_e32 v[3:4], 2, v[3:4]
	s_wait_kmcnt 0x0
	s_delay_alu instid0(VALU_DEP_1) | instskip(SKIP_1) | instid1(VALU_DEP_2)
	v_add_co_u32 v6, vcc_lo, s0, v3
	s_wait_alu 0xfffd
	v_add_co_ci_u32_e64 v7, null, s1, v4, vcc_lo
	global_load_b96 v[3:5], v[6:7], off
	s_wait_loadcnt 0x0
	v_dual_fmac_f32 v0, s12, v3 :: v_dual_fmac_f32 v1, s12, v4
	v_fmac_f32_e32 v2, s12, v5
	global_store_b96 v[6:7], v[0:2], off
	s_endpgm
	.section	.rodata,"a",@progbits
	.p2align	6, 0x0
	.amdhsa_kernel _ZN9rocsparseL18bsrxmvn_3x3_kernelILj256ELj4Efii18rocsparse_bfloat16S1_fEEvT3_20rocsparse_direction_NS_24const_host_device_scalarIT1_EES2_PKS2_PKT2_SB_S8_PKT4_PKT5_S6_PT6_21rocsparse_index_base_b
		.amdhsa_group_segment_fixed_size 0
		.amdhsa_private_segment_fixed_size 0
		.amdhsa_kernarg_size 96
		.amdhsa_user_sgpr_count 2
		.amdhsa_user_sgpr_dispatch_ptr 0
		.amdhsa_user_sgpr_queue_ptr 0
		.amdhsa_user_sgpr_kernarg_segment_ptr 1
		.amdhsa_user_sgpr_dispatch_id 0
		.amdhsa_user_sgpr_private_segment_size 0
		.amdhsa_wavefront_size32 1
		.amdhsa_uses_dynamic_stack 0
		.amdhsa_enable_private_segment 0
		.amdhsa_system_sgpr_workgroup_id_x 1
		.amdhsa_system_sgpr_workgroup_id_y 0
		.amdhsa_system_sgpr_workgroup_id_z 0
		.amdhsa_system_sgpr_workgroup_info 0
		.amdhsa_system_vgpr_workitem_id 0
		.amdhsa_next_free_vgpr 24
		.amdhsa_next_free_sgpr 18
		.amdhsa_reserve_vcc 1
		.amdhsa_float_round_mode_32 0
		.amdhsa_float_round_mode_16_64 0
		.amdhsa_float_denorm_mode_32 3
		.amdhsa_float_denorm_mode_16_64 3
		.amdhsa_fp16_overflow 0
		.amdhsa_workgroup_processor_mode 1
		.amdhsa_memory_ordered 1
		.amdhsa_forward_progress 1
		.amdhsa_inst_pref_size 14
		.amdhsa_round_robin_scheduling 0
		.amdhsa_exception_fp_ieee_invalid_op 0
		.amdhsa_exception_fp_denorm_src 0
		.amdhsa_exception_fp_ieee_div_zero 0
		.amdhsa_exception_fp_ieee_overflow 0
		.amdhsa_exception_fp_ieee_underflow 0
		.amdhsa_exception_fp_ieee_inexact 0
		.amdhsa_exception_int_div_zero 0
	.end_amdhsa_kernel
	.section	.text._ZN9rocsparseL18bsrxmvn_3x3_kernelILj256ELj4Efii18rocsparse_bfloat16S1_fEEvT3_20rocsparse_direction_NS_24const_host_device_scalarIT1_EES2_PKS2_PKT2_SB_S8_PKT4_PKT5_S6_PT6_21rocsparse_index_base_b,"axG",@progbits,_ZN9rocsparseL18bsrxmvn_3x3_kernelILj256ELj4Efii18rocsparse_bfloat16S1_fEEvT3_20rocsparse_direction_NS_24const_host_device_scalarIT1_EES2_PKS2_PKT2_SB_S8_PKT4_PKT5_S6_PT6_21rocsparse_index_base_b,comdat
.Lfunc_end105:
	.size	_ZN9rocsparseL18bsrxmvn_3x3_kernelILj256ELj4Efii18rocsparse_bfloat16S1_fEEvT3_20rocsparse_direction_NS_24const_host_device_scalarIT1_EES2_PKS2_PKT2_SB_S8_PKT4_PKT5_S6_PT6_21rocsparse_index_base_b, .Lfunc_end105-_ZN9rocsparseL18bsrxmvn_3x3_kernelILj256ELj4Efii18rocsparse_bfloat16S1_fEEvT3_20rocsparse_direction_NS_24const_host_device_scalarIT1_EES2_PKS2_PKT2_SB_S8_PKT4_PKT5_S6_PT6_21rocsparse_index_base_b
                                        ; -- End function
	.set _ZN9rocsparseL18bsrxmvn_3x3_kernelILj256ELj4Efii18rocsparse_bfloat16S1_fEEvT3_20rocsparse_direction_NS_24const_host_device_scalarIT1_EES2_PKS2_PKT2_SB_S8_PKT4_PKT5_S6_PT6_21rocsparse_index_base_b.num_vgpr, 24
	.set _ZN9rocsparseL18bsrxmvn_3x3_kernelILj256ELj4Efii18rocsparse_bfloat16S1_fEEvT3_20rocsparse_direction_NS_24const_host_device_scalarIT1_EES2_PKS2_PKT2_SB_S8_PKT4_PKT5_S6_PT6_21rocsparse_index_base_b.num_agpr, 0
	.set _ZN9rocsparseL18bsrxmvn_3x3_kernelILj256ELj4Efii18rocsparse_bfloat16S1_fEEvT3_20rocsparse_direction_NS_24const_host_device_scalarIT1_EES2_PKS2_PKT2_SB_S8_PKT4_PKT5_S6_PT6_21rocsparse_index_base_b.numbered_sgpr, 18
	.set _ZN9rocsparseL18bsrxmvn_3x3_kernelILj256ELj4Efii18rocsparse_bfloat16S1_fEEvT3_20rocsparse_direction_NS_24const_host_device_scalarIT1_EES2_PKS2_PKT2_SB_S8_PKT4_PKT5_S6_PT6_21rocsparse_index_base_b.num_named_barrier, 0
	.set _ZN9rocsparseL18bsrxmvn_3x3_kernelILj256ELj4Efii18rocsparse_bfloat16S1_fEEvT3_20rocsparse_direction_NS_24const_host_device_scalarIT1_EES2_PKS2_PKT2_SB_S8_PKT4_PKT5_S6_PT6_21rocsparse_index_base_b.private_seg_size, 0
	.set _ZN9rocsparseL18bsrxmvn_3x3_kernelILj256ELj4Efii18rocsparse_bfloat16S1_fEEvT3_20rocsparse_direction_NS_24const_host_device_scalarIT1_EES2_PKS2_PKT2_SB_S8_PKT4_PKT5_S6_PT6_21rocsparse_index_base_b.uses_vcc, 1
	.set _ZN9rocsparseL18bsrxmvn_3x3_kernelILj256ELj4Efii18rocsparse_bfloat16S1_fEEvT3_20rocsparse_direction_NS_24const_host_device_scalarIT1_EES2_PKS2_PKT2_SB_S8_PKT4_PKT5_S6_PT6_21rocsparse_index_base_b.uses_flat_scratch, 0
	.set _ZN9rocsparseL18bsrxmvn_3x3_kernelILj256ELj4Efii18rocsparse_bfloat16S1_fEEvT3_20rocsparse_direction_NS_24const_host_device_scalarIT1_EES2_PKS2_PKT2_SB_S8_PKT4_PKT5_S6_PT6_21rocsparse_index_base_b.has_dyn_sized_stack, 0
	.set _ZN9rocsparseL18bsrxmvn_3x3_kernelILj256ELj4Efii18rocsparse_bfloat16S1_fEEvT3_20rocsparse_direction_NS_24const_host_device_scalarIT1_EES2_PKS2_PKT2_SB_S8_PKT4_PKT5_S6_PT6_21rocsparse_index_base_b.has_recursion, 0
	.set _ZN9rocsparseL18bsrxmvn_3x3_kernelILj256ELj4Efii18rocsparse_bfloat16S1_fEEvT3_20rocsparse_direction_NS_24const_host_device_scalarIT1_EES2_PKS2_PKT2_SB_S8_PKT4_PKT5_S6_PT6_21rocsparse_index_base_b.has_indirect_call, 0
	.section	.AMDGPU.csdata,"",@progbits
; Kernel info:
; codeLenInByte = 1672
; TotalNumSgprs: 20
; NumVgprs: 24
; ScratchSize: 0
; MemoryBound: 0
; FloatMode: 240
; IeeeMode: 1
; LDSByteSize: 0 bytes/workgroup (compile time only)
; SGPRBlocks: 0
; VGPRBlocks: 2
; NumSGPRsForWavesPerEU: 20
; NumVGPRsForWavesPerEU: 24
; Occupancy: 16
; WaveLimiterHint : 1
; COMPUTE_PGM_RSRC2:SCRATCH_EN: 0
; COMPUTE_PGM_RSRC2:USER_SGPR: 2
; COMPUTE_PGM_RSRC2:TRAP_HANDLER: 0
; COMPUTE_PGM_RSRC2:TGID_X_EN: 1
; COMPUTE_PGM_RSRC2:TGID_Y_EN: 0
; COMPUTE_PGM_RSRC2:TGID_Z_EN: 0
; COMPUTE_PGM_RSRC2:TIDIG_COMP_CNT: 0
	.section	.text._ZN9rocsparseL18bsrxmvn_3x3_kernelILj256ELj8Efii18rocsparse_bfloat16S1_fEEvT3_20rocsparse_direction_NS_24const_host_device_scalarIT1_EES2_PKS2_PKT2_SB_S8_PKT4_PKT5_S6_PT6_21rocsparse_index_base_b,"axG",@progbits,_ZN9rocsparseL18bsrxmvn_3x3_kernelILj256ELj8Efii18rocsparse_bfloat16S1_fEEvT3_20rocsparse_direction_NS_24const_host_device_scalarIT1_EES2_PKS2_PKT2_SB_S8_PKT4_PKT5_S6_PT6_21rocsparse_index_base_b,comdat
	.globl	_ZN9rocsparseL18bsrxmvn_3x3_kernelILj256ELj8Efii18rocsparse_bfloat16S1_fEEvT3_20rocsparse_direction_NS_24const_host_device_scalarIT1_EES2_PKS2_PKT2_SB_S8_PKT4_PKT5_S6_PT6_21rocsparse_index_base_b ; -- Begin function _ZN9rocsparseL18bsrxmvn_3x3_kernelILj256ELj8Efii18rocsparse_bfloat16S1_fEEvT3_20rocsparse_direction_NS_24const_host_device_scalarIT1_EES2_PKS2_PKT2_SB_S8_PKT4_PKT5_S6_PT6_21rocsparse_index_base_b
	.p2align	8
	.type	_ZN9rocsparseL18bsrxmvn_3x3_kernelILj256ELj8Efii18rocsparse_bfloat16S1_fEEvT3_20rocsparse_direction_NS_24const_host_device_scalarIT1_EES2_PKS2_PKT2_SB_S8_PKT4_PKT5_S6_PT6_21rocsparse_index_base_b,@function
_ZN9rocsparseL18bsrxmvn_3x3_kernelILj256ELj8Efii18rocsparse_bfloat16S1_fEEvT3_20rocsparse_direction_NS_24const_host_device_scalarIT1_EES2_PKS2_PKT2_SB_S8_PKT4_PKT5_S6_PT6_21rocsparse_index_base_b: ; @_ZN9rocsparseL18bsrxmvn_3x3_kernelILj256ELj8Efii18rocsparse_bfloat16S1_fEEvT3_20rocsparse_direction_NS_24const_host_device_scalarIT1_EES2_PKS2_PKT2_SB_S8_PKT4_PKT5_S6_PT6_21rocsparse_index_base_b
; %bb.0:
	s_clause 0x2
	s_load_b64 s[16:17], s[0:1], 0x58
	s_load_b64 s[14:15], s[0:1], 0x8
	;; [unrolled: 1-line block ×3, first 2 shown]
	s_wait_kmcnt 0x0
	s_bitcmp1_b32 s17, 0
	s_cselect_b32 s2, -1, 0
	s_delay_alu instid0(SALU_CYCLE_1)
	s_and_b32 vcc_lo, exec_lo, s2
	s_xor_b32 s2, s2, -1
	s_cbranch_vccnz .LBB106_2
; %bb.1:
	s_load_b32 s14, s[14:15], 0x0
.LBB106_2:
	s_and_not1_b32 vcc_lo, exec_lo, s2
	s_cbranch_vccnz .LBB106_4
; %bb.3:
	s_load_b32 s12, s[12:13], 0x0
.LBB106_4:
	s_wait_kmcnt 0x0
	s_cmp_neq_f32 s14, 0
	s_mov_b32 s6, 0
	s_cselect_b32 s2, -1, 0
	s_cmp_neq_f32 s12, 1.0
	s_cselect_b32 s3, -1, 0
	s_delay_alu instid0(SALU_CYCLE_1) | instskip(NEXT) | instid1(SALU_CYCLE_1)
	s_or_b32 s2, s2, s3
	s_and_not1_b32 vcc_lo, exec_lo, s2
	s_cbranch_vccnz .LBB106_10
; %bb.5:
	s_clause 0x1
	s_load_b64 s[4:5], s[0:1], 0x18
	s_load_b64 s[2:3], s[0:1], 0x0
	v_lshrrev_b32_e32 v1, 3, v0
	s_delay_alu instid0(VALU_DEP_1)
	v_lshl_or_b32 v1, ttmp9, 5, v1
	s_wait_kmcnt 0x0
	s_cmp_lg_u64 s[4:5], 0
	s_cbranch_scc0 .LBB106_11
; %bb.6:
	s_load_b32 s6, s[0:1], 0x10
	s_mov_b32 s7, 0
                                        ; implicit-def: $vgpr2
	s_wait_kmcnt 0x0
	v_cmp_gt_i32_e32 vcc_lo, s6, v1
	s_mov_b32 s6, 0
	s_and_saveexec_b32 s8, vcc_lo
	s_delay_alu instid0(SALU_CYCLE_1)
	s_xor_b32 s8, exec_lo, s8
	s_cbranch_execz .LBB106_8
; %bb.7:
	v_ashrrev_i32_e32 v2, 31, v1
	s_mov_b32 s6, exec_lo
	s_delay_alu instid0(VALU_DEP_1) | instskip(NEXT) | instid1(VALU_DEP_1)
	v_lshlrev_b64_e32 v[2:3], 2, v[1:2]
	v_add_co_u32 v2, vcc_lo, s4, v2
	s_delay_alu instid0(VALU_DEP_1)
	v_add_co_ci_u32_e64 v3, null, s5, v3, vcc_lo
	global_load_b32 v2, v[2:3], off
	s_wait_loadcnt 0x0
	v_subrev_nc_u32_e32 v2, s16, v2
.LBB106_8:
	s_or_b32 exec_lo, exec_lo, s8
	s_delay_alu instid0(SALU_CYCLE_1)
	s_and_b32 vcc_lo, exec_lo, s7
	s_wait_alu 0xfffe
	s_cbranch_vccz .LBB106_12
.LBB106_9:
	v_cmp_gt_i32_e32 vcc_lo, s2, v1
	s_and_not1_b32 s2, s6, exec_lo
	s_and_b32 s4, vcc_lo, exec_lo
	s_wait_alu 0xfffe
	s_or_b32 s6, s2, s4
	s_wait_alu 0xfffe
	s_and_saveexec_b32 s2, s6
	s_cbranch_execnz .LBB106_13
.LBB106_10:
	s_endpgm
.LBB106_11:
                                        ; implicit-def: $vgpr2
	s_cbranch_execnz .LBB106_9
.LBB106_12:
	v_mov_b32_e32 v1, v2
	s_and_saveexec_b32 s2, s6
	s_cbranch_execz .LBB106_10
.LBB106_13:
	s_load_b256 s[4:11], s[0:1], 0x20
	s_delay_alu instid0(VALU_DEP_1) | instskip(SKIP_1) | instid1(VALU_DEP_2)
	v_ashrrev_i32_e32 v2, 31, v1
	v_and_b32_e32 v0, 7, v0
	v_lshlrev_b64_e32 v[2:3], 2, v[1:2]
	s_wait_kmcnt 0x0
	s_delay_alu instid0(VALU_DEP_1) | instskip(SKIP_1) | instid1(VALU_DEP_2)
	v_add_co_u32 v4, vcc_lo, s4, v2
	s_wait_alu 0xfffd
	v_add_co_ci_u32_e64 v5, null, s5, v3, vcc_lo
	v_add_co_u32 v2, vcc_lo, s6, v2
	s_wait_alu 0xfffd
	v_add_co_ci_u32_e64 v3, null, s7, v3, vcc_lo
	;; [unrolled: 3-line block ×3, first 2 shown]
	s_cmp_eq_u64 s[6:7], 0
	global_load_b32 v4, v[4:5], off
	s_cselect_b32 vcc_lo, -1, 0
	s_load_b64 s[4:5], s[0:1], 0x40
	v_dual_cndmask_b32 v3, v3, v7 :: v_dual_cndmask_b32 v2, v2, v6
	s_cmp_eq_u32 s3, 1
	global_load_b32 v3, v[2:3], off
	s_wait_loadcnt 0x1
	v_subrev_nc_u32_e32 v2, s16, v4
	s_delay_alu instid0(VALU_DEP_1) | instskip(SKIP_2) | instid1(VALU_DEP_2)
	v_add_nc_u32_e32 v2, v2, v0
	s_wait_loadcnt 0x0
	v_subrev_nc_u32_e32 v13, s16, v3
	v_mad_co_i64_i32 v[4:5], null, v2, 18, s[10:11]
	s_delay_alu instid0(VALU_DEP_2)
	v_cmp_lt_i32_e64 s2, v2, v13
	s_cbranch_scc1 .LBB106_19
; %bb.14:
	v_dual_mov_b32 v10, 0 :: v_dual_mov_b32 v11, 0
	v_mov_b32_e32 v12, 0
	s_and_saveexec_b32 s3, s2
	s_cbranch_execz .LBB106_18
; %bb.15:
	v_dual_mov_b32 v10, 0 :: v_dual_mov_b32 v7, v5
	v_dual_mov_b32 v6, v4 :: v_dual_mov_b32 v11, 0
	v_mov_b32_e32 v8, v2
	v_mov_b32_e32 v12, 0
	s_mov_b32 s6, 0
.LBB106_16:                             ; =>This Inner Loop Header: Depth=1
	s_delay_alu instid0(VALU_DEP_2) | instskip(NEXT) | instid1(VALU_DEP_1)
	v_ashrrev_i32_e32 v9, 31, v8
	v_lshlrev_b64_e32 v[14:15], 2, v[8:9]
	s_delay_alu instid0(VALU_DEP_1) | instskip(SKIP_1) | instid1(VALU_DEP_2)
	v_add_co_u32 v14, vcc_lo, s8, v14
	s_wait_alu 0xfffd
	v_add_co_ci_u32_e64 v15, null, s9, v15, vcc_lo
	global_load_b32 v3, v[14:15], off
	global_load_b128 v[14:17], v[6:7], off
	s_wait_loadcnt 0x1
	v_subrev_nc_u32_e32 v3, s16, v3
	s_wait_loadcnt 0x0
	v_lshlrev_b32_e32 v20, 16, v15
	v_and_b32_e32 v15, 0xffff0000, v15
	s_delay_alu instid0(VALU_DEP_3) | instskip(NEXT) | instid1(VALU_DEP_1)
	v_lshl_add_u32 v18, v3, 1, v3
	v_ashrrev_i32_e32 v19, 31, v18
	s_delay_alu instid0(VALU_DEP_1) | instskip(SKIP_1) | instid1(VALU_DEP_1)
	v_lshlrev_b64_e32 v[18:19], 1, v[18:19]
	s_wait_kmcnt 0x0
	v_add_co_u32 v18, vcc_lo, s4, v18
	s_wait_alu 0xfffd
	s_delay_alu instid0(VALU_DEP_2)
	v_add_co_ci_u32_e64 v19, null, s5, v19, vcc_lo
	global_load_b32 v3, v[18:19], off
	global_load_u16 v9, v[6:7], off offset:16
	global_load_u16 v18, v[18:19], off offset:4
	v_add_co_u32 v6, vcc_lo, 0x90, v6
	s_wait_alu 0xfffd
	v_add_co_ci_u32_e64 v7, null, 0, v7, vcc_lo
	s_wait_loadcnt 0x2
	v_lshlrev_b32_e32 v23, 16, v3
	v_add_nc_u32_e32 v8, 8, v8
	v_and_b32_e32 v3, 0xffff0000, v3
	s_delay_alu instid0(VALU_DEP_3)
	v_fmac_f32_e32 v11, v15, v23
	s_wait_loadcnt 0x0
	v_lshlrev_b32_e32 v15, 16, v18
	v_lshlrev_b32_e32 v22, 16, v17
	v_lshlrev_b32_e32 v19, 16, v14
	v_cmp_ge_i32_e32 vcc_lo, v8, v13
	s_delay_alu instid0(VALU_DEP_3) | instskip(NEXT) | instid1(VALU_DEP_3)
	v_dual_fmac_f32 v10, v22, v23 :: v_dual_lshlrev_b32 v21, 16, v16
	v_fmac_f32_e32 v12, v19, v23
	v_and_b32_e32 v14, 0xffff0000, v14
	v_and_b32_e32 v16, 0xffff0000, v16
	s_wait_alu 0xfffe
	s_or_b32 s6, vcc_lo, s6
	v_fmac_f32_e32 v11, v21, v3
	v_dual_fmac_f32 v12, v14, v3 :: v_dual_and_b32 v17, 0xffff0000, v17
	v_lshlrev_b32_e32 v9, 16, v9
	s_delay_alu instid0(VALU_DEP_3) | instskip(NEXT) | instid1(VALU_DEP_3)
	v_fmac_f32_e32 v11, v16, v15
	v_fmac_f32_e32 v10, v17, v3
	s_delay_alu instid0(VALU_DEP_4) | instskip(NEXT) | instid1(VALU_DEP_2)
	v_fmac_f32_e32 v12, v20, v15
	v_fmac_f32_e32 v10, v9, v15
	s_wait_alu 0xfffe
	s_and_not1_b32 exec_lo, exec_lo, s6
	s_cbranch_execnz .LBB106_16
; %bb.17:
	s_or_b32 exec_lo, exec_lo, s6
.LBB106_18:
	s_wait_alu 0xfffe
	s_or_b32 exec_lo, exec_lo, s3
	s_cbranch_execz .LBB106_20
	s_branch .LBB106_25
.LBB106_19:
                                        ; implicit-def: $vgpr10
                                        ; implicit-def: $vgpr11
                                        ; implicit-def: $vgpr12
.LBB106_20:
	v_dual_mov_b32 v10, 0 :: v_dual_mov_b32 v11, 0
	v_mov_b32_e32 v12, 0
	s_and_saveexec_b32 s3, s2
	s_cbranch_execz .LBB106_24
; %bb.21:
	v_dual_mov_b32 v10, 0 :: v_dual_mov_b32 v11, 0
	v_mov_b32_e32 v12, 0
	s_mov_b32 s2, 0
.LBB106_22:                             ; =>This Inner Loop Header: Depth=1
	v_ashrrev_i32_e32 v3, 31, v2
	s_delay_alu instid0(VALU_DEP_1) | instskip(NEXT) | instid1(VALU_DEP_1)
	v_lshlrev_b64_e32 v[6:7], 2, v[2:3]
	v_add_co_u32 v6, vcc_lo, s8, v6
	s_wait_alu 0xfffd
	s_delay_alu instid0(VALU_DEP_2) | instskip(SKIP_4) | instid1(VALU_DEP_1)
	v_add_co_ci_u32_e64 v7, null, s9, v7, vcc_lo
	global_load_b32 v3, v[6:7], off
	global_load_b128 v[6:9], v[4:5], off
	s_wait_loadcnt 0x1
	v_subrev_nc_u32_e32 v3, s16, v3
	v_lshl_add_u32 v14, v3, 1, v3
	s_delay_alu instid0(VALU_DEP_1) | instskip(NEXT) | instid1(VALU_DEP_1)
	v_ashrrev_i32_e32 v15, 31, v14
	v_lshlrev_b64_e32 v[14:15], 1, v[14:15]
	s_wait_kmcnt 0x0
	s_delay_alu instid0(VALU_DEP_1) | instskip(SKIP_1) | instid1(VALU_DEP_2)
	v_add_co_u32 v14, vcc_lo, s4, v14
	s_wait_alu 0xfffd
	v_add_co_ci_u32_e64 v15, null, s5, v15, vcc_lo
	global_load_b32 v3, v[14:15], off
	global_load_u16 v16, v[4:5], off offset:16
	global_load_u16 v14, v[14:15], off offset:4
	v_add_co_u32 v4, vcc_lo, 0x90, v4
	s_wait_alu 0xfffd
	v_add_co_ci_u32_e64 v5, null, 0, v5, vcc_lo
	s_wait_loadcnt 0x2
	v_lshlrev_b32_e32 v20, 16, v3
	v_lshlrev_b32_e32 v17, 16, v7
	;; [unrolled: 1-line block ×3, first 2 shown]
	s_wait_loadcnt 0x1
	v_lshlrev_b32_e32 v16, 16, v16
	s_delay_alu instid0(VALU_DEP_3) | instskip(NEXT) | instid1(VALU_DEP_3)
	v_dual_fmac_f32 v10, v17, v20 :: v_dual_and_b32 v3, 0xffff0000, v3
	v_dual_fmac_f32 v12, v15, v20 :: v_dual_lshlrev_b32 v19, 16, v9
	v_and_b32_e32 v9, 0xffff0000, v9
	v_lshlrev_b32_e32 v18, 16, v8
	v_and_b32_e32 v6, 0xffff0000, v6
	v_and_b32_e32 v8, 0xffff0000, v8
	s_delay_alu instid0(VALU_DEP_2)
	v_dual_fmac_f32 v11, v6, v20 :: v_dual_add_nc_u32 v2, 8, v2
	s_wait_loadcnt 0x0
	v_lshlrev_b32_e32 v6, 16, v14
	v_and_b32_e32 v7, 0xffff0000, v7
	v_fmac_f32_e32 v10, v8, v3
	v_cmp_ge_i32_e32 vcc_lo, v2, v13
	s_delay_alu instid0(VALU_DEP_2) | instskip(NEXT) | instid1(VALU_DEP_4)
	v_fmac_f32_e32 v10, v16, v6
	v_fmac_f32_e32 v12, v7, v3
	;; [unrolled: 1-line block ×3, first 2 shown]
	s_wait_alu 0xfffe
	s_or_b32 s2, vcc_lo, s2
	s_delay_alu instid0(VALU_DEP_2) | instskip(NEXT) | instid1(VALU_DEP_2)
	v_fmac_f32_e32 v12, v19, v6
	v_fmac_f32_e32 v11, v9, v6
	s_wait_alu 0xfffe
	s_and_not1_b32 exec_lo, exec_lo, s2
	s_cbranch_execnz .LBB106_22
; %bb.23:
	s_or_b32 exec_lo, exec_lo, s2
.LBB106_24:
	s_wait_alu 0xfffe
	s_or_b32 exec_lo, exec_lo, s3
.LBB106_25:
	v_mbcnt_lo_u32_b32 v2, -1, 0
	s_mov_b32 s2, -1
	s_delay_alu instid0(VALU_DEP_1) | instskip(SKIP_2) | instid1(VALU_DEP_3)
	v_xor_b32_e32 v3, 4, v2
	v_xor_b32_e32 v6, 2, v2
	;; [unrolled: 1-line block ×3, first 2 shown]
	v_cmp_gt_i32_e32 vcc_lo, 32, v3
	s_wait_alu 0xfffd
	v_cndmask_b32_e32 v3, v2, v3, vcc_lo
	v_cmp_gt_i32_e32 vcc_lo, 32, v6
	s_wait_alu 0xfffd
	v_cndmask_b32_e32 v6, v2, v6, vcc_lo
	v_cmp_gt_i32_e32 vcc_lo, 32, v9
	s_delay_alu instid0(VALU_DEP_2)
	v_lshlrev_b32_e32 v6, 2, v6
	v_lshlrev_b32_e32 v3, 2, v3
	ds_bpermute_b32 v4, v3, v12
	s_wait_dscnt 0x0
	v_add_f32_e32 v4, v12, v4
	ds_bpermute_b32 v5, v3, v11
	ds_bpermute_b32 v3, v3, v10
	s_wait_dscnt 0x1
	v_add_f32_e32 v5, v11, v5
	s_wait_dscnt 0x0
	v_add_f32_e32 v7, v10, v3
	ds_bpermute_b32 v3, v6, v4
	ds_bpermute_b32 v8, v6, v5
	;; [unrolled: 1-line block ×3, first 2 shown]
	s_wait_alu 0xfffd
	v_cndmask_b32_e32 v2, v2, v9, vcc_lo
	v_cmp_eq_u32_e32 vcc_lo, 7, v0
	s_wait_dscnt 0x2
	s_delay_alu instid0(VALU_DEP_2)
	v_dual_add_f32 v2, v4, v3 :: v_dual_lshlrev_b32 v9, 2, v2
	s_wait_dscnt 0x0
	v_dual_add_f32 v3, v5, v8 :: v_dual_add_f32 v4, v7, v6
	ds_bpermute_b32 v5, v9, v2
	ds_bpermute_b32 v6, v9, v3
	;; [unrolled: 1-line block ×3, first 2 shown]
	s_and_b32 exec_lo, exec_lo, vcc_lo
	s_cbranch_execz .LBB106_10
; %bb.26:
	s_load_b64 s[0:1], s[0:1], 0x50
	s_wait_dscnt 0x2
	v_add_f32_e32 v0, v2, v5
	s_wait_dscnt 0x1
	v_add_f32_e32 v2, v3, v6
	;; [unrolled: 2-line block ×3, first 2 shown]
	v_lshl_add_u32 v3, v1, 1, v1
	s_cmp_eq_f32 s12, 0
	v_dual_mul_f32 v1, s14, v2 :: v_dual_mul_f32 v0, s14, v0
	s_delay_alu instid0(VALU_DEP_3) | instskip(NEXT) | instid1(VALU_DEP_3)
	v_mul_f32_e32 v2, s14, v4
	v_ashrrev_i32_e32 v4, 31, v3
	s_cbranch_scc0 .LBB106_28
; %bb.27:
	s_delay_alu instid0(VALU_DEP_1) | instskip(SKIP_2) | instid1(VALU_DEP_1)
	v_lshlrev_b64_e32 v[5:6], 2, v[3:4]
	s_mov_b32 s2, 0
	s_wait_kmcnt 0x0
	v_add_co_u32 v5, vcc_lo, s0, v5
	s_wait_alu 0xfffd
	s_delay_alu instid0(VALU_DEP_2)
	v_add_co_ci_u32_e64 v6, null, s1, v6, vcc_lo
	global_store_b96 v[5:6], v[0:2], off
.LBB106_28:
	s_wait_alu 0xfffe
	s_and_not1_b32 vcc_lo, exec_lo, s2
	s_wait_alu 0xfffe
	s_cbranch_vccnz .LBB106_10
; %bb.29:
	v_lshlrev_b64_e32 v[3:4], 2, v[3:4]
	s_wait_kmcnt 0x0
	s_delay_alu instid0(VALU_DEP_1) | instskip(SKIP_1) | instid1(VALU_DEP_2)
	v_add_co_u32 v6, vcc_lo, s0, v3
	s_wait_alu 0xfffd
	v_add_co_ci_u32_e64 v7, null, s1, v4, vcc_lo
	global_load_b96 v[3:5], v[6:7], off
	s_wait_loadcnt 0x0
	v_dual_fmac_f32 v0, s12, v3 :: v_dual_fmac_f32 v1, s12, v4
	v_fmac_f32_e32 v2, s12, v5
	global_store_b96 v[6:7], v[0:2], off
	s_endpgm
	.section	.rodata,"a",@progbits
	.p2align	6, 0x0
	.amdhsa_kernel _ZN9rocsparseL18bsrxmvn_3x3_kernelILj256ELj8Efii18rocsparse_bfloat16S1_fEEvT3_20rocsparse_direction_NS_24const_host_device_scalarIT1_EES2_PKS2_PKT2_SB_S8_PKT4_PKT5_S6_PT6_21rocsparse_index_base_b
		.amdhsa_group_segment_fixed_size 0
		.amdhsa_private_segment_fixed_size 0
		.amdhsa_kernarg_size 96
		.amdhsa_user_sgpr_count 2
		.amdhsa_user_sgpr_dispatch_ptr 0
		.amdhsa_user_sgpr_queue_ptr 0
		.amdhsa_user_sgpr_kernarg_segment_ptr 1
		.amdhsa_user_sgpr_dispatch_id 0
		.amdhsa_user_sgpr_private_segment_size 0
		.amdhsa_wavefront_size32 1
		.amdhsa_uses_dynamic_stack 0
		.amdhsa_enable_private_segment 0
		.amdhsa_system_sgpr_workgroup_id_x 1
		.amdhsa_system_sgpr_workgroup_id_y 0
		.amdhsa_system_sgpr_workgroup_id_z 0
		.amdhsa_system_sgpr_workgroup_info 0
		.amdhsa_system_vgpr_workitem_id 0
		.amdhsa_next_free_vgpr 24
		.amdhsa_next_free_sgpr 18
		.amdhsa_reserve_vcc 1
		.amdhsa_float_round_mode_32 0
		.amdhsa_float_round_mode_16_64 0
		.amdhsa_float_denorm_mode_32 3
		.amdhsa_float_denorm_mode_16_64 3
		.amdhsa_fp16_overflow 0
		.amdhsa_workgroup_processor_mode 1
		.amdhsa_memory_ordered 1
		.amdhsa_forward_progress 1
		.amdhsa_inst_pref_size 14
		.amdhsa_round_robin_scheduling 0
		.amdhsa_exception_fp_ieee_invalid_op 0
		.amdhsa_exception_fp_denorm_src 0
		.amdhsa_exception_fp_ieee_div_zero 0
		.amdhsa_exception_fp_ieee_overflow 0
		.amdhsa_exception_fp_ieee_underflow 0
		.amdhsa_exception_fp_ieee_inexact 0
		.amdhsa_exception_int_div_zero 0
	.end_amdhsa_kernel
	.section	.text._ZN9rocsparseL18bsrxmvn_3x3_kernelILj256ELj8Efii18rocsparse_bfloat16S1_fEEvT3_20rocsparse_direction_NS_24const_host_device_scalarIT1_EES2_PKS2_PKT2_SB_S8_PKT4_PKT5_S6_PT6_21rocsparse_index_base_b,"axG",@progbits,_ZN9rocsparseL18bsrxmvn_3x3_kernelILj256ELj8Efii18rocsparse_bfloat16S1_fEEvT3_20rocsparse_direction_NS_24const_host_device_scalarIT1_EES2_PKS2_PKT2_SB_S8_PKT4_PKT5_S6_PT6_21rocsparse_index_base_b,comdat
.Lfunc_end106:
	.size	_ZN9rocsparseL18bsrxmvn_3x3_kernelILj256ELj8Efii18rocsparse_bfloat16S1_fEEvT3_20rocsparse_direction_NS_24const_host_device_scalarIT1_EES2_PKS2_PKT2_SB_S8_PKT4_PKT5_S6_PT6_21rocsparse_index_base_b, .Lfunc_end106-_ZN9rocsparseL18bsrxmvn_3x3_kernelILj256ELj8Efii18rocsparse_bfloat16S1_fEEvT3_20rocsparse_direction_NS_24const_host_device_scalarIT1_EES2_PKS2_PKT2_SB_S8_PKT4_PKT5_S6_PT6_21rocsparse_index_base_b
                                        ; -- End function
	.set _ZN9rocsparseL18bsrxmvn_3x3_kernelILj256ELj8Efii18rocsparse_bfloat16S1_fEEvT3_20rocsparse_direction_NS_24const_host_device_scalarIT1_EES2_PKS2_PKT2_SB_S8_PKT4_PKT5_S6_PT6_21rocsparse_index_base_b.num_vgpr, 24
	.set _ZN9rocsparseL18bsrxmvn_3x3_kernelILj256ELj8Efii18rocsparse_bfloat16S1_fEEvT3_20rocsparse_direction_NS_24const_host_device_scalarIT1_EES2_PKS2_PKT2_SB_S8_PKT4_PKT5_S6_PT6_21rocsparse_index_base_b.num_agpr, 0
	.set _ZN9rocsparseL18bsrxmvn_3x3_kernelILj256ELj8Efii18rocsparse_bfloat16S1_fEEvT3_20rocsparse_direction_NS_24const_host_device_scalarIT1_EES2_PKS2_PKT2_SB_S8_PKT4_PKT5_S6_PT6_21rocsparse_index_base_b.numbered_sgpr, 18
	.set _ZN9rocsparseL18bsrxmvn_3x3_kernelILj256ELj8Efii18rocsparse_bfloat16S1_fEEvT3_20rocsparse_direction_NS_24const_host_device_scalarIT1_EES2_PKS2_PKT2_SB_S8_PKT4_PKT5_S6_PT6_21rocsparse_index_base_b.num_named_barrier, 0
	.set _ZN9rocsparseL18bsrxmvn_3x3_kernelILj256ELj8Efii18rocsparse_bfloat16S1_fEEvT3_20rocsparse_direction_NS_24const_host_device_scalarIT1_EES2_PKS2_PKT2_SB_S8_PKT4_PKT5_S6_PT6_21rocsparse_index_base_b.private_seg_size, 0
	.set _ZN9rocsparseL18bsrxmvn_3x3_kernelILj256ELj8Efii18rocsparse_bfloat16S1_fEEvT3_20rocsparse_direction_NS_24const_host_device_scalarIT1_EES2_PKS2_PKT2_SB_S8_PKT4_PKT5_S6_PT6_21rocsparse_index_base_b.uses_vcc, 1
	.set _ZN9rocsparseL18bsrxmvn_3x3_kernelILj256ELj8Efii18rocsparse_bfloat16S1_fEEvT3_20rocsparse_direction_NS_24const_host_device_scalarIT1_EES2_PKS2_PKT2_SB_S8_PKT4_PKT5_S6_PT6_21rocsparse_index_base_b.uses_flat_scratch, 0
	.set _ZN9rocsparseL18bsrxmvn_3x3_kernelILj256ELj8Efii18rocsparse_bfloat16S1_fEEvT3_20rocsparse_direction_NS_24const_host_device_scalarIT1_EES2_PKS2_PKT2_SB_S8_PKT4_PKT5_S6_PT6_21rocsparse_index_base_b.has_dyn_sized_stack, 0
	.set _ZN9rocsparseL18bsrxmvn_3x3_kernelILj256ELj8Efii18rocsparse_bfloat16S1_fEEvT3_20rocsparse_direction_NS_24const_host_device_scalarIT1_EES2_PKS2_PKT2_SB_S8_PKT4_PKT5_S6_PT6_21rocsparse_index_base_b.has_recursion, 0
	.set _ZN9rocsparseL18bsrxmvn_3x3_kernelILj256ELj8Efii18rocsparse_bfloat16S1_fEEvT3_20rocsparse_direction_NS_24const_host_device_scalarIT1_EES2_PKS2_PKT2_SB_S8_PKT4_PKT5_S6_PT6_21rocsparse_index_base_b.has_indirect_call, 0
	.section	.AMDGPU.csdata,"",@progbits
; Kernel info:
; codeLenInByte = 1744
; TotalNumSgprs: 20
; NumVgprs: 24
; ScratchSize: 0
; MemoryBound: 0
; FloatMode: 240
; IeeeMode: 1
; LDSByteSize: 0 bytes/workgroup (compile time only)
; SGPRBlocks: 0
; VGPRBlocks: 2
; NumSGPRsForWavesPerEU: 20
; NumVGPRsForWavesPerEU: 24
; Occupancy: 16
; WaveLimiterHint : 1
; COMPUTE_PGM_RSRC2:SCRATCH_EN: 0
; COMPUTE_PGM_RSRC2:USER_SGPR: 2
; COMPUTE_PGM_RSRC2:TRAP_HANDLER: 0
; COMPUTE_PGM_RSRC2:TGID_X_EN: 1
; COMPUTE_PGM_RSRC2:TGID_Y_EN: 0
; COMPUTE_PGM_RSRC2:TGID_Z_EN: 0
; COMPUTE_PGM_RSRC2:TIDIG_COMP_CNT: 0
	.section	.text._ZN9rocsparseL18bsrxmvn_3x3_kernelILj256ELj16Efii18rocsparse_bfloat16S1_fEEvT3_20rocsparse_direction_NS_24const_host_device_scalarIT1_EES2_PKS2_PKT2_SB_S8_PKT4_PKT5_S6_PT6_21rocsparse_index_base_b,"axG",@progbits,_ZN9rocsparseL18bsrxmvn_3x3_kernelILj256ELj16Efii18rocsparse_bfloat16S1_fEEvT3_20rocsparse_direction_NS_24const_host_device_scalarIT1_EES2_PKS2_PKT2_SB_S8_PKT4_PKT5_S6_PT6_21rocsparse_index_base_b,comdat
	.globl	_ZN9rocsparseL18bsrxmvn_3x3_kernelILj256ELj16Efii18rocsparse_bfloat16S1_fEEvT3_20rocsparse_direction_NS_24const_host_device_scalarIT1_EES2_PKS2_PKT2_SB_S8_PKT4_PKT5_S6_PT6_21rocsparse_index_base_b ; -- Begin function _ZN9rocsparseL18bsrxmvn_3x3_kernelILj256ELj16Efii18rocsparse_bfloat16S1_fEEvT3_20rocsparse_direction_NS_24const_host_device_scalarIT1_EES2_PKS2_PKT2_SB_S8_PKT4_PKT5_S6_PT6_21rocsparse_index_base_b
	.p2align	8
	.type	_ZN9rocsparseL18bsrxmvn_3x3_kernelILj256ELj16Efii18rocsparse_bfloat16S1_fEEvT3_20rocsparse_direction_NS_24const_host_device_scalarIT1_EES2_PKS2_PKT2_SB_S8_PKT4_PKT5_S6_PT6_21rocsparse_index_base_b,@function
_ZN9rocsparseL18bsrxmvn_3x3_kernelILj256ELj16Efii18rocsparse_bfloat16S1_fEEvT3_20rocsparse_direction_NS_24const_host_device_scalarIT1_EES2_PKS2_PKT2_SB_S8_PKT4_PKT5_S6_PT6_21rocsparse_index_base_b: ; @_ZN9rocsparseL18bsrxmvn_3x3_kernelILj256ELj16Efii18rocsparse_bfloat16S1_fEEvT3_20rocsparse_direction_NS_24const_host_device_scalarIT1_EES2_PKS2_PKT2_SB_S8_PKT4_PKT5_S6_PT6_21rocsparse_index_base_b
; %bb.0:
	s_clause 0x2
	s_load_b64 s[16:17], s[0:1], 0x58
	s_load_b64 s[14:15], s[0:1], 0x8
	;; [unrolled: 1-line block ×3, first 2 shown]
	s_wait_kmcnt 0x0
	s_bitcmp1_b32 s17, 0
	s_cselect_b32 s2, -1, 0
	s_delay_alu instid0(SALU_CYCLE_1)
	s_and_b32 vcc_lo, exec_lo, s2
	s_xor_b32 s2, s2, -1
	s_cbranch_vccnz .LBB107_2
; %bb.1:
	s_load_b32 s14, s[14:15], 0x0
.LBB107_2:
	s_and_not1_b32 vcc_lo, exec_lo, s2
	s_cbranch_vccnz .LBB107_4
; %bb.3:
	s_load_b32 s12, s[12:13], 0x0
.LBB107_4:
	s_wait_kmcnt 0x0
	s_cmp_neq_f32 s14, 0
	s_mov_b32 s6, 0
	s_cselect_b32 s2, -1, 0
	s_cmp_neq_f32 s12, 1.0
	s_cselect_b32 s3, -1, 0
	s_delay_alu instid0(SALU_CYCLE_1) | instskip(NEXT) | instid1(SALU_CYCLE_1)
	s_or_b32 s2, s2, s3
	s_and_not1_b32 vcc_lo, exec_lo, s2
	s_cbranch_vccnz .LBB107_10
; %bb.5:
	s_clause 0x1
	s_load_b64 s[4:5], s[0:1], 0x18
	s_load_b64 s[2:3], s[0:1], 0x0
	v_lshrrev_b32_e32 v1, 4, v0
	s_delay_alu instid0(VALU_DEP_1)
	v_lshl_or_b32 v1, ttmp9, 4, v1
	s_wait_kmcnt 0x0
	s_cmp_lg_u64 s[4:5], 0
	s_cbranch_scc0 .LBB107_11
; %bb.6:
	s_load_b32 s6, s[0:1], 0x10
	s_mov_b32 s7, 0
                                        ; implicit-def: $vgpr2
	s_wait_kmcnt 0x0
	v_cmp_gt_i32_e32 vcc_lo, s6, v1
	s_mov_b32 s6, 0
	s_and_saveexec_b32 s8, vcc_lo
	s_delay_alu instid0(SALU_CYCLE_1)
	s_xor_b32 s8, exec_lo, s8
	s_cbranch_execz .LBB107_8
; %bb.7:
	v_ashrrev_i32_e32 v2, 31, v1
	s_mov_b32 s6, exec_lo
	s_delay_alu instid0(VALU_DEP_1) | instskip(NEXT) | instid1(VALU_DEP_1)
	v_lshlrev_b64_e32 v[2:3], 2, v[1:2]
	v_add_co_u32 v2, vcc_lo, s4, v2
	s_delay_alu instid0(VALU_DEP_1)
	v_add_co_ci_u32_e64 v3, null, s5, v3, vcc_lo
	global_load_b32 v2, v[2:3], off
	s_wait_loadcnt 0x0
	v_subrev_nc_u32_e32 v2, s16, v2
.LBB107_8:
	s_or_b32 exec_lo, exec_lo, s8
	s_delay_alu instid0(SALU_CYCLE_1)
	s_and_b32 vcc_lo, exec_lo, s7
	s_wait_alu 0xfffe
	s_cbranch_vccz .LBB107_12
.LBB107_9:
	v_cmp_gt_i32_e32 vcc_lo, s2, v1
	s_and_not1_b32 s2, s6, exec_lo
	s_and_b32 s4, vcc_lo, exec_lo
	s_wait_alu 0xfffe
	s_or_b32 s6, s2, s4
	s_wait_alu 0xfffe
	s_and_saveexec_b32 s2, s6
	s_cbranch_execnz .LBB107_13
.LBB107_10:
	s_endpgm
.LBB107_11:
                                        ; implicit-def: $vgpr2
	s_cbranch_execnz .LBB107_9
.LBB107_12:
	v_mov_b32_e32 v1, v2
	s_and_saveexec_b32 s2, s6
	s_cbranch_execz .LBB107_10
.LBB107_13:
	s_load_b256 s[4:11], s[0:1], 0x20
	s_delay_alu instid0(VALU_DEP_1) | instskip(SKIP_1) | instid1(VALU_DEP_2)
	v_ashrrev_i32_e32 v2, 31, v1
	v_and_b32_e32 v0, 15, v0
	v_lshlrev_b64_e32 v[2:3], 2, v[1:2]
	s_wait_kmcnt 0x0
	s_delay_alu instid0(VALU_DEP_1) | instskip(SKIP_1) | instid1(VALU_DEP_2)
	v_add_co_u32 v4, vcc_lo, s4, v2
	s_wait_alu 0xfffd
	v_add_co_ci_u32_e64 v5, null, s5, v3, vcc_lo
	v_add_co_u32 v2, vcc_lo, s6, v2
	s_wait_alu 0xfffd
	v_add_co_ci_u32_e64 v3, null, s7, v3, vcc_lo
	v_add_co_u32 v6, vcc_lo, v4, 4
	s_wait_alu 0xfffd
	v_add_co_ci_u32_e64 v7, null, 0, v5, vcc_lo
	s_cmp_eq_u64 s[6:7], 0
	global_load_b32 v4, v[4:5], off
	s_cselect_b32 vcc_lo, -1, 0
	s_load_b64 s[4:5], s[0:1], 0x40
	v_dual_cndmask_b32 v3, v3, v7 :: v_dual_cndmask_b32 v2, v2, v6
	s_cmp_eq_u32 s3, 1
	global_load_b32 v3, v[2:3], off
	s_wait_loadcnt 0x1
	v_subrev_nc_u32_e32 v2, s16, v4
	s_delay_alu instid0(VALU_DEP_1) | instskip(SKIP_2) | instid1(VALU_DEP_2)
	v_add_nc_u32_e32 v2, v2, v0
	s_wait_loadcnt 0x0
	v_subrev_nc_u32_e32 v13, s16, v3
	v_mad_co_i64_i32 v[4:5], null, v2, 18, s[10:11]
	s_delay_alu instid0(VALU_DEP_2)
	v_cmp_lt_i32_e64 s2, v2, v13
	s_cbranch_scc1 .LBB107_19
; %bb.14:
	v_dual_mov_b32 v10, 0 :: v_dual_mov_b32 v11, 0
	v_mov_b32_e32 v12, 0
	s_and_saveexec_b32 s3, s2
	s_cbranch_execz .LBB107_18
; %bb.15:
	v_dual_mov_b32 v10, 0 :: v_dual_mov_b32 v7, v5
	v_dual_mov_b32 v6, v4 :: v_dual_mov_b32 v11, 0
	v_mov_b32_e32 v8, v2
	v_mov_b32_e32 v12, 0
	s_mov_b32 s6, 0
.LBB107_16:                             ; =>This Inner Loop Header: Depth=1
	s_delay_alu instid0(VALU_DEP_2) | instskip(NEXT) | instid1(VALU_DEP_1)
	v_ashrrev_i32_e32 v9, 31, v8
	v_lshlrev_b64_e32 v[14:15], 2, v[8:9]
	s_delay_alu instid0(VALU_DEP_1) | instskip(SKIP_1) | instid1(VALU_DEP_2)
	v_add_co_u32 v14, vcc_lo, s8, v14
	s_wait_alu 0xfffd
	v_add_co_ci_u32_e64 v15, null, s9, v15, vcc_lo
	global_load_b32 v3, v[14:15], off
	global_load_b128 v[14:17], v[6:7], off
	s_wait_loadcnt 0x1
	v_subrev_nc_u32_e32 v3, s16, v3
	s_wait_loadcnt 0x0
	v_lshlrev_b32_e32 v20, 16, v15
	v_and_b32_e32 v15, 0xffff0000, v15
	s_delay_alu instid0(VALU_DEP_3) | instskip(NEXT) | instid1(VALU_DEP_1)
	v_lshl_add_u32 v18, v3, 1, v3
	v_ashrrev_i32_e32 v19, 31, v18
	s_delay_alu instid0(VALU_DEP_1) | instskip(SKIP_1) | instid1(VALU_DEP_1)
	v_lshlrev_b64_e32 v[18:19], 1, v[18:19]
	s_wait_kmcnt 0x0
	v_add_co_u32 v18, vcc_lo, s4, v18
	s_wait_alu 0xfffd
	s_delay_alu instid0(VALU_DEP_2)
	v_add_co_ci_u32_e64 v19, null, s5, v19, vcc_lo
	global_load_b32 v3, v[18:19], off
	global_load_u16 v9, v[6:7], off offset:16
	global_load_u16 v18, v[18:19], off offset:4
	v_add_co_u32 v6, vcc_lo, 0x120, v6
	s_wait_alu 0xfffd
	v_add_co_ci_u32_e64 v7, null, 0, v7, vcc_lo
	s_wait_loadcnt 0x2
	v_lshlrev_b32_e32 v23, 16, v3
	v_add_nc_u32_e32 v8, 16, v8
	v_and_b32_e32 v3, 0xffff0000, v3
	s_delay_alu instid0(VALU_DEP_3)
	v_fmac_f32_e32 v11, v15, v23
	s_wait_loadcnt 0x0
	v_lshlrev_b32_e32 v15, 16, v18
	v_lshlrev_b32_e32 v22, 16, v17
	;; [unrolled: 1-line block ×3, first 2 shown]
	v_cmp_ge_i32_e32 vcc_lo, v8, v13
	s_delay_alu instid0(VALU_DEP_3) | instskip(NEXT) | instid1(VALU_DEP_3)
	v_dual_fmac_f32 v10, v22, v23 :: v_dual_lshlrev_b32 v21, 16, v16
	v_fmac_f32_e32 v12, v19, v23
	v_and_b32_e32 v14, 0xffff0000, v14
	v_and_b32_e32 v16, 0xffff0000, v16
	s_wait_alu 0xfffe
	s_or_b32 s6, vcc_lo, s6
	v_fmac_f32_e32 v11, v21, v3
	v_dual_fmac_f32 v12, v14, v3 :: v_dual_and_b32 v17, 0xffff0000, v17
	v_lshlrev_b32_e32 v9, 16, v9
	s_delay_alu instid0(VALU_DEP_3) | instskip(NEXT) | instid1(VALU_DEP_3)
	v_fmac_f32_e32 v11, v16, v15
	v_fmac_f32_e32 v10, v17, v3
	s_delay_alu instid0(VALU_DEP_4) | instskip(NEXT) | instid1(VALU_DEP_2)
	v_fmac_f32_e32 v12, v20, v15
	v_fmac_f32_e32 v10, v9, v15
	s_wait_alu 0xfffe
	s_and_not1_b32 exec_lo, exec_lo, s6
	s_cbranch_execnz .LBB107_16
; %bb.17:
	s_or_b32 exec_lo, exec_lo, s6
.LBB107_18:
	s_wait_alu 0xfffe
	s_or_b32 exec_lo, exec_lo, s3
	s_cbranch_execz .LBB107_20
	s_branch .LBB107_25
.LBB107_19:
                                        ; implicit-def: $vgpr10
                                        ; implicit-def: $vgpr11
                                        ; implicit-def: $vgpr12
.LBB107_20:
	v_dual_mov_b32 v10, 0 :: v_dual_mov_b32 v11, 0
	v_mov_b32_e32 v12, 0
	s_and_saveexec_b32 s3, s2
	s_cbranch_execz .LBB107_24
; %bb.21:
	v_dual_mov_b32 v10, 0 :: v_dual_mov_b32 v11, 0
	v_mov_b32_e32 v12, 0
	s_mov_b32 s2, 0
.LBB107_22:                             ; =>This Inner Loop Header: Depth=1
	v_ashrrev_i32_e32 v3, 31, v2
	s_delay_alu instid0(VALU_DEP_1) | instskip(NEXT) | instid1(VALU_DEP_1)
	v_lshlrev_b64_e32 v[6:7], 2, v[2:3]
	v_add_co_u32 v6, vcc_lo, s8, v6
	s_wait_alu 0xfffd
	s_delay_alu instid0(VALU_DEP_2) | instskip(SKIP_4) | instid1(VALU_DEP_1)
	v_add_co_ci_u32_e64 v7, null, s9, v7, vcc_lo
	global_load_b32 v3, v[6:7], off
	global_load_b128 v[6:9], v[4:5], off
	s_wait_loadcnt 0x1
	v_subrev_nc_u32_e32 v3, s16, v3
	v_lshl_add_u32 v14, v3, 1, v3
	s_delay_alu instid0(VALU_DEP_1) | instskip(NEXT) | instid1(VALU_DEP_1)
	v_ashrrev_i32_e32 v15, 31, v14
	v_lshlrev_b64_e32 v[14:15], 1, v[14:15]
	s_wait_kmcnt 0x0
	s_delay_alu instid0(VALU_DEP_1) | instskip(SKIP_1) | instid1(VALU_DEP_2)
	v_add_co_u32 v14, vcc_lo, s4, v14
	s_wait_alu 0xfffd
	v_add_co_ci_u32_e64 v15, null, s5, v15, vcc_lo
	global_load_b32 v3, v[14:15], off
	global_load_u16 v16, v[4:5], off offset:16
	global_load_u16 v14, v[14:15], off offset:4
	v_add_co_u32 v4, vcc_lo, 0x120, v4
	s_wait_alu 0xfffd
	v_add_co_ci_u32_e64 v5, null, 0, v5, vcc_lo
	s_wait_loadcnt 0x2
	v_lshlrev_b32_e32 v20, 16, v3
	v_lshlrev_b32_e32 v17, 16, v7
	;; [unrolled: 1-line block ×3, first 2 shown]
	s_wait_loadcnt 0x1
	v_lshlrev_b32_e32 v16, 16, v16
	s_delay_alu instid0(VALU_DEP_3) | instskip(NEXT) | instid1(VALU_DEP_3)
	v_dual_fmac_f32 v10, v17, v20 :: v_dual_and_b32 v3, 0xffff0000, v3
	v_dual_fmac_f32 v12, v15, v20 :: v_dual_lshlrev_b32 v19, 16, v9
	v_and_b32_e32 v9, 0xffff0000, v9
	v_lshlrev_b32_e32 v18, 16, v8
	v_and_b32_e32 v6, 0xffff0000, v6
	v_and_b32_e32 v8, 0xffff0000, v8
	s_delay_alu instid0(VALU_DEP_2)
	v_dual_fmac_f32 v11, v6, v20 :: v_dual_add_nc_u32 v2, 16, v2
	s_wait_loadcnt 0x0
	v_lshlrev_b32_e32 v6, 16, v14
	v_and_b32_e32 v7, 0xffff0000, v7
	v_fmac_f32_e32 v10, v8, v3
	v_cmp_ge_i32_e32 vcc_lo, v2, v13
	s_delay_alu instid0(VALU_DEP_2) | instskip(NEXT) | instid1(VALU_DEP_4)
	v_fmac_f32_e32 v10, v16, v6
	v_fmac_f32_e32 v12, v7, v3
	;; [unrolled: 1-line block ×3, first 2 shown]
	s_wait_alu 0xfffe
	s_or_b32 s2, vcc_lo, s2
	s_delay_alu instid0(VALU_DEP_2) | instskip(NEXT) | instid1(VALU_DEP_2)
	v_fmac_f32_e32 v12, v19, v6
	v_fmac_f32_e32 v11, v9, v6
	s_wait_alu 0xfffe
	s_and_not1_b32 exec_lo, exec_lo, s2
	s_cbranch_execnz .LBB107_22
; %bb.23:
	s_or_b32 exec_lo, exec_lo, s2
.LBB107_24:
	s_wait_alu 0xfffe
	s_or_b32 exec_lo, exec_lo, s3
.LBB107_25:
	v_mbcnt_lo_u32_b32 v2, -1, 0
	s_mov_b32 s2, -1
	s_delay_alu instid0(VALU_DEP_1) | instskip(SKIP_2) | instid1(VALU_DEP_3)
	v_xor_b32_e32 v3, 8, v2
	v_xor_b32_e32 v6, 4, v2
	;; [unrolled: 1-line block ×3, first 2 shown]
	v_cmp_gt_i32_e32 vcc_lo, 32, v3
	s_wait_alu 0xfffd
	v_cndmask_b32_e32 v3, v2, v3, vcc_lo
	v_cmp_gt_i32_e32 vcc_lo, 32, v6
	s_wait_alu 0xfffd
	v_cndmask_b32_e32 v6, v2, v6, vcc_lo
	v_cmp_gt_i32_e32 vcc_lo, 32, v9
	s_delay_alu instid0(VALU_DEP_2)
	v_lshlrev_b32_e32 v6, 2, v6
	v_lshlrev_b32_e32 v3, 2, v3
	ds_bpermute_b32 v4, v3, v12
	s_wait_dscnt 0x0
	v_add_f32_e32 v4, v12, v4
	ds_bpermute_b32 v5, v3, v11
	ds_bpermute_b32 v3, v3, v10
	;; [unrolled: 1-line block ×3, first 2 shown]
	s_wait_alu 0xfffd
	v_cndmask_b32_e32 v9, v2, v9, vcc_lo
	s_wait_dscnt 0x2
	v_add_f32_e32 v5, v11, v5
	s_wait_dscnt 0x1
	v_add_f32_e32 v3, v10, v3
	;; [unrolled: 2-line block ×3, first 2 shown]
	ds_bpermute_b32 v8, v6, v5
	ds_bpermute_b32 v6, v6, v3
	v_lshlrev_b32_e32 v9, 2, v9
	s_wait_dscnt 0x0
	v_dual_add_f32 v5, v5, v8 :: v_dual_add_f32 v6, v3, v6
	ds_bpermute_b32 v3, v9, v4
	ds_bpermute_b32 v7, v9, v5
	;; [unrolled: 1-line block ×3, first 2 shown]
	v_xor_b32_e32 v9, 1, v2
	s_delay_alu instid0(VALU_DEP_1) | instskip(SKIP_4) | instid1(VALU_DEP_2)
	v_cmp_gt_i32_e32 vcc_lo, 32, v9
	s_wait_alu 0xfffd
	v_cndmask_b32_e32 v2, v2, v9, vcc_lo
	v_cmp_eq_u32_e32 vcc_lo, 15, v0
	s_wait_dscnt 0x2
	v_dual_add_f32 v2, v4, v3 :: v_dual_lshlrev_b32 v9, 2, v2
	s_wait_dscnt 0x0
	v_dual_add_f32 v3, v5, v7 :: v_dual_add_f32 v4, v6, v8
	ds_bpermute_b32 v5, v9, v2
	ds_bpermute_b32 v6, v9, v3
	;; [unrolled: 1-line block ×3, first 2 shown]
	s_and_b32 exec_lo, exec_lo, vcc_lo
	s_cbranch_execz .LBB107_10
; %bb.26:
	s_load_b64 s[0:1], s[0:1], 0x50
	s_wait_dscnt 0x2
	v_add_f32_e32 v0, v2, v5
	s_wait_dscnt 0x1
	v_add_f32_e32 v2, v3, v6
	;; [unrolled: 2-line block ×3, first 2 shown]
	v_lshl_add_u32 v3, v1, 1, v1
	s_cmp_eq_f32 s12, 0
	v_dual_mul_f32 v1, s14, v2 :: v_dual_mul_f32 v0, s14, v0
	s_delay_alu instid0(VALU_DEP_3) | instskip(NEXT) | instid1(VALU_DEP_3)
	v_mul_f32_e32 v2, s14, v4
	v_ashrrev_i32_e32 v4, 31, v3
	s_cbranch_scc0 .LBB107_28
; %bb.27:
	s_delay_alu instid0(VALU_DEP_1) | instskip(SKIP_2) | instid1(VALU_DEP_1)
	v_lshlrev_b64_e32 v[5:6], 2, v[3:4]
	s_mov_b32 s2, 0
	s_wait_kmcnt 0x0
	v_add_co_u32 v5, vcc_lo, s0, v5
	s_wait_alu 0xfffd
	s_delay_alu instid0(VALU_DEP_2)
	v_add_co_ci_u32_e64 v6, null, s1, v6, vcc_lo
	global_store_b96 v[5:6], v[0:2], off
.LBB107_28:
	s_wait_alu 0xfffe
	s_and_not1_b32 vcc_lo, exec_lo, s2
	s_wait_alu 0xfffe
	s_cbranch_vccnz .LBB107_10
; %bb.29:
	v_lshlrev_b64_e32 v[3:4], 2, v[3:4]
	s_wait_kmcnt 0x0
	s_delay_alu instid0(VALU_DEP_1) | instskip(SKIP_1) | instid1(VALU_DEP_2)
	v_add_co_u32 v6, vcc_lo, s0, v3
	s_wait_alu 0xfffd
	v_add_co_ci_u32_e64 v7, null, s1, v4, vcc_lo
	global_load_b96 v[3:5], v[6:7], off
	s_wait_loadcnt 0x0
	v_dual_fmac_f32 v0, s12, v3 :: v_dual_fmac_f32 v1, s12, v4
	v_fmac_f32_e32 v2, s12, v5
	global_store_b96 v[6:7], v[0:2], off
	s_endpgm
	.section	.rodata,"a",@progbits
	.p2align	6, 0x0
	.amdhsa_kernel _ZN9rocsparseL18bsrxmvn_3x3_kernelILj256ELj16Efii18rocsparse_bfloat16S1_fEEvT3_20rocsparse_direction_NS_24const_host_device_scalarIT1_EES2_PKS2_PKT2_SB_S8_PKT4_PKT5_S6_PT6_21rocsparse_index_base_b
		.amdhsa_group_segment_fixed_size 0
		.amdhsa_private_segment_fixed_size 0
		.amdhsa_kernarg_size 96
		.amdhsa_user_sgpr_count 2
		.amdhsa_user_sgpr_dispatch_ptr 0
		.amdhsa_user_sgpr_queue_ptr 0
		.amdhsa_user_sgpr_kernarg_segment_ptr 1
		.amdhsa_user_sgpr_dispatch_id 0
		.amdhsa_user_sgpr_private_segment_size 0
		.amdhsa_wavefront_size32 1
		.amdhsa_uses_dynamic_stack 0
		.amdhsa_enable_private_segment 0
		.amdhsa_system_sgpr_workgroup_id_x 1
		.amdhsa_system_sgpr_workgroup_id_y 0
		.amdhsa_system_sgpr_workgroup_id_z 0
		.amdhsa_system_sgpr_workgroup_info 0
		.amdhsa_system_vgpr_workitem_id 0
		.amdhsa_next_free_vgpr 24
		.amdhsa_next_free_sgpr 18
		.amdhsa_reserve_vcc 1
		.amdhsa_float_round_mode_32 0
		.amdhsa_float_round_mode_16_64 0
		.amdhsa_float_denorm_mode_32 3
		.amdhsa_float_denorm_mode_16_64 3
		.amdhsa_fp16_overflow 0
		.amdhsa_workgroup_processor_mode 1
		.amdhsa_memory_ordered 1
		.amdhsa_forward_progress 1
		.amdhsa_inst_pref_size 15
		.amdhsa_round_robin_scheduling 0
		.amdhsa_exception_fp_ieee_invalid_op 0
		.amdhsa_exception_fp_denorm_src 0
		.amdhsa_exception_fp_ieee_div_zero 0
		.amdhsa_exception_fp_ieee_overflow 0
		.amdhsa_exception_fp_ieee_underflow 0
		.amdhsa_exception_fp_ieee_inexact 0
		.amdhsa_exception_int_div_zero 0
	.end_amdhsa_kernel
	.section	.text._ZN9rocsparseL18bsrxmvn_3x3_kernelILj256ELj16Efii18rocsparse_bfloat16S1_fEEvT3_20rocsparse_direction_NS_24const_host_device_scalarIT1_EES2_PKS2_PKT2_SB_S8_PKT4_PKT5_S6_PT6_21rocsparse_index_base_b,"axG",@progbits,_ZN9rocsparseL18bsrxmvn_3x3_kernelILj256ELj16Efii18rocsparse_bfloat16S1_fEEvT3_20rocsparse_direction_NS_24const_host_device_scalarIT1_EES2_PKS2_PKT2_SB_S8_PKT4_PKT5_S6_PT6_21rocsparse_index_base_b,comdat
.Lfunc_end107:
	.size	_ZN9rocsparseL18bsrxmvn_3x3_kernelILj256ELj16Efii18rocsparse_bfloat16S1_fEEvT3_20rocsparse_direction_NS_24const_host_device_scalarIT1_EES2_PKS2_PKT2_SB_S8_PKT4_PKT5_S6_PT6_21rocsparse_index_base_b, .Lfunc_end107-_ZN9rocsparseL18bsrxmvn_3x3_kernelILj256ELj16Efii18rocsparse_bfloat16S1_fEEvT3_20rocsparse_direction_NS_24const_host_device_scalarIT1_EES2_PKS2_PKT2_SB_S8_PKT4_PKT5_S6_PT6_21rocsparse_index_base_b
                                        ; -- End function
	.set _ZN9rocsparseL18bsrxmvn_3x3_kernelILj256ELj16Efii18rocsparse_bfloat16S1_fEEvT3_20rocsparse_direction_NS_24const_host_device_scalarIT1_EES2_PKS2_PKT2_SB_S8_PKT4_PKT5_S6_PT6_21rocsparse_index_base_b.num_vgpr, 24
	.set _ZN9rocsparseL18bsrxmvn_3x3_kernelILj256ELj16Efii18rocsparse_bfloat16S1_fEEvT3_20rocsparse_direction_NS_24const_host_device_scalarIT1_EES2_PKS2_PKT2_SB_S8_PKT4_PKT5_S6_PT6_21rocsparse_index_base_b.num_agpr, 0
	.set _ZN9rocsparseL18bsrxmvn_3x3_kernelILj256ELj16Efii18rocsparse_bfloat16S1_fEEvT3_20rocsparse_direction_NS_24const_host_device_scalarIT1_EES2_PKS2_PKT2_SB_S8_PKT4_PKT5_S6_PT6_21rocsparse_index_base_b.numbered_sgpr, 18
	.set _ZN9rocsparseL18bsrxmvn_3x3_kernelILj256ELj16Efii18rocsparse_bfloat16S1_fEEvT3_20rocsparse_direction_NS_24const_host_device_scalarIT1_EES2_PKS2_PKT2_SB_S8_PKT4_PKT5_S6_PT6_21rocsparse_index_base_b.num_named_barrier, 0
	.set _ZN9rocsparseL18bsrxmvn_3x3_kernelILj256ELj16Efii18rocsparse_bfloat16S1_fEEvT3_20rocsparse_direction_NS_24const_host_device_scalarIT1_EES2_PKS2_PKT2_SB_S8_PKT4_PKT5_S6_PT6_21rocsparse_index_base_b.private_seg_size, 0
	.set _ZN9rocsparseL18bsrxmvn_3x3_kernelILj256ELj16Efii18rocsparse_bfloat16S1_fEEvT3_20rocsparse_direction_NS_24const_host_device_scalarIT1_EES2_PKS2_PKT2_SB_S8_PKT4_PKT5_S6_PT6_21rocsparse_index_base_b.uses_vcc, 1
	.set _ZN9rocsparseL18bsrxmvn_3x3_kernelILj256ELj16Efii18rocsparse_bfloat16S1_fEEvT3_20rocsparse_direction_NS_24const_host_device_scalarIT1_EES2_PKS2_PKT2_SB_S8_PKT4_PKT5_S6_PT6_21rocsparse_index_base_b.uses_flat_scratch, 0
	.set _ZN9rocsparseL18bsrxmvn_3x3_kernelILj256ELj16Efii18rocsparse_bfloat16S1_fEEvT3_20rocsparse_direction_NS_24const_host_device_scalarIT1_EES2_PKS2_PKT2_SB_S8_PKT4_PKT5_S6_PT6_21rocsparse_index_base_b.has_dyn_sized_stack, 0
	.set _ZN9rocsparseL18bsrxmvn_3x3_kernelILj256ELj16Efii18rocsparse_bfloat16S1_fEEvT3_20rocsparse_direction_NS_24const_host_device_scalarIT1_EES2_PKS2_PKT2_SB_S8_PKT4_PKT5_S6_PT6_21rocsparse_index_base_b.has_recursion, 0
	.set _ZN9rocsparseL18bsrxmvn_3x3_kernelILj256ELj16Efii18rocsparse_bfloat16S1_fEEvT3_20rocsparse_direction_NS_24const_host_device_scalarIT1_EES2_PKS2_PKT2_SB_S8_PKT4_PKT5_S6_PT6_21rocsparse_index_base_b.has_indirect_call, 0
	.section	.AMDGPU.csdata,"",@progbits
; Kernel info:
; codeLenInByte = 1808
; TotalNumSgprs: 20
; NumVgprs: 24
; ScratchSize: 0
; MemoryBound: 0
; FloatMode: 240
; IeeeMode: 1
; LDSByteSize: 0 bytes/workgroup (compile time only)
; SGPRBlocks: 0
; VGPRBlocks: 2
; NumSGPRsForWavesPerEU: 20
; NumVGPRsForWavesPerEU: 24
; Occupancy: 16
; WaveLimiterHint : 1
; COMPUTE_PGM_RSRC2:SCRATCH_EN: 0
; COMPUTE_PGM_RSRC2:USER_SGPR: 2
; COMPUTE_PGM_RSRC2:TRAP_HANDLER: 0
; COMPUTE_PGM_RSRC2:TGID_X_EN: 1
; COMPUTE_PGM_RSRC2:TGID_Y_EN: 0
; COMPUTE_PGM_RSRC2:TGID_Z_EN: 0
; COMPUTE_PGM_RSRC2:TIDIG_COMP_CNT: 0
	.section	.text._ZN9rocsparseL18bsrxmvn_3x3_kernelILj256ELj32Efii18rocsparse_bfloat16S1_fEEvT3_20rocsparse_direction_NS_24const_host_device_scalarIT1_EES2_PKS2_PKT2_SB_S8_PKT4_PKT5_S6_PT6_21rocsparse_index_base_b,"axG",@progbits,_ZN9rocsparseL18bsrxmvn_3x3_kernelILj256ELj32Efii18rocsparse_bfloat16S1_fEEvT3_20rocsparse_direction_NS_24const_host_device_scalarIT1_EES2_PKS2_PKT2_SB_S8_PKT4_PKT5_S6_PT6_21rocsparse_index_base_b,comdat
	.globl	_ZN9rocsparseL18bsrxmvn_3x3_kernelILj256ELj32Efii18rocsparse_bfloat16S1_fEEvT3_20rocsparse_direction_NS_24const_host_device_scalarIT1_EES2_PKS2_PKT2_SB_S8_PKT4_PKT5_S6_PT6_21rocsparse_index_base_b ; -- Begin function _ZN9rocsparseL18bsrxmvn_3x3_kernelILj256ELj32Efii18rocsparse_bfloat16S1_fEEvT3_20rocsparse_direction_NS_24const_host_device_scalarIT1_EES2_PKS2_PKT2_SB_S8_PKT4_PKT5_S6_PT6_21rocsparse_index_base_b
	.p2align	8
	.type	_ZN9rocsparseL18bsrxmvn_3x3_kernelILj256ELj32Efii18rocsparse_bfloat16S1_fEEvT3_20rocsparse_direction_NS_24const_host_device_scalarIT1_EES2_PKS2_PKT2_SB_S8_PKT4_PKT5_S6_PT6_21rocsparse_index_base_b,@function
_ZN9rocsparseL18bsrxmvn_3x3_kernelILj256ELj32Efii18rocsparse_bfloat16S1_fEEvT3_20rocsparse_direction_NS_24const_host_device_scalarIT1_EES2_PKS2_PKT2_SB_S8_PKT4_PKT5_S6_PT6_21rocsparse_index_base_b: ; @_ZN9rocsparseL18bsrxmvn_3x3_kernelILj256ELj32Efii18rocsparse_bfloat16S1_fEEvT3_20rocsparse_direction_NS_24const_host_device_scalarIT1_EES2_PKS2_PKT2_SB_S8_PKT4_PKT5_S6_PT6_21rocsparse_index_base_b
; %bb.0:
	s_clause 0x2
	s_load_b64 s[16:17], s[0:1], 0x58
	s_load_b64 s[14:15], s[0:1], 0x8
	;; [unrolled: 1-line block ×3, first 2 shown]
	s_wait_kmcnt 0x0
	s_bitcmp1_b32 s17, 0
	s_cselect_b32 s2, -1, 0
	s_delay_alu instid0(SALU_CYCLE_1)
	s_and_b32 vcc_lo, exec_lo, s2
	s_xor_b32 s2, s2, -1
	s_cbranch_vccnz .LBB108_2
; %bb.1:
	s_load_b32 s14, s[14:15], 0x0
.LBB108_2:
	s_and_not1_b32 vcc_lo, exec_lo, s2
	s_cbranch_vccnz .LBB108_4
; %bb.3:
	s_load_b32 s12, s[12:13], 0x0
.LBB108_4:
	s_wait_kmcnt 0x0
	s_cmp_neq_f32 s14, 0
	s_mov_b32 s6, 0
	s_cselect_b32 s2, -1, 0
	s_cmp_neq_f32 s12, 1.0
	s_cselect_b32 s3, -1, 0
	s_delay_alu instid0(SALU_CYCLE_1) | instskip(NEXT) | instid1(SALU_CYCLE_1)
	s_or_b32 s2, s2, s3
	s_and_not1_b32 vcc_lo, exec_lo, s2
	s_cbranch_vccnz .LBB108_10
; %bb.5:
	s_clause 0x1
	s_load_b64 s[4:5], s[0:1], 0x18
	s_load_b64 s[2:3], s[0:1], 0x0
	v_lshrrev_b32_e32 v1, 5, v0
	s_delay_alu instid0(VALU_DEP_1)
	v_lshl_or_b32 v1, ttmp9, 3, v1
	s_wait_kmcnt 0x0
	s_cmp_lg_u64 s[4:5], 0
	s_cbranch_scc0 .LBB108_11
; %bb.6:
	s_load_b32 s6, s[0:1], 0x10
	s_mov_b32 s7, 0
                                        ; implicit-def: $vgpr2
	s_wait_kmcnt 0x0
	v_cmp_gt_i32_e32 vcc_lo, s6, v1
	s_mov_b32 s6, 0
	s_and_saveexec_b32 s8, vcc_lo
	s_delay_alu instid0(SALU_CYCLE_1)
	s_xor_b32 s8, exec_lo, s8
	s_cbranch_execz .LBB108_8
; %bb.7:
	v_ashrrev_i32_e32 v2, 31, v1
	s_mov_b32 s6, exec_lo
	s_delay_alu instid0(VALU_DEP_1) | instskip(NEXT) | instid1(VALU_DEP_1)
	v_lshlrev_b64_e32 v[2:3], 2, v[1:2]
	v_add_co_u32 v2, vcc_lo, s4, v2
	s_delay_alu instid0(VALU_DEP_1)
	v_add_co_ci_u32_e64 v3, null, s5, v3, vcc_lo
	global_load_b32 v2, v[2:3], off
	s_wait_loadcnt 0x0
	v_subrev_nc_u32_e32 v2, s16, v2
.LBB108_8:
	s_or_b32 exec_lo, exec_lo, s8
	s_delay_alu instid0(SALU_CYCLE_1)
	s_and_b32 vcc_lo, exec_lo, s7
	s_wait_alu 0xfffe
	s_cbranch_vccz .LBB108_12
.LBB108_9:
	v_cmp_gt_i32_e32 vcc_lo, s2, v1
	s_and_not1_b32 s2, s6, exec_lo
	s_and_b32 s4, vcc_lo, exec_lo
	s_wait_alu 0xfffe
	s_or_b32 s6, s2, s4
	s_wait_alu 0xfffe
	s_and_saveexec_b32 s2, s6
	s_cbranch_execnz .LBB108_13
.LBB108_10:
	s_endpgm
.LBB108_11:
                                        ; implicit-def: $vgpr2
	s_cbranch_execnz .LBB108_9
.LBB108_12:
	v_mov_b32_e32 v1, v2
	s_and_saveexec_b32 s2, s6
	s_cbranch_execz .LBB108_10
.LBB108_13:
	s_load_b256 s[4:11], s[0:1], 0x20
	s_delay_alu instid0(VALU_DEP_1) | instskip(SKIP_1) | instid1(VALU_DEP_2)
	v_ashrrev_i32_e32 v2, 31, v1
	v_and_b32_e32 v0, 31, v0
	v_lshlrev_b64_e32 v[2:3], 2, v[1:2]
	s_wait_kmcnt 0x0
	s_delay_alu instid0(VALU_DEP_1) | instskip(SKIP_1) | instid1(VALU_DEP_2)
	v_add_co_u32 v4, vcc_lo, s4, v2
	s_wait_alu 0xfffd
	v_add_co_ci_u32_e64 v5, null, s5, v3, vcc_lo
	v_add_co_u32 v2, vcc_lo, s6, v2
	s_wait_alu 0xfffd
	v_add_co_ci_u32_e64 v3, null, s7, v3, vcc_lo
	;; [unrolled: 3-line block ×3, first 2 shown]
	s_cmp_eq_u64 s[6:7], 0
	global_load_b32 v4, v[4:5], off
	s_cselect_b32 vcc_lo, -1, 0
	s_load_b64 s[4:5], s[0:1], 0x40
	v_dual_cndmask_b32 v3, v3, v7 :: v_dual_cndmask_b32 v2, v2, v6
	s_cmp_eq_u32 s3, 1
	global_load_b32 v3, v[2:3], off
	s_wait_loadcnt 0x1
	v_subrev_nc_u32_e32 v2, s16, v4
	s_delay_alu instid0(VALU_DEP_1) | instskip(SKIP_2) | instid1(VALU_DEP_2)
	v_add_nc_u32_e32 v2, v2, v0
	s_wait_loadcnt 0x0
	v_subrev_nc_u32_e32 v13, s16, v3
	v_mad_co_i64_i32 v[4:5], null, v2, 18, s[10:11]
	s_delay_alu instid0(VALU_DEP_2)
	v_cmp_lt_i32_e64 s2, v2, v13
	s_cbranch_scc1 .LBB108_19
; %bb.14:
	v_dual_mov_b32 v10, 0 :: v_dual_mov_b32 v11, 0
	v_mov_b32_e32 v12, 0
	s_and_saveexec_b32 s3, s2
	s_cbranch_execz .LBB108_18
; %bb.15:
	v_dual_mov_b32 v10, 0 :: v_dual_mov_b32 v7, v5
	v_dual_mov_b32 v6, v4 :: v_dual_mov_b32 v11, 0
	v_mov_b32_e32 v8, v2
	v_mov_b32_e32 v12, 0
	s_mov_b32 s6, 0
.LBB108_16:                             ; =>This Inner Loop Header: Depth=1
	s_delay_alu instid0(VALU_DEP_2) | instskip(NEXT) | instid1(VALU_DEP_1)
	v_ashrrev_i32_e32 v9, 31, v8
	v_lshlrev_b64_e32 v[14:15], 2, v[8:9]
	s_delay_alu instid0(VALU_DEP_1) | instskip(SKIP_1) | instid1(VALU_DEP_2)
	v_add_co_u32 v14, vcc_lo, s8, v14
	s_wait_alu 0xfffd
	v_add_co_ci_u32_e64 v15, null, s9, v15, vcc_lo
	global_load_b32 v3, v[14:15], off
	global_load_b128 v[14:17], v[6:7], off
	s_wait_loadcnt 0x1
	v_subrev_nc_u32_e32 v3, s16, v3
	s_wait_loadcnt 0x0
	v_lshlrev_b32_e32 v20, 16, v15
	v_and_b32_e32 v15, 0xffff0000, v15
	s_delay_alu instid0(VALU_DEP_3) | instskip(NEXT) | instid1(VALU_DEP_1)
	v_lshl_add_u32 v18, v3, 1, v3
	v_ashrrev_i32_e32 v19, 31, v18
	s_delay_alu instid0(VALU_DEP_1) | instskip(SKIP_1) | instid1(VALU_DEP_1)
	v_lshlrev_b64_e32 v[18:19], 1, v[18:19]
	s_wait_kmcnt 0x0
	v_add_co_u32 v18, vcc_lo, s4, v18
	s_wait_alu 0xfffd
	s_delay_alu instid0(VALU_DEP_2)
	v_add_co_ci_u32_e64 v19, null, s5, v19, vcc_lo
	global_load_b32 v3, v[18:19], off
	global_load_u16 v9, v[6:7], off offset:16
	global_load_u16 v18, v[18:19], off offset:4
	v_add_co_u32 v6, vcc_lo, 0x240, v6
	s_wait_alu 0xfffd
	v_add_co_ci_u32_e64 v7, null, 0, v7, vcc_lo
	s_wait_loadcnt 0x2
	v_lshlrev_b32_e32 v23, 16, v3
	v_add_nc_u32_e32 v8, 32, v8
	v_and_b32_e32 v3, 0xffff0000, v3
	s_delay_alu instid0(VALU_DEP_3)
	v_fmac_f32_e32 v11, v15, v23
	s_wait_loadcnt 0x0
	v_lshlrev_b32_e32 v15, 16, v18
	v_lshlrev_b32_e32 v22, 16, v17
	v_lshlrev_b32_e32 v19, 16, v14
	v_cmp_ge_i32_e32 vcc_lo, v8, v13
	s_delay_alu instid0(VALU_DEP_3) | instskip(NEXT) | instid1(VALU_DEP_3)
	v_dual_fmac_f32 v10, v22, v23 :: v_dual_lshlrev_b32 v21, 16, v16
	v_fmac_f32_e32 v12, v19, v23
	v_and_b32_e32 v14, 0xffff0000, v14
	v_and_b32_e32 v16, 0xffff0000, v16
	s_wait_alu 0xfffe
	s_or_b32 s6, vcc_lo, s6
	v_fmac_f32_e32 v11, v21, v3
	v_dual_fmac_f32 v12, v14, v3 :: v_dual_and_b32 v17, 0xffff0000, v17
	v_lshlrev_b32_e32 v9, 16, v9
	s_delay_alu instid0(VALU_DEP_3) | instskip(NEXT) | instid1(VALU_DEP_3)
	v_fmac_f32_e32 v11, v16, v15
	v_fmac_f32_e32 v10, v17, v3
	s_delay_alu instid0(VALU_DEP_4) | instskip(NEXT) | instid1(VALU_DEP_2)
	v_fmac_f32_e32 v12, v20, v15
	v_fmac_f32_e32 v10, v9, v15
	s_wait_alu 0xfffe
	s_and_not1_b32 exec_lo, exec_lo, s6
	s_cbranch_execnz .LBB108_16
; %bb.17:
	s_or_b32 exec_lo, exec_lo, s6
.LBB108_18:
	s_wait_alu 0xfffe
	s_or_b32 exec_lo, exec_lo, s3
	s_cbranch_execz .LBB108_20
	s_branch .LBB108_25
.LBB108_19:
                                        ; implicit-def: $vgpr10
                                        ; implicit-def: $vgpr11
                                        ; implicit-def: $vgpr12
.LBB108_20:
	v_dual_mov_b32 v10, 0 :: v_dual_mov_b32 v11, 0
	v_mov_b32_e32 v12, 0
	s_and_saveexec_b32 s3, s2
	s_cbranch_execz .LBB108_24
; %bb.21:
	v_dual_mov_b32 v10, 0 :: v_dual_mov_b32 v11, 0
	v_mov_b32_e32 v12, 0
	s_mov_b32 s2, 0
.LBB108_22:                             ; =>This Inner Loop Header: Depth=1
	v_ashrrev_i32_e32 v3, 31, v2
	s_delay_alu instid0(VALU_DEP_1) | instskip(NEXT) | instid1(VALU_DEP_1)
	v_lshlrev_b64_e32 v[6:7], 2, v[2:3]
	v_add_co_u32 v6, vcc_lo, s8, v6
	s_wait_alu 0xfffd
	s_delay_alu instid0(VALU_DEP_2) | instskip(SKIP_4) | instid1(VALU_DEP_1)
	v_add_co_ci_u32_e64 v7, null, s9, v7, vcc_lo
	global_load_b32 v3, v[6:7], off
	global_load_b128 v[6:9], v[4:5], off
	s_wait_loadcnt 0x1
	v_subrev_nc_u32_e32 v3, s16, v3
	v_lshl_add_u32 v14, v3, 1, v3
	s_delay_alu instid0(VALU_DEP_1) | instskip(NEXT) | instid1(VALU_DEP_1)
	v_ashrrev_i32_e32 v15, 31, v14
	v_lshlrev_b64_e32 v[14:15], 1, v[14:15]
	s_wait_kmcnt 0x0
	s_delay_alu instid0(VALU_DEP_1) | instskip(SKIP_1) | instid1(VALU_DEP_2)
	v_add_co_u32 v14, vcc_lo, s4, v14
	s_wait_alu 0xfffd
	v_add_co_ci_u32_e64 v15, null, s5, v15, vcc_lo
	global_load_b32 v3, v[14:15], off
	global_load_u16 v16, v[4:5], off offset:16
	global_load_u16 v14, v[14:15], off offset:4
	v_add_co_u32 v4, vcc_lo, 0x240, v4
	s_wait_alu 0xfffd
	v_add_co_ci_u32_e64 v5, null, 0, v5, vcc_lo
	s_wait_loadcnt 0x2
	v_lshlrev_b32_e32 v20, 16, v3
	v_lshlrev_b32_e32 v17, 16, v7
	;; [unrolled: 1-line block ×3, first 2 shown]
	s_wait_loadcnt 0x1
	v_lshlrev_b32_e32 v16, 16, v16
	s_delay_alu instid0(VALU_DEP_3) | instskip(NEXT) | instid1(VALU_DEP_3)
	v_dual_fmac_f32 v10, v17, v20 :: v_dual_and_b32 v3, 0xffff0000, v3
	v_dual_fmac_f32 v12, v15, v20 :: v_dual_lshlrev_b32 v19, 16, v9
	v_and_b32_e32 v9, 0xffff0000, v9
	v_lshlrev_b32_e32 v18, 16, v8
	v_and_b32_e32 v6, 0xffff0000, v6
	v_and_b32_e32 v8, 0xffff0000, v8
	s_delay_alu instid0(VALU_DEP_2)
	v_dual_fmac_f32 v11, v6, v20 :: v_dual_add_nc_u32 v2, 32, v2
	s_wait_loadcnt 0x0
	v_lshlrev_b32_e32 v6, 16, v14
	v_and_b32_e32 v7, 0xffff0000, v7
	v_fmac_f32_e32 v10, v8, v3
	v_cmp_ge_i32_e32 vcc_lo, v2, v13
	s_delay_alu instid0(VALU_DEP_2) | instskip(NEXT) | instid1(VALU_DEP_4)
	v_fmac_f32_e32 v10, v16, v6
	v_fmac_f32_e32 v12, v7, v3
	;; [unrolled: 1-line block ×3, first 2 shown]
	s_wait_alu 0xfffe
	s_or_b32 s2, vcc_lo, s2
	s_delay_alu instid0(VALU_DEP_2) | instskip(NEXT) | instid1(VALU_DEP_2)
	v_fmac_f32_e32 v12, v19, v6
	v_fmac_f32_e32 v11, v9, v6
	s_wait_alu 0xfffe
	s_and_not1_b32 exec_lo, exec_lo, s2
	s_cbranch_execnz .LBB108_22
; %bb.23:
	s_or_b32 exec_lo, exec_lo, s2
.LBB108_24:
	s_wait_alu 0xfffe
	s_or_b32 exec_lo, exec_lo, s3
.LBB108_25:
	v_mbcnt_lo_u32_b32 v2, -1, 0
	s_mov_b32 s2, -1
	s_delay_alu instid0(VALU_DEP_1) | instskip(SKIP_2) | instid1(VALU_DEP_3)
	v_xor_b32_e32 v3, 16, v2
	v_xor_b32_e32 v6, 8, v2
	;; [unrolled: 1-line block ×3, first 2 shown]
	v_cmp_gt_i32_e32 vcc_lo, 32, v3
	s_wait_alu 0xfffd
	v_cndmask_b32_e32 v3, v2, v3, vcc_lo
	v_cmp_gt_i32_e32 vcc_lo, 32, v6
	s_wait_alu 0xfffd
	v_cndmask_b32_e32 v6, v2, v6, vcc_lo
	v_cmp_gt_i32_e32 vcc_lo, 32, v9
	s_delay_alu instid0(VALU_DEP_2)
	v_lshlrev_b32_e32 v6, 2, v6
	v_lshlrev_b32_e32 v3, 2, v3
	ds_bpermute_b32 v4, v3, v12
	s_wait_dscnt 0x0
	v_add_f32_e32 v4, v12, v4
	ds_bpermute_b32 v5, v3, v11
	ds_bpermute_b32 v3, v3, v10
	;; [unrolled: 1-line block ×3, first 2 shown]
	s_wait_alu 0xfffd
	v_cndmask_b32_e32 v9, v2, v9, vcc_lo
	s_wait_dscnt 0x0
	v_dual_add_f32 v5, v11, v5 :: v_dual_add_f32 v4, v4, v7
	v_add_f32_e32 v3, v10, v3
	ds_bpermute_b32 v8, v6, v5
	ds_bpermute_b32 v6, v6, v3
	s_wait_dscnt 0x1
	v_add_f32_e32 v5, v5, v8
	s_wait_dscnt 0x0
	v_add_f32_e32 v3, v3, v6
	v_lshlrev_b32_e32 v9, 2, v9
	ds_bpermute_b32 v6, v9, v4
	ds_bpermute_b32 v8, v9, v3
	s_wait_dscnt 0x1
	v_add_f32_e32 v4, v4, v6
	s_wait_dscnt 0x0
	v_add_f32_e32 v6, v3, v8
	ds_bpermute_b32 v7, v9, v5
	v_xor_b32_e32 v9, 2, v2
	s_delay_alu instid0(VALU_DEP_1) | instskip(SKIP_2) | instid1(VALU_DEP_1)
	v_cmp_gt_i32_e32 vcc_lo, 32, v9
	s_wait_alu 0xfffd
	v_cndmask_b32_e32 v9, v2, v9, vcc_lo
	v_lshlrev_b32_e32 v9, 2, v9
	s_wait_dscnt 0x0
	v_add_f32_e32 v5, v5, v7
	ds_bpermute_b32 v3, v9, v4
	ds_bpermute_b32 v8, v9, v6
	ds_bpermute_b32 v7, v9, v5
	v_xor_b32_e32 v9, 1, v2
	s_delay_alu instid0(VALU_DEP_1) | instskip(SKIP_4) | instid1(VALU_DEP_2)
	v_cmp_gt_i32_e32 vcc_lo, 32, v9
	s_wait_alu 0xfffd
	v_cndmask_b32_e32 v2, v2, v9, vcc_lo
	v_cmp_eq_u32_e32 vcc_lo, 31, v0
	s_wait_dscnt 0x2
	v_dual_add_f32 v2, v4, v3 :: v_dual_lshlrev_b32 v9, 2, v2
	s_wait_dscnt 0x0
	v_dual_add_f32 v4, v6, v8 :: v_dual_add_f32 v3, v5, v7
	ds_bpermute_b32 v5, v9, v2
	ds_bpermute_b32 v7, v9, v4
	;; [unrolled: 1-line block ×3, first 2 shown]
	s_and_b32 exec_lo, exec_lo, vcc_lo
	s_cbranch_execz .LBB108_10
; %bb.26:
	s_load_b64 s[0:1], s[0:1], 0x50
	s_wait_dscnt 0x2
	v_add_f32_e32 v0, v2, v5
	s_wait_dscnt 0x0
	v_add_f32_e32 v2, v3, v6
	v_add_f32_e32 v4, v4, v7
	v_lshl_add_u32 v3, v1, 1, v1
	s_cmp_eq_f32 s12, 0
	s_delay_alu instid0(VALU_DEP_3) | instskip(NEXT) | instid1(VALU_DEP_3)
	v_dual_mul_f32 v1, s14, v2 :: v_dual_mul_f32 v0, s14, v0
	v_mul_f32_e32 v2, s14, v4
	s_delay_alu instid0(VALU_DEP_3)
	v_ashrrev_i32_e32 v4, 31, v3
	s_cbranch_scc0 .LBB108_28
; %bb.27:
	s_delay_alu instid0(VALU_DEP_1) | instskip(SKIP_2) | instid1(VALU_DEP_1)
	v_lshlrev_b64_e32 v[5:6], 2, v[3:4]
	s_mov_b32 s2, 0
	s_wait_kmcnt 0x0
	v_add_co_u32 v5, vcc_lo, s0, v5
	s_wait_alu 0xfffd
	s_delay_alu instid0(VALU_DEP_2)
	v_add_co_ci_u32_e64 v6, null, s1, v6, vcc_lo
	global_store_b96 v[5:6], v[0:2], off
.LBB108_28:
	s_wait_alu 0xfffe
	s_and_not1_b32 vcc_lo, exec_lo, s2
	s_wait_alu 0xfffe
	s_cbranch_vccnz .LBB108_10
; %bb.29:
	v_lshlrev_b64_e32 v[3:4], 2, v[3:4]
	s_wait_kmcnt 0x0
	s_delay_alu instid0(VALU_DEP_1) | instskip(SKIP_1) | instid1(VALU_DEP_2)
	v_add_co_u32 v6, vcc_lo, s0, v3
	s_wait_alu 0xfffd
	v_add_co_ci_u32_e64 v7, null, s1, v4, vcc_lo
	global_load_b96 v[3:5], v[6:7], off
	s_wait_loadcnt 0x0
	v_dual_fmac_f32 v0, s12, v3 :: v_dual_fmac_f32 v1, s12, v4
	v_fmac_f32_e32 v2, s12, v5
	global_store_b96 v[6:7], v[0:2], off
	s_endpgm
	.section	.rodata,"a",@progbits
	.p2align	6, 0x0
	.amdhsa_kernel _ZN9rocsparseL18bsrxmvn_3x3_kernelILj256ELj32Efii18rocsparse_bfloat16S1_fEEvT3_20rocsparse_direction_NS_24const_host_device_scalarIT1_EES2_PKS2_PKT2_SB_S8_PKT4_PKT5_S6_PT6_21rocsparse_index_base_b
		.amdhsa_group_segment_fixed_size 0
		.amdhsa_private_segment_fixed_size 0
		.amdhsa_kernarg_size 96
		.amdhsa_user_sgpr_count 2
		.amdhsa_user_sgpr_dispatch_ptr 0
		.amdhsa_user_sgpr_queue_ptr 0
		.amdhsa_user_sgpr_kernarg_segment_ptr 1
		.amdhsa_user_sgpr_dispatch_id 0
		.amdhsa_user_sgpr_private_segment_size 0
		.amdhsa_wavefront_size32 1
		.amdhsa_uses_dynamic_stack 0
		.amdhsa_enable_private_segment 0
		.amdhsa_system_sgpr_workgroup_id_x 1
		.amdhsa_system_sgpr_workgroup_id_y 0
		.amdhsa_system_sgpr_workgroup_id_z 0
		.amdhsa_system_sgpr_workgroup_info 0
		.amdhsa_system_vgpr_workitem_id 0
		.amdhsa_next_free_vgpr 24
		.amdhsa_next_free_sgpr 18
		.amdhsa_reserve_vcc 1
		.amdhsa_float_round_mode_32 0
		.amdhsa_float_round_mode_16_64 0
		.amdhsa_float_denorm_mode_32 3
		.amdhsa_float_denorm_mode_16_64 3
		.amdhsa_fp16_overflow 0
		.amdhsa_workgroup_processor_mode 1
		.amdhsa_memory_ordered 1
		.amdhsa_forward_progress 1
		.amdhsa_inst_pref_size 15
		.amdhsa_round_robin_scheduling 0
		.amdhsa_exception_fp_ieee_invalid_op 0
		.amdhsa_exception_fp_denorm_src 0
		.amdhsa_exception_fp_ieee_div_zero 0
		.amdhsa_exception_fp_ieee_overflow 0
		.amdhsa_exception_fp_ieee_underflow 0
		.amdhsa_exception_fp_ieee_inexact 0
		.amdhsa_exception_int_div_zero 0
	.end_amdhsa_kernel
	.section	.text._ZN9rocsparseL18bsrxmvn_3x3_kernelILj256ELj32Efii18rocsparse_bfloat16S1_fEEvT3_20rocsparse_direction_NS_24const_host_device_scalarIT1_EES2_PKS2_PKT2_SB_S8_PKT4_PKT5_S6_PT6_21rocsparse_index_base_b,"axG",@progbits,_ZN9rocsparseL18bsrxmvn_3x3_kernelILj256ELj32Efii18rocsparse_bfloat16S1_fEEvT3_20rocsparse_direction_NS_24const_host_device_scalarIT1_EES2_PKS2_PKT2_SB_S8_PKT4_PKT5_S6_PT6_21rocsparse_index_base_b,comdat
.Lfunc_end108:
	.size	_ZN9rocsparseL18bsrxmvn_3x3_kernelILj256ELj32Efii18rocsparse_bfloat16S1_fEEvT3_20rocsparse_direction_NS_24const_host_device_scalarIT1_EES2_PKS2_PKT2_SB_S8_PKT4_PKT5_S6_PT6_21rocsparse_index_base_b, .Lfunc_end108-_ZN9rocsparseL18bsrxmvn_3x3_kernelILj256ELj32Efii18rocsparse_bfloat16S1_fEEvT3_20rocsparse_direction_NS_24const_host_device_scalarIT1_EES2_PKS2_PKT2_SB_S8_PKT4_PKT5_S6_PT6_21rocsparse_index_base_b
                                        ; -- End function
	.set _ZN9rocsparseL18bsrxmvn_3x3_kernelILj256ELj32Efii18rocsparse_bfloat16S1_fEEvT3_20rocsparse_direction_NS_24const_host_device_scalarIT1_EES2_PKS2_PKT2_SB_S8_PKT4_PKT5_S6_PT6_21rocsparse_index_base_b.num_vgpr, 24
	.set _ZN9rocsparseL18bsrxmvn_3x3_kernelILj256ELj32Efii18rocsparse_bfloat16S1_fEEvT3_20rocsparse_direction_NS_24const_host_device_scalarIT1_EES2_PKS2_PKT2_SB_S8_PKT4_PKT5_S6_PT6_21rocsparse_index_base_b.num_agpr, 0
	.set _ZN9rocsparseL18bsrxmvn_3x3_kernelILj256ELj32Efii18rocsparse_bfloat16S1_fEEvT3_20rocsparse_direction_NS_24const_host_device_scalarIT1_EES2_PKS2_PKT2_SB_S8_PKT4_PKT5_S6_PT6_21rocsparse_index_base_b.numbered_sgpr, 18
	.set _ZN9rocsparseL18bsrxmvn_3x3_kernelILj256ELj32Efii18rocsparse_bfloat16S1_fEEvT3_20rocsparse_direction_NS_24const_host_device_scalarIT1_EES2_PKS2_PKT2_SB_S8_PKT4_PKT5_S6_PT6_21rocsparse_index_base_b.num_named_barrier, 0
	.set _ZN9rocsparseL18bsrxmvn_3x3_kernelILj256ELj32Efii18rocsparse_bfloat16S1_fEEvT3_20rocsparse_direction_NS_24const_host_device_scalarIT1_EES2_PKS2_PKT2_SB_S8_PKT4_PKT5_S6_PT6_21rocsparse_index_base_b.private_seg_size, 0
	.set _ZN9rocsparseL18bsrxmvn_3x3_kernelILj256ELj32Efii18rocsparse_bfloat16S1_fEEvT3_20rocsparse_direction_NS_24const_host_device_scalarIT1_EES2_PKS2_PKT2_SB_S8_PKT4_PKT5_S6_PT6_21rocsparse_index_base_b.uses_vcc, 1
	.set _ZN9rocsparseL18bsrxmvn_3x3_kernelILj256ELj32Efii18rocsparse_bfloat16S1_fEEvT3_20rocsparse_direction_NS_24const_host_device_scalarIT1_EES2_PKS2_PKT2_SB_S8_PKT4_PKT5_S6_PT6_21rocsparse_index_base_b.uses_flat_scratch, 0
	.set _ZN9rocsparseL18bsrxmvn_3x3_kernelILj256ELj32Efii18rocsparse_bfloat16S1_fEEvT3_20rocsparse_direction_NS_24const_host_device_scalarIT1_EES2_PKS2_PKT2_SB_S8_PKT4_PKT5_S6_PT6_21rocsparse_index_base_b.has_dyn_sized_stack, 0
	.set _ZN9rocsparseL18bsrxmvn_3x3_kernelILj256ELj32Efii18rocsparse_bfloat16S1_fEEvT3_20rocsparse_direction_NS_24const_host_device_scalarIT1_EES2_PKS2_PKT2_SB_S8_PKT4_PKT5_S6_PT6_21rocsparse_index_base_b.has_recursion, 0
	.set _ZN9rocsparseL18bsrxmvn_3x3_kernelILj256ELj32Efii18rocsparse_bfloat16S1_fEEvT3_20rocsparse_direction_NS_24const_host_device_scalarIT1_EES2_PKS2_PKT2_SB_S8_PKT4_PKT5_S6_PT6_21rocsparse_index_base_b.has_indirect_call, 0
	.section	.AMDGPU.csdata,"",@progbits
; Kernel info:
; codeLenInByte = 1876
; TotalNumSgprs: 20
; NumVgprs: 24
; ScratchSize: 0
; MemoryBound: 0
; FloatMode: 240
; IeeeMode: 1
; LDSByteSize: 0 bytes/workgroup (compile time only)
; SGPRBlocks: 0
; VGPRBlocks: 2
; NumSGPRsForWavesPerEU: 20
; NumVGPRsForWavesPerEU: 24
; Occupancy: 16
; WaveLimiterHint : 1
; COMPUTE_PGM_RSRC2:SCRATCH_EN: 0
; COMPUTE_PGM_RSRC2:USER_SGPR: 2
; COMPUTE_PGM_RSRC2:TRAP_HANDLER: 0
; COMPUTE_PGM_RSRC2:TGID_X_EN: 1
; COMPUTE_PGM_RSRC2:TGID_Y_EN: 0
; COMPUTE_PGM_RSRC2:TGID_Z_EN: 0
; COMPUTE_PGM_RSRC2:TIDIG_COMP_CNT: 0
	.section	.text._ZN9rocsparseL18bsrxmvn_3x3_kernelILj256ELj64Efii18rocsparse_bfloat16S1_fEEvT3_20rocsparse_direction_NS_24const_host_device_scalarIT1_EES2_PKS2_PKT2_SB_S8_PKT4_PKT5_S6_PT6_21rocsparse_index_base_b,"axG",@progbits,_ZN9rocsparseL18bsrxmvn_3x3_kernelILj256ELj64Efii18rocsparse_bfloat16S1_fEEvT3_20rocsparse_direction_NS_24const_host_device_scalarIT1_EES2_PKS2_PKT2_SB_S8_PKT4_PKT5_S6_PT6_21rocsparse_index_base_b,comdat
	.globl	_ZN9rocsparseL18bsrxmvn_3x3_kernelILj256ELj64Efii18rocsparse_bfloat16S1_fEEvT3_20rocsparse_direction_NS_24const_host_device_scalarIT1_EES2_PKS2_PKT2_SB_S8_PKT4_PKT5_S6_PT6_21rocsparse_index_base_b ; -- Begin function _ZN9rocsparseL18bsrxmvn_3x3_kernelILj256ELj64Efii18rocsparse_bfloat16S1_fEEvT3_20rocsparse_direction_NS_24const_host_device_scalarIT1_EES2_PKS2_PKT2_SB_S8_PKT4_PKT5_S6_PT6_21rocsparse_index_base_b
	.p2align	8
	.type	_ZN9rocsparseL18bsrxmvn_3x3_kernelILj256ELj64Efii18rocsparse_bfloat16S1_fEEvT3_20rocsparse_direction_NS_24const_host_device_scalarIT1_EES2_PKS2_PKT2_SB_S8_PKT4_PKT5_S6_PT6_21rocsparse_index_base_b,@function
_ZN9rocsparseL18bsrxmvn_3x3_kernelILj256ELj64Efii18rocsparse_bfloat16S1_fEEvT3_20rocsparse_direction_NS_24const_host_device_scalarIT1_EES2_PKS2_PKT2_SB_S8_PKT4_PKT5_S6_PT6_21rocsparse_index_base_b: ; @_ZN9rocsparseL18bsrxmvn_3x3_kernelILj256ELj64Efii18rocsparse_bfloat16S1_fEEvT3_20rocsparse_direction_NS_24const_host_device_scalarIT1_EES2_PKS2_PKT2_SB_S8_PKT4_PKT5_S6_PT6_21rocsparse_index_base_b
; %bb.0:
	s_clause 0x2
	s_load_b64 s[16:17], s[0:1], 0x58
	s_load_b64 s[14:15], s[0:1], 0x8
	;; [unrolled: 1-line block ×3, first 2 shown]
	s_wait_kmcnt 0x0
	s_bitcmp1_b32 s17, 0
	s_cselect_b32 s2, -1, 0
	s_delay_alu instid0(SALU_CYCLE_1)
	s_and_b32 vcc_lo, exec_lo, s2
	s_xor_b32 s2, s2, -1
	s_cbranch_vccnz .LBB109_2
; %bb.1:
	s_load_b32 s14, s[14:15], 0x0
.LBB109_2:
	s_and_not1_b32 vcc_lo, exec_lo, s2
	s_cbranch_vccnz .LBB109_4
; %bb.3:
	s_load_b32 s12, s[12:13], 0x0
.LBB109_4:
	s_wait_kmcnt 0x0
	s_cmp_neq_f32 s14, 0
	s_mov_b32 s6, 0
	s_cselect_b32 s2, -1, 0
	s_cmp_neq_f32 s12, 1.0
	s_cselect_b32 s3, -1, 0
	s_delay_alu instid0(SALU_CYCLE_1) | instskip(NEXT) | instid1(SALU_CYCLE_1)
	s_or_b32 s2, s2, s3
	s_and_not1_b32 vcc_lo, exec_lo, s2
	s_cbranch_vccnz .LBB109_10
; %bb.5:
	s_clause 0x1
	s_load_b64 s[4:5], s[0:1], 0x18
	s_load_b64 s[2:3], s[0:1], 0x0
	v_lshrrev_b32_e32 v1, 6, v0
	s_delay_alu instid0(VALU_DEP_1)
	v_lshl_or_b32 v1, ttmp9, 2, v1
	s_wait_kmcnt 0x0
	s_cmp_lg_u64 s[4:5], 0
	s_cbranch_scc0 .LBB109_11
; %bb.6:
	s_load_b32 s6, s[0:1], 0x10
	s_mov_b32 s7, 0
                                        ; implicit-def: $vgpr2
	s_wait_kmcnt 0x0
	v_cmp_gt_i32_e32 vcc_lo, s6, v1
	s_mov_b32 s6, 0
	s_and_saveexec_b32 s8, vcc_lo
	s_delay_alu instid0(SALU_CYCLE_1)
	s_xor_b32 s8, exec_lo, s8
	s_cbranch_execz .LBB109_8
; %bb.7:
	v_ashrrev_i32_e32 v2, 31, v1
	s_mov_b32 s6, exec_lo
	s_delay_alu instid0(VALU_DEP_1) | instskip(NEXT) | instid1(VALU_DEP_1)
	v_lshlrev_b64_e32 v[2:3], 2, v[1:2]
	v_add_co_u32 v2, vcc_lo, s4, v2
	s_delay_alu instid0(VALU_DEP_1)
	v_add_co_ci_u32_e64 v3, null, s5, v3, vcc_lo
	global_load_b32 v2, v[2:3], off
	s_wait_loadcnt 0x0
	v_subrev_nc_u32_e32 v2, s16, v2
.LBB109_8:
	s_or_b32 exec_lo, exec_lo, s8
	s_delay_alu instid0(SALU_CYCLE_1)
	s_and_b32 vcc_lo, exec_lo, s7
	s_wait_alu 0xfffe
	s_cbranch_vccz .LBB109_12
.LBB109_9:
	v_cmp_gt_i32_e32 vcc_lo, s2, v1
	s_and_not1_b32 s2, s6, exec_lo
	s_and_b32 s4, vcc_lo, exec_lo
	s_wait_alu 0xfffe
	s_or_b32 s6, s2, s4
	s_wait_alu 0xfffe
	s_and_saveexec_b32 s2, s6
	s_cbranch_execnz .LBB109_13
.LBB109_10:
	s_endpgm
.LBB109_11:
                                        ; implicit-def: $vgpr2
	s_cbranch_execnz .LBB109_9
.LBB109_12:
	v_mov_b32_e32 v1, v2
	s_and_saveexec_b32 s2, s6
	s_cbranch_execz .LBB109_10
.LBB109_13:
	s_load_b256 s[4:11], s[0:1], 0x20
	s_delay_alu instid0(VALU_DEP_1) | instskip(SKIP_1) | instid1(VALU_DEP_2)
	v_ashrrev_i32_e32 v2, 31, v1
	v_and_b32_e32 v0, 63, v0
	v_lshlrev_b64_e32 v[2:3], 2, v[1:2]
	s_wait_kmcnt 0x0
	s_delay_alu instid0(VALU_DEP_1) | instskip(SKIP_1) | instid1(VALU_DEP_2)
	v_add_co_u32 v4, vcc_lo, s4, v2
	s_wait_alu 0xfffd
	v_add_co_ci_u32_e64 v5, null, s5, v3, vcc_lo
	v_add_co_u32 v2, vcc_lo, s6, v2
	s_wait_alu 0xfffd
	v_add_co_ci_u32_e64 v3, null, s7, v3, vcc_lo
	;; [unrolled: 3-line block ×3, first 2 shown]
	s_cmp_eq_u64 s[6:7], 0
	global_load_b32 v4, v[4:5], off
	s_cselect_b32 vcc_lo, -1, 0
	s_load_b64 s[4:5], s[0:1], 0x40
	v_dual_cndmask_b32 v3, v3, v7 :: v_dual_cndmask_b32 v2, v2, v6
	s_cmp_eq_u32 s3, 1
	global_load_b32 v3, v[2:3], off
	s_wait_loadcnt 0x1
	v_subrev_nc_u32_e32 v2, s16, v4
	s_delay_alu instid0(VALU_DEP_1) | instskip(SKIP_2) | instid1(VALU_DEP_2)
	v_add_nc_u32_e32 v2, v2, v0
	s_wait_loadcnt 0x0
	v_subrev_nc_u32_e32 v13, s16, v3
	v_mad_co_i64_i32 v[4:5], null, v2, 18, s[10:11]
	s_delay_alu instid0(VALU_DEP_2)
	v_cmp_lt_i32_e64 s2, v2, v13
	s_cbranch_scc1 .LBB109_19
; %bb.14:
	v_dual_mov_b32 v10, 0 :: v_dual_mov_b32 v11, 0
	v_mov_b32_e32 v12, 0
	s_and_saveexec_b32 s3, s2
	s_cbranch_execz .LBB109_18
; %bb.15:
	v_dual_mov_b32 v10, 0 :: v_dual_mov_b32 v7, v5
	v_dual_mov_b32 v6, v4 :: v_dual_mov_b32 v11, 0
	v_mov_b32_e32 v8, v2
	v_mov_b32_e32 v12, 0
	s_mov_b32 s6, 0
.LBB109_16:                             ; =>This Inner Loop Header: Depth=1
	s_delay_alu instid0(VALU_DEP_2) | instskip(NEXT) | instid1(VALU_DEP_1)
	v_ashrrev_i32_e32 v9, 31, v8
	v_lshlrev_b64_e32 v[14:15], 2, v[8:9]
	s_delay_alu instid0(VALU_DEP_1) | instskip(SKIP_1) | instid1(VALU_DEP_2)
	v_add_co_u32 v14, vcc_lo, s8, v14
	s_wait_alu 0xfffd
	v_add_co_ci_u32_e64 v15, null, s9, v15, vcc_lo
	global_load_b32 v3, v[14:15], off
	global_load_b128 v[14:17], v[6:7], off
	s_wait_loadcnt 0x1
	v_subrev_nc_u32_e32 v3, s16, v3
	s_wait_loadcnt 0x0
	v_lshlrev_b32_e32 v20, 16, v15
	v_and_b32_e32 v15, 0xffff0000, v15
	s_delay_alu instid0(VALU_DEP_3) | instskip(NEXT) | instid1(VALU_DEP_1)
	v_lshl_add_u32 v18, v3, 1, v3
	v_ashrrev_i32_e32 v19, 31, v18
	s_delay_alu instid0(VALU_DEP_1) | instskip(SKIP_1) | instid1(VALU_DEP_1)
	v_lshlrev_b64_e32 v[18:19], 1, v[18:19]
	s_wait_kmcnt 0x0
	v_add_co_u32 v18, vcc_lo, s4, v18
	s_wait_alu 0xfffd
	s_delay_alu instid0(VALU_DEP_2)
	v_add_co_ci_u32_e64 v19, null, s5, v19, vcc_lo
	global_load_b32 v3, v[18:19], off
	global_load_u16 v9, v[6:7], off offset:16
	global_load_u16 v18, v[18:19], off offset:4
	v_add_co_u32 v6, vcc_lo, 0x480, v6
	s_wait_alu 0xfffd
	v_add_co_ci_u32_e64 v7, null, 0, v7, vcc_lo
	s_wait_loadcnt 0x2
	v_lshlrev_b32_e32 v23, 16, v3
	v_add_nc_u32_e32 v8, 64, v8
	v_and_b32_e32 v3, 0xffff0000, v3
	s_delay_alu instid0(VALU_DEP_3)
	v_fmac_f32_e32 v11, v15, v23
	s_wait_loadcnt 0x0
	v_lshlrev_b32_e32 v15, 16, v18
	v_lshlrev_b32_e32 v22, 16, v17
	;; [unrolled: 1-line block ×3, first 2 shown]
	v_cmp_ge_i32_e32 vcc_lo, v8, v13
	s_delay_alu instid0(VALU_DEP_3) | instskip(NEXT) | instid1(VALU_DEP_3)
	v_dual_fmac_f32 v10, v22, v23 :: v_dual_lshlrev_b32 v21, 16, v16
	v_fmac_f32_e32 v12, v19, v23
	v_and_b32_e32 v14, 0xffff0000, v14
	v_and_b32_e32 v16, 0xffff0000, v16
	s_wait_alu 0xfffe
	s_or_b32 s6, vcc_lo, s6
	v_fmac_f32_e32 v11, v21, v3
	v_dual_fmac_f32 v12, v14, v3 :: v_dual_and_b32 v17, 0xffff0000, v17
	v_lshlrev_b32_e32 v9, 16, v9
	s_delay_alu instid0(VALU_DEP_3) | instskip(NEXT) | instid1(VALU_DEP_3)
	v_fmac_f32_e32 v11, v16, v15
	v_fmac_f32_e32 v10, v17, v3
	s_delay_alu instid0(VALU_DEP_4) | instskip(NEXT) | instid1(VALU_DEP_2)
	v_fmac_f32_e32 v12, v20, v15
	v_fmac_f32_e32 v10, v9, v15
	s_wait_alu 0xfffe
	s_and_not1_b32 exec_lo, exec_lo, s6
	s_cbranch_execnz .LBB109_16
; %bb.17:
	s_or_b32 exec_lo, exec_lo, s6
.LBB109_18:
	s_wait_alu 0xfffe
	s_or_b32 exec_lo, exec_lo, s3
	s_cbranch_execz .LBB109_20
	s_branch .LBB109_25
.LBB109_19:
                                        ; implicit-def: $vgpr10
                                        ; implicit-def: $vgpr11
                                        ; implicit-def: $vgpr12
.LBB109_20:
	v_dual_mov_b32 v10, 0 :: v_dual_mov_b32 v11, 0
	v_mov_b32_e32 v12, 0
	s_and_saveexec_b32 s3, s2
	s_cbranch_execz .LBB109_24
; %bb.21:
	v_dual_mov_b32 v10, 0 :: v_dual_mov_b32 v11, 0
	v_mov_b32_e32 v12, 0
	s_mov_b32 s2, 0
.LBB109_22:                             ; =>This Inner Loop Header: Depth=1
	v_ashrrev_i32_e32 v3, 31, v2
	s_delay_alu instid0(VALU_DEP_1) | instskip(NEXT) | instid1(VALU_DEP_1)
	v_lshlrev_b64_e32 v[6:7], 2, v[2:3]
	v_add_co_u32 v6, vcc_lo, s8, v6
	s_wait_alu 0xfffd
	s_delay_alu instid0(VALU_DEP_2) | instskip(SKIP_4) | instid1(VALU_DEP_1)
	v_add_co_ci_u32_e64 v7, null, s9, v7, vcc_lo
	global_load_b32 v3, v[6:7], off
	global_load_b128 v[6:9], v[4:5], off
	s_wait_loadcnt 0x1
	v_subrev_nc_u32_e32 v3, s16, v3
	v_lshl_add_u32 v14, v3, 1, v3
	s_delay_alu instid0(VALU_DEP_1) | instskip(NEXT) | instid1(VALU_DEP_1)
	v_ashrrev_i32_e32 v15, 31, v14
	v_lshlrev_b64_e32 v[14:15], 1, v[14:15]
	s_wait_kmcnt 0x0
	s_delay_alu instid0(VALU_DEP_1) | instskip(SKIP_1) | instid1(VALU_DEP_2)
	v_add_co_u32 v14, vcc_lo, s4, v14
	s_wait_alu 0xfffd
	v_add_co_ci_u32_e64 v15, null, s5, v15, vcc_lo
	global_load_b32 v3, v[14:15], off
	global_load_u16 v16, v[4:5], off offset:16
	global_load_u16 v14, v[14:15], off offset:4
	v_add_co_u32 v4, vcc_lo, 0x480, v4
	s_wait_alu 0xfffd
	v_add_co_ci_u32_e64 v5, null, 0, v5, vcc_lo
	s_wait_loadcnt 0x2
	v_lshlrev_b32_e32 v20, 16, v3
	v_lshlrev_b32_e32 v17, 16, v7
	;; [unrolled: 1-line block ×3, first 2 shown]
	s_wait_loadcnt 0x1
	v_lshlrev_b32_e32 v16, 16, v16
	s_delay_alu instid0(VALU_DEP_3) | instskip(NEXT) | instid1(VALU_DEP_3)
	v_dual_fmac_f32 v10, v17, v20 :: v_dual_and_b32 v3, 0xffff0000, v3
	v_dual_fmac_f32 v12, v15, v20 :: v_dual_lshlrev_b32 v19, 16, v9
	v_and_b32_e32 v9, 0xffff0000, v9
	v_lshlrev_b32_e32 v18, 16, v8
	v_and_b32_e32 v6, 0xffff0000, v6
	v_and_b32_e32 v8, 0xffff0000, v8
	s_delay_alu instid0(VALU_DEP_2)
	v_dual_fmac_f32 v11, v6, v20 :: v_dual_add_nc_u32 v2, 64, v2
	s_wait_loadcnt 0x0
	v_lshlrev_b32_e32 v6, 16, v14
	v_and_b32_e32 v7, 0xffff0000, v7
	v_fmac_f32_e32 v10, v8, v3
	v_cmp_ge_i32_e32 vcc_lo, v2, v13
	s_delay_alu instid0(VALU_DEP_2) | instskip(NEXT) | instid1(VALU_DEP_4)
	v_fmac_f32_e32 v10, v16, v6
	v_fmac_f32_e32 v12, v7, v3
	;; [unrolled: 1-line block ×3, first 2 shown]
	s_wait_alu 0xfffe
	s_or_b32 s2, vcc_lo, s2
	s_delay_alu instid0(VALU_DEP_2) | instskip(NEXT) | instid1(VALU_DEP_2)
	v_fmac_f32_e32 v12, v19, v6
	v_fmac_f32_e32 v11, v9, v6
	s_wait_alu 0xfffe
	s_and_not1_b32 exec_lo, exec_lo, s2
	s_cbranch_execnz .LBB109_22
; %bb.23:
	s_or_b32 exec_lo, exec_lo, s2
.LBB109_24:
	s_wait_alu 0xfffe
	s_or_b32 exec_lo, exec_lo, s3
.LBB109_25:
	v_mbcnt_lo_u32_b32 v2, -1, 0
	s_mov_b32 s2, -1
	s_delay_alu instid0(VALU_DEP_1) | instskip(SKIP_2) | instid1(VALU_DEP_3)
	v_or_b32_e32 v3, 32, v2
	v_xor_b32_e32 v6, 16, v2
	v_xor_b32_e32 v9, 8, v2
	v_cmp_gt_i32_e32 vcc_lo, 32, v3
	s_wait_alu 0xfffd
	v_cndmask_b32_e32 v3, v2, v3, vcc_lo
	v_cmp_gt_i32_e32 vcc_lo, 32, v6
	s_wait_alu 0xfffd
	v_cndmask_b32_e32 v6, v2, v6, vcc_lo
	v_cmp_gt_i32_e32 vcc_lo, 32, v9
	s_delay_alu instid0(VALU_DEP_2)
	v_lshlrev_b32_e32 v6, 2, v6
	v_lshlrev_b32_e32 v3, 2, v3
	ds_bpermute_b32 v4, v3, v12
	s_wait_dscnt 0x0
	v_add_f32_e32 v4, v12, v4
	ds_bpermute_b32 v5, v3, v11
	ds_bpermute_b32 v3, v3, v10
	;; [unrolled: 1-line block ×3, first 2 shown]
	s_wait_alu 0xfffd
	v_cndmask_b32_e32 v9, v2, v9, vcc_lo
	s_wait_dscnt 0x0
	v_dual_add_f32 v5, v11, v5 :: v_dual_add_f32 v4, v4, v7
	v_add_f32_e32 v3, v10, v3
	ds_bpermute_b32 v8, v6, v5
	v_lshlrev_b32_e32 v9, 2, v9
	ds_bpermute_b32 v6, v6, v3
	s_wait_dscnt 0x1
	v_add_f32_e32 v5, v5, v8
	s_wait_dscnt 0x0
	v_add_f32_e32 v3, v3, v6
	ds_bpermute_b32 v6, v9, v4
	ds_bpermute_b32 v7, v9, v5
	ds_bpermute_b32 v8, v9, v3
	v_xor_b32_e32 v9, 4, v2
	s_delay_alu instid0(VALU_DEP_1)
	v_cmp_gt_i32_e32 vcc_lo, 32, v9
	s_wait_dscnt 0x1
	v_dual_add_f32 v4, v4, v6 :: v_dual_add_f32 v5, v5, v7
	s_wait_dscnt 0x0
	v_add_f32_e32 v3, v3, v8
	s_wait_alu 0xfffd
	v_cndmask_b32_e32 v9, v2, v9, vcc_lo
	s_delay_alu instid0(VALU_DEP_1) | instskip(SKIP_4) | instid1(VALU_DEP_1)
	v_lshlrev_b32_e32 v9, 2, v9
	ds_bpermute_b32 v6, v9, v4
	ds_bpermute_b32 v7, v9, v5
	;; [unrolled: 1-line block ×3, first 2 shown]
	v_xor_b32_e32 v9, 2, v2
	v_cmp_gt_i32_e32 vcc_lo, 32, v9
	s_wait_alu 0xfffd
	v_cndmask_b32_e32 v9, v2, v9, vcc_lo
	s_wait_dscnt 0x2
	s_delay_alu instid0(VALU_DEP_1)
	v_dual_add_f32 v4, v4, v6 :: v_dual_lshlrev_b32 v9, 2, v9
	s_wait_dscnt 0x0
	v_dual_add_f32 v5, v5, v7 :: v_dual_add_f32 v6, v3, v8
	ds_bpermute_b32 v3, v9, v4
	ds_bpermute_b32 v7, v9, v5
	;; [unrolled: 1-line block ×3, first 2 shown]
	v_xor_b32_e32 v9, 1, v2
	s_delay_alu instid0(VALU_DEP_1) | instskip(SKIP_4) | instid1(VALU_DEP_2)
	v_cmp_gt_i32_e32 vcc_lo, 32, v9
	s_wait_alu 0xfffd
	v_cndmask_b32_e32 v2, v2, v9, vcc_lo
	v_cmp_eq_u32_e32 vcc_lo, 63, v0
	s_wait_dscnt 0x2
	v_dual_add_f32 v2, v4, v3 :: v_dual_lshlrev_b32 v9, 2, v2
	s_wait_dscnt 0x0
	v_dual_add_f32 v3, v5, v7 :: v_dual_add_f32 v4, v6, v8
	ds_bpermute_b32 v5, v9, v2
	ds_bpermute_b32 v6, v9, v3
	;; [unrolled: 1-line block ×3, first 2 shown]
	s_and_b32 exec_lo, exec_lo, vcc_lo
	s_cbranch_execz .LBB109_10
; %bb.26:
	s_load_b64 s[0:1], s[0:1], 0x50
	s_wait_dscnt 0x2
	v_add_f32_e32 v0, v2, v5
	s_wait_dscnt 0x1
	v_add_f32_e32 v2, v3, v6
	;; [unrolled: 2-line block ×3, first 2 shown]
	v_lshl_add_u32 v3, v1, 1, v1
	s_cmp_eq_f32 s12, 0
	v_dual_mul_f32 v1, s14, v2 :: v_dual_mul_f32 v0, s14, v0
	s_delay_alu instid0(VALU_DEP_3) | instskip(NEXT) | instid1(VALU_DEP_3)
	v_mul_f32_e32 v2, s14, v4
	v_ashrrev_i32_e32 v4, 31, v3
	s_cbranch_scc0 .LBB109_28
; %bb.27:
	s_delay_alu instid0(VALU_DEP_1) | instskip(SKIP_2) | instid1(VALU_DEP_1)
	v_lshlrev_b64_e32 v[5:6], 2, v[3:4]
	s_mov_b32 s2, 0
	s_wait_kmcnt 0x0
	v_add_co_u32 v5, vcc_lo, s0, v5
	s_wait_alu 0xfffd
	s_delay_alu instid0(VALU_DEP_2)
	v_add_co_ci_u32_e64 v6, null, s1, v6, vcc_lo
	global_store_b96 v[5:6], v[0:2], off
.LBB109_28:
	s_wait_alu 0xfffe
	s_and_not1_b32 vcc_lo, exec_lo, s2
	s_wait_alu 0xfffe
	s_cbranch_vccnz .LBB109_10
; %bb.29:
	v_lshlrev_b64_e32 v[3:4], 2, v[3:4]
	s_wait_kmcnt 0x0
	s_delay_alu instid0(VALU_DEP_1) | instskip(SKIP_1) | instid1(VALU_DEP_2)
	v_add_co_u32 v6, vcc_lo, s0, v3
	s_wait_alu 0xfffd
	v_add_co_ci_u32_e64 v7, null, s1, v4, vcc_lo
	global_load_b96 v[3:5], v[6:7], off
	s_wait_loadcnt 0x0
	v_dual_fmac_f32 v0, s12, v3 :: v_dual_fmac_f32 v1, s12, v4
	v_fmac_f32_e32 v2, s12, v5
	global_store_b96 v[6:7], v[0:2], off
	s_endpgm
	.section	.rodata,"a",@progbits
	.p2align	6, 0x0
	.amdhsa_kernel _ZN9rocsparseL18bsrxmvn_3x3_kernelILj256ELj64Efii18rocsparse_bfloat16S1_fEEvT3_20rocsparse_direction_NS_24const_host_device_scalarIT1_EES2_PKS2_PKT2_SB_S8_PKT4_PKT5_S6_PT6_21rocsparse_index_base_b
		.amdhsa_group_segment_fixed_size 0
		.amdhsa_private_segment_fixed_size 0
		.amdhsa_kernarg_size 96
		.amdhsa_user_sgpr_count 2
		.amdhsa_user_sgpr_dispatch_ptr 0
		.amdhsa_user_sgpr_queue_ptr 0
		.amdhsa_user_sgpr_kernarg_segment_ptr 1
		.amdhsa_user_sgpr_dispatch_id 0
		.amdhsa_user_sgpr_private_segment_size 0
		.amdhsa_wavefront_size32 1
		.amdhsa_uses_dynamic_stack 0
		.amdhsa_enable_private_segment 0
		.amdhsa_system_sgpr_workgroup_id_x 1
		.amdhsa_system_sgpr_workgroup_id_y 0
		.amdhsa_system_sgpr_workgroup_id_z 0
		.amdhsa_system_sgpr_workgroup_info 0
		.amdhsa_system_vgpr_workitem_id 0
		.amdhsa_next_free_vgpr 24
		.amdhsa_next_free_sgpr 18
		.amdhsa_reserve_vcc 1
		.amdhsa_float_round_mode_32 0
		.amdhsa_float_round_mode_16_64 0
		.amdhsa_float_denorm_mode_32 3
		.amdhsa_float_denorm_mode_16_64 3
		.amdhsa_fp16_overflow 0
		.amdhsa_workgroup_processor_mode 1
		.amdhsa_memory_ordered 1
		.amdhsa_forward_progress 1
		.amdhsa_inst_pref_size 16
		.amdhsa_round_robin_scheduling 0
		.amdhsa_exception_fp_ieee_invalid_op 0
		.amdhsa_exception_fp_denorm_src 0
		.amdhsa_exception_fp_ieee_div_zero 0
		.amdhsa_exception_fp_ieee_overflow 0
		.amdhsa_exception_fp_ieee_underflow 0
		.amdhsa_exception_fp_ieee_inexact 0
		.amdhsa_exception_int_div_zero 0
	.end_amdhsa_kernel
	.section	.text._ZN9rocsparseL18bsrxmvn_3x3_kernelILj256ELj64Efii18rocsparse_bfloat16S1_fEEvT3_20rocsparse_direction_NS_24const_host_device_scalarIT1_EES2_PKS2_PKT2_SB_S8_PKT4_PKT5_S6_PT6_21rocsparse_index_base_b,"axG",@progbits,_ZN9rocsparseL18bsrxmvn_3x3_kernelILj256ELj64Efii18rocsparse_bfloat16S1_fEEvT3_20rocsparse_direction_NS_24const_host_device_scalarIT1_EES2_PKS2_PKT2_SB_S8_PKT4_PKT5_S6_PT6_21rocsparse_index_base_b,comdat
.Lfunc_end109:
	.size	_ZN9rocsparseL18bsrxmvn_3x3_kernelILj256ELj64Efii18rocsparse_bfloat16S1_fEEvT3_20rocsparse_direction_NS_24const_host_device_scalarIT1_EES2_PKS2_PKT2_SB_S8_PKT4_PKT5_S6_PT6_21rocsparse_index_base_b, .Lfunc_end109-_ZN9rocsparseL18bsrxmvn_3x3_kernelILj256ELj64Efii18rocsparse_bfloat16S1_fEEvT3_20rocsparse_direction_NS_24const_host_device_scalarIT1_EES2_PKS2_PKT2_SB_S8_PKT4_PKT5_S6_PT6_21rocsparse_index_base_b
                                        ; -- End function
	.set _ZN9rocsparseL18bsrxmvn_3x3_kernelILj256ELj64Efii18rocsparse_bfloat16S1_fEEvT3_20rocsparse_direction_NS_24const_host_device_scalarIT1_EES2_PKS2_PKT2_SB_S8_PKT4_PKT5_S6_PT6_21rocsparse_index_base_b.num_vgpr, 24
	.set _ZN9rocsparseL18bsrxmvn_3x3_kernelILj256ELj64Efii18rocsparse_bfloat16S1_fEEvT3_20rocsparse_direction_NS_24const_host_device_scalarIT1_EES2_PKS2_PKT2_SB_S8_PKT4_PKT5_S6_PT6_21rocsparse_index_base_b.num_agpr, 0
	.set _ZN9rocsparseL18bsrxmvn_3x3_kernelILj256ELj64Efii18rocsparse_bfloat16S1_fEEvT3_20rocsparse_direction_NS_24const_host_device_scalarIT1_EES2_PKS2_PKT2_SB_S8_PKT4_PKT5_S6_PT6_21rocsparse_index_base_b.numbered_sgpr, 18
	.set _ZN9rocsparseL18bsrxmvn_3x3_kernelILj256ELj64Efii18rocsparse_bfloat16S1_fEEvT3_20rocsparse_direction_NS_24const_host_device_scalarIT1_EES2_PKS2_PKT2_SB_S8_PKT4_PKT5_S6_PT6_21rocsparse_index_base_b.num_named_barrier, 0
	.set _ZN9rocsparseL18bsrxmvn_3x3_kernelILj256ELj64Efii18rocsparse_bfloat16S1_fEEvT3_20rocsparse_direction_NS_24const_host_device_scalarIT1_EES2_PKS2_PKT2_SB_S8_PKT4_PKT5_S6_PT6_21rocsparse_index_base_b.private_seg_size, 0
	.set _ZN9rocsparseL18bsrxmvn_3x3_kernelILj256ELj64Efii18rocsparse_bfloat16S1_fEEvT3_20rocsparse_direction_NS_24const_host_device_scalarIT1_EES2_PKS2_PKT2_SB_S8_PKT4_PKT5_S6_PT6_21rocsparse_index_base_b.uses_vcc, 1
	.set _ZN9rocsparseL18bsrxmvn_3x3_kernelILj256ELj64Efii18rocsparse_bfloat16S1_fEEvT3_20rocsparse_direction_NS_24const_host_device_scalarIT1_EES2_PKS2_PKT2_SB_S8_PKT4_PKT5_S6_PT6_21rocsparse_index_base_b.uses_flat_scratch, 0
	.set _ZN9rocsparseL18bsrxmvn_3x3_kernelILj256ELj64Efii18rocsparse_bfloat16S1_fEEvT3_20rocsparse_direction_NS_24const_host_device_scalarIT1_EES2_PKS2_PKT2_SB_S8_PKT4_PKT5_S6_PT6_21rocsparse_index_base_b.has_dyn_sized_stack, 0
	.set _ZN9rocsparseL18bsrxmvn_3x3_kernelILj256ELj64Efii18rocsparse_bfloat16S1_fEEvT3_20rocsparse_direction_NS_24const_host_device_scalarIT1_EES2_PKS2_PKT2_SB_S8_PKT4_PKT5_S6_PT6_21rocsparse_index_base_b.has_recursion, 0
	.set _ZN9rocsparseL18bsrxmvn_3x3_kernelILj256ELj64Efii18rocsparse_bfloat16S1_fEEvT3_20rocsparse_direction_NS_24const_host_device_scalarIT1_EES2_PKS2_PKT2_SB_S8_PKT4_PKT5_S6_PT6_21rocsparse_index_base_b.has_indirect_call, 0
	.section	.AMDGPU.csdata,"",@progbits
; Kernel info:
; codeLenInByte = 1944
; TotalNumSgprs: 20
; NumVgprs: 24
; ScratchSize: 0
; MemoryBound: 0
; FloatMode: 240
; IeeeMode: 1
; LDSByteSize: 0 bytes/workgroup (compile time only)
; SGPRBlocks: 0
; VGPRBlocks: 2
; NumSGPRsForWavesPerEU: 20
; NumVGPRsForWavesPerEU: 24
; Occupancy: 16
; WaveLimiterHint : 1
; COMPUTE_PGM_RSRC2:SCRATCH_EN: 0
; COMPUTE_PGM_RSRC2:USER_SGPR: 2
; COMPUTE_PGM_RSRC2:TRAP_HANDLER: 0
; COMPUTE_PGM_RSRC2:TGID_X_EN: 1
; COMPUTE_PGM_RSRC2:TGID_Y_EN: 0
; COMPUTE_PGM_RSRC2:TGID_Z_EN: 0
; COMPUTE_PGM_RSRC2:TIDIG_COMP_CNT: 0
	.section	.text._ZN9rocsparseL18bsrxmvn_3x3_kernelILj256ELj4Efli18rocsparse_bfloat16S1_fEEvT3_20rocsparse_direction_NS_24const_host_device_scalarIT1_EES2_PKS2_PKT2_SB_S8_PKT4_PKT5_S6_PT6_21rocsparse_index_base_b,"axG",@progbits,_ZN9rocsparseL18bsrxmvn_3x3_kernelILj256ELj4Efli18rocsparse_bfloat16S1_fEEvT3_20rocsparse_direction_NS_24const_host_device_scalarIT1_EES2_PKS2_PKT2_SB_S8_PKT4_PKT5_S6_PT6_21rocsparse_index_base_b,comdat
	.globl	_ZN9rocsparseL18bsrxmvn_3x3_kernelILj256ELj4Efli18rocsparse_bfloat16S1_fEEvT3_20rocsparse_direction_NS_24const_host_device_scalarIT1_EES2_PKS2_PKT2_SB_S8_PKT4_PKT5_S6_PT6_21rocsparse_index_base_b ; -- Begin function _ZN9rocsparseL18bsrxmvn_3x3_kernelILj256ELj4Efli18rocsparse_bfloat16S1_fEEvT3_20rocsparse_direction_NS_24const_host_device_scalarIT1_EES2_PKS2_PKT2_SB_S8_PKT4_PKT5_S6_PT6_21rocsparse_index_base_b
	.p2align	8
	.type	_ZN9rocsparseL18bsrxmvn_3x3_kernelILj256ELj4Efli18rocsparse_bfloat16S1_fEEvT3_20rocsparse_direction_NS_24const_host_device_scalarIT1_EES2_PKS2_PKT2_SB_S8_PKT4_PKT5_S6_PT6_21rocsparse_index_base_b,@function
_ZN9rocsparseL18bsrxmvn_3x3_kernelILj256ELj4Efli18rocsparse_bfloat16S1_fEEvT3_20rocsparse_direction_NS_24const_host_device_scalarIT1_EES2_PKS2_PKT2_SB_S8_PKT4_PKT5_S6_PT6_21rocsparse_index_base_b: ; @_ZN9rocsparseL18bsrxmvn_3x3_kernelILj256ELj4Efli18rocsparse_bfloat16S1_fEEvT3_20rocsparse_direction_NS_24const_host_device_scalarIT1_EES2_PKS2_PKT2_SB_S8_PKT4_PKT5_S6_PT6_21rocsparse_index_base_b
; %bb.0:
	s_clause 0x2
	s_load_b64 s[16:17], s[0:1], 0x58
	s_load_b64 s[14:15], s[0:1], 0x8
	;; [unrolled: 1-line block ×3, first 2 shown]
	s_wait_kmcnt 0x0
	s_bitcmp1_b32 s17, 0
	s_cselect_b32 s2, -1, 0
	s_delay_alu instid0(SALU_CYCLE_1)
	s_and_b32 vcc_lo, exec_lo, s2
	s_xor_b32 s2, s2, -1
	s_cbranch_vccnz .LBB110_2
; %bb.1:
	s_load_b32 s14, s[14:15], 0x0
.LBB110_2:
	s_and_not1_b32 vcc_lo, exec_lo, s2
	s_cbranch_vccnz .LBB110_4
; %bb.3:
	s_load_b32 s12, s[12:13], 0x0
.LBB110_4:
	s_wait_kmcnt 0x0
	s_cmp_neq_f32 s14, 0
	s_mov_b32 s6, 0
	s_cselect_b32 s2, -1, 0
	s_cmp_neq_f32 s12, 1.0
	s_cselect_b32 s3, -1, 0
	s_delay_alu instid0(SALU_CYCLE_1) | instskip(NEXT) | instid1(SALU_CYCLE_1)
	s_or_b32 s2, s2, s3
	s_and_not1_b32 vcc_lo, exec_lo, s2
	s_cbranch_vccnz .LBB110_10
; %bb.5:
	s_clause 0x1
	s_load_b64 s[4:5], s[0:1], 0x18
	s_load_b64 s[2:3], s[0:1], 0x0
	v_lshrrev_b32_e32 v1, 2, v0
	s_delay_alu instid0(VALU_DEP_1)
	v_lshl_or_b32 v1, ttmp9, 6, v1
	s_wait_kmcnt 0x0
	s_cmp_lg_u64 s[4:5], 0
	s_cbranch_scc0 .LBB110_11
; %bb.6:
	s_load_b32 s6, s[0:1], 0x10
	s_mov_b32 s7, 0
                                        ; implicit-def: $vgpr2
	s_wait_kmcnt 0x0
	v_cmp_gt_i32_e32 vcc_lo, s6, v1
	s_mov_b32 s6, 0
	s_and_saveexec_b32 s8, vcc_lo
	s_delay_alu instid0(SALU_CYCLE_1)
	s_xor_b32 s8, exec_lo, s8
	s_cbranch_execz .LBB110_8
; %bb.7:
	v_ashrrev_i32_e32 v2, 31, v1
	s_mov_b32 s6, exec_lo
	s_delay_alu instid0(VALU_DEP_1) | instskip(NEXT) | instid1(VALU_DEP_1)
	v_lshlrev_b64_e32 v[2:3], 2, v[1:2]
	v_add_co_u32 v2, vcc_lo, s4, v2
	s_delay_alu instid0(VALU_DEP_1)
	v_add_co_ci_u32_e64 v3, null, s5, v3, vcc_lo
	global_load_b32 v2, v[2:3], off
	s_wait_loadcnt 0x0
	v_subrev_nc_u32_e32 v2, s16, v2
.LBB110_8:
	s_or_b32 exec_lo, exec_lo, s8
	s_delay_alu instid0(SALU_CYCLE_1)
	s_and_b32 vcc_lo, exec_lo, s7
	s_wait_alu 0xfffe
	s_cbranch_vccz .LBB110_12
.LBB110_9:
	v_cmp_gt_i32_e32 vcc_lo, s2, v1
	s_and_not1_b32 s2, s6, exec_lo
	s_and_b32 s4, vcc_lo, exec_lo
	s_wait_alu 0xfffe
	s_or_b32 s6, s2, s4
	s_wait_alu 0xfffe
	s_and_saveexec_b32 s2, s6
	s_cbranch_execnz .LBB110_13
.LBB110_10:
	s_endpgm
.LBB110_11:
                                        ; implicit-def: $vgpr2
	s_cbranch_execnz .LBB110_9
.LBB110_12:
	v_mov_b32_e32 v1, v2
	s_and_saveexec_b32 s2, s6
	s_cbranch_execz .LBB110_10
.LBB110_13:
	s_load_b256 s[4:11], s[0:1], 0x20
	s_delay_alu instid0(VALU_DEP_1) | instskip(SKIP_2) | instid1(VALU_DEP_3)
	v_ashrrev_i32_e32 v2, 31, v1
	v_and_b32_e32 v0, 3, v0
	v_mov_b32_e32 v14, 0
	v_lshlrev_b64_e32 v[2:3], 3, v[1:2]
	s_wait_kmcnt 0x0
	s_delay_alu instid0(VALU_DEP_1) | instskip(SKIP_1) | instid1(VALU_DEP_2)
	v_add_co_u32 v4, vcc_lo, s4, v2
	s_wait_alu 0xfffd
	v_add_co_ci_u32_e64 v5, null, s5, v3, vcc_lo
	v_add_co_u32 v2, vcc_lo, s6, v2
	s_wait_alu 0xfffd
	v_add_co_ci_u32_e64 v3, null, s7, v3, vcc_lo
	global_load_b64 v[6:7], v[4:5], off
	v_add_co_u32 v4, vcc_lo, v4, 8
	s_wait_alu 0xfffd
	v_add_co_ci_u32_e64 v5, null, 0, v5, vcc_lo
	s_cmp_eq_u64 s[6:7], 0
	s_load_b64 s[4:5], s[0:1], 0x40
	s_cselect_b32 vcc_lo, -1, 0
	s_cmp_eq_u32 s3, 1
	s_wait_alu 0xfffe
	v_dual_cndmask_b32 v3, v3, v5 :: v_dual_cndmask_b32 v2, v2, v4
	global_load_b64 v[8:9], v[2:3], off
	s_wait_loadcnt 0x1
	v_sub_co_u32 v2, vcc_lo, v6, s16
	s_wait_alu 0xfffd
	v_subrev_co_ci_u32_e64 v3, null, 0, v7, vcc_lo
	s_delay_alu instid0(VALU_DEP_2) | instskip(SKIP_1) | instid1(VALU_DEP_2)
	v_add_co_u32 v2, vcc_lo, v2, v0
	s_wait_alu 0xfffd
	v_add_co_ci_u32_e64 v3, null, 0, v3, vcc_lo
	s_delay_alu instid0(VALU_DEP_2) | instskip(NEXT) | instid1(VALU_DEP_1)
	v_mad_co_u64_u32 v[4:5], null, v2, 18, s[10:11]
	v_mad_co_u64_u32 v[5:6], null, v3, 18, v[5:6]
	s_wait_loadcnt 0x0
	v_sub_co_u32 v6, vcc_lo, v8, s16
	s_wait_alu 0xfffd
	v_subrev_co_ci_u32_e64 v7, null, 0, v9, vcc_lo
	s_delay_alu instid0(VALU_DEP_1)
	v_cmp_lt_i64_e64 s2, v[2:3], v[6:7]
	s_cbranch_scc1 .LBB110_19
; %bb.14:
	v_dual_mov_b32 v15, 0 :: v_dual_mov_b32 v16, 0
	s_and_saveexec_b32 s6, s2
	s_cbranch_execz .LBB110_18
; %bb.15:
	v_lshlrev_b64_e32 v[10:11], 2, v[2:3]
	v_dual_mov_b32 v14, 0 :: v_dual_mov_b32 v9, v5
	v_dual_mov_b32 v8, v4 :: v_dual_mov_b32 v13, v3
	;; [unrolled: 1-line block ×3, first 2 shown]
	s_delay_alu instid0(VALU_DEP_4)
	v_add_co_u32 v10, vcc_lo, s8, v10
	s_wait_alu 0xfffd
	v_add_co_ci_u32_e64 v11, null, s9, v11, vcc_lo
	v_mov_b32_e32 v16, 0
	s_mov_b32 s7, 0
.LBB110_16:                             ; =>This Inner Loop Header: Depth=1
	global_load_b32 v17, v[10:11], off
	s_wait_loadcnt 0x0
	v_subrev_nc_u32_e32 v17, s16, v17
	s_delay_alu instid0(VALU_DEP_1) | instskip(NEXT) | instid1(VALU_DEP_1)
	v_lshl_add_u32 v17, v17, 1, v17
	v_ashrrev_i32_e32 v18, 31, v17
	s_delay_alu instid0(VALU_DEP_1) | instskip(SKIP_1) | instid1(VALU_DEP_1)
	v_lshlrev_b64_e32 v[17:18], 1, v[17:18]
	s_wait_kmcnt 0x0
	v_add_co_u32 v21, vcc_lo, s4, v17
	s_wait_alu 0xfffd
	s_delay_alu instid0(VALU_DEP_2)
	v_add_co_ci_u32_e64 v22, null, s5, v18, vcc_lo
	v_add_co_u32 v12, vcc_lo, v12, 4
	global_load_b128 v[17:20], v[8:9], off
	global_load_b32 v23, v[21:22], off
	global_load_u16 v24, v[8:9], off offset:16
	global_load_u16 v21, v[21:22], off offset:4
	s_wait_alu 0xfffd
	v_add_co_ci_u32_e64 v13, null, 0, v13, vcc_lo
	v_add_co_u32 v8, vcc_lo, 0x48, v8
	s_wait_alu 0xfffd
	v_add_co_ci_u32_e64 v9, null, 0, v9, vcc_lo
	s_delay_alu instid0(VALU_DEP_3) | instskip(SKIP_4) | instid1(VALU_DEP_3)
	v_cmp_ge_i64_e64 s3, v[12:13], v[6:7]
	v_add_co_u32 v10, vcc_lo, v10, 16
	s_wait_alu 0xfffd
	v_add_co_ci_u32_e64 v11, null, 0, v11, vcc_lo
	s_wait_alu 0xfffe
	s_or_b32 s7, s3, s7
	s_wait_loadcnt 0x2
	v_lshlrev_b32_e32 v28, 16, v23
	s_wait_loadcnt 0x0
	v_lshlrev_b32_e32 v21, 16, v21
	v_lshlrev_b32_e32 v26, 16, v19
	v_and_b32_e32 v23, 0xffff0000, v23
	v_lshlrev_b32_e32 v27, 16, v20
	v_lshlrev_b32_e32 v25, 16, v18
	v_and_b32_e32 v18, 0xffff0000, v18
	v_lshlrev_b32_e32 v22, 16, v17
	v_and_b32_e32 v20, 0xffff0000, v20
	s_delay_alu instid0(VALU_DEP_3) | instskip(NEXT) | instid1(VALU_DEP_3)
	v_fmac_f32_e32 v15, v18, v28
	v_dual_fmac_f32 v16, v22, v28 :: v_dual_and_b32 v17, 0xffff0000, v17
	v_lshlrev_b32_e32 v18, 16, v24
	s_delay_alu instid0(VALU_DEP_2) | instskip(SKIP_1) | instid1(VALU_DEP_1)
	v_fmac_f32_e32 v16, v17, v23
	v_fmac_f32_e32 v14, v27, v28
	;; [unrolled: 1-line block ×3, first 2 shown]
	s_delay_alu instid0(VALU_DEP_3) | instskip(NEXT) | instid1(VALU_DEP_2)
	v_dual_fmac_f32 v16, v25, v21 :: v_dual_and_b32 v19, 0xffff0000, v19
	v_fmac_f32_e32 v14, v18, v21
	v_fmac_f32_e32 v15, v26, v23
	s_delay_alu instid0(VALU_DEP_1)
	v_fmac_f32_e32 v15, v19, v21
	s_wait_alu 0xfffe
	s_and_not1_b32 exec_lo, exec_lo, s7
	s_cbranch_execnz .LBB110_16
; %bb.17:
	s_or_b32 exec_lo, exec_lo, s7
.LBB110_18:
	s_wait_alu 0xfffe
	s_or_b32 exec_lo, exec_lo, s6
	s_cbranch_execz .LBB110_20
	s_branch .LBB110_25
.LBB110_19:
                                        ; implicit-def: $vgpr14
                                        ; implicit-def: $vgpr15
                                        ; implicit-def: $vgpr16
.LBB110_20:
	v_dual_mov_b32 v14, 0 :: v_dual_mov_b32 v15, 0
	v_mov_b32_e32 v16, 0
	s_and_saveexec_b32 s3, s2
	s_cbranch_execz .LBB110_24
; %bb.21:
	v_lshlrev_b64_e32 v[8:9], 2, v[2:3]
	v_dual_mov_b32 v14, 0 :: v_dual_mov_b32 v15, 0
	v_mov_b32_e32 v16, 0
	s_mov_b32 s6, 0
	s_delay_alu instid0(VALU_DEP_3)
	v_add_co_u32 v8, vcc_lo, s8, v8
	s_wait_alu 0xfffd
	v_add_co_ci_u32_e64 v9, null, s9, v9, vcc_lo
.LBB110_22:                             ; =>This Inner Loop Header: Depth=1
	global_load_b32 v10, v[8:9], off
	s_wait_loadcnt 0x0
	v_subrev_nc_u32_e32 v10, s16, v10
	s_delay_alu instid0(VALU_DEP_1) | instskip(NEXT) | instid1(VALU_DEP_1)
	v_lshl_add_u32 v10, v10, 1, v10
	v_ashrrev_i32_e32 v11, 31, v10
	s_delay_alu instid0(VALU_DEP_1) | instskip(SKIP_1) | instid1(VALU_DEP_1)
	v_lshlrev_b64_e32 v[10:11], 1, v[10:11]
	s_wait_kmcnt 0x0
	v_add_co_u32 v17, vcc_lo, s4, v10
	s_wait_alu 0xfffd
	s_delay_alu instid0(VALU_DEP_2)
	v_add_co_ci_u32_e64 v18, null, s5, v11, vcc_lo
	v_add_co_u32 v2, vcc_lo, v2, 4
	global_load_b128 v[10:13], v[4:5], off
	global_load_b32 v19, v[17:18], off
	global_load_u16 v20, v[4:5], off offset:16
	global_load_u16 v17, v[17:18], off offset:4
	s_wait_alu 0xfffd
	v_add_co_ci_u32_e64 v3, null, 0, v3, vcc_lo
	v_add_co_u32 v4, vcc_lo, 0x48, v4
	s_wait_alu 0xfffd
	v_add_co_ci_u32_e64 v5, null, 0, v5, vcc_lo
	s_delay_alu instid0(VALU_DEP_3) | instskip(SKIP_4) | instid1(VALU_DEP_3)
	v_cmp_ge_i64_e64 s2, v[2:3], v[6:7]
	v_add_co_u32 v8, vcc_lo, v8, 16
	s_wait_alu 0xfffd
	v_add_co_ci_u32_e64 v9, null, 0, v9, vcc_lo
	s_wait_alu 0xfffe
	s_or_b32 s6, s2, s6
	s_wait_loadcnt 0x2
	v_lshlrev_b32_e32 v24, 16, v19
	v_lshlrev_b32_e32 v18, 16, v10
	s_wait_loadcnt 0x0
	v_lshlrev_b32_e32 v17, 16, v17
	v_and_b32_e32 v19, 0xffff0000, v19
	v_lshlrev_b32_e32 v23, 16, v13
	v_and_b32_e32 v13, 0xffff0000, v13
	;; [unrolled: 2-line block ×3, first 2 shown]
	v_and_b32_e32 v12, 0xffff0000, v12
	s_delay_alu instid0(VALU_DEP_2) | instskip(SKIP_3) | instid1(VALU_DEP_3)
	v_fmac_f32_e32 v15, v10, v24
	v_dual_fmac_f32 v16, v18, v24 :: v_dual_lshlrev_b32 v21, 16, v11
	v_and_b32_e32 v11, 0xffff0000, v11
	v_lshlrev_b32_e32 v10, 16, v20
	v_fmac_f32_e32 v14, v21, v24
	s_delay_alu instid0(VALU_DEP_3) | instskip(NEXT) | instid1(VALU_DEP_1)
	v_fmac_f32_e32 v16, v11, v19
	v_dual_fmac_f32 v16, v23, v17 :: v_dual_fmac_f32 v15, v22, v19
	s_delay_alu instid0(VALU_DEP_1) | instskip(NEXT) | instid1(VALU_DEP_1)
	v_dual_fmac_f32 v14, v12, v19 :: v_dual_fmac_f32 v15, v13, v17
	v_fmac_f32_e32 v14, v10, v17
	s_wait_alu 0xfffe
	s_and_not1_b32 exec_lo, exec_lo, s6
	s_cbranch_execnz .LBB110_22
; %bb.23:
	s_or_b32 exec_lo, exec_lo, s6
.LBB110_24:
	s_wait_alu 0xfffe
	s_or_b32 exec_lo, exec_lo, s3
.LBB110_25:
	v_mbcnt_lo_u32_b32 v2, -1, 0
	s_mov_b32 s2, -1
	s_delay_alu instid0(VALU_DEP_1) | instskip(NEXT) | instid1(VALU_DEP_1)
	v_xor_b32_e32 v3, 2, v2
	v_cmp_gt_i32_e32 vcc_lo, 32, v3
	s_wait_alu 0xfffd
	v_cndmask_b32_e32 v3, v2, v3, vcc_lo
	s_delay_alu instid0(VALU_DEP_1) | instskip(SKIP_4) | instid1(VALU_DEP_1)
	v_lshlrev_b32_e32 v3, 2, v3
	ds_bpermute_b32 v4, v3, v16
	ds_bpermute_b32 v5, v3, v15
	;; [unrolled: 1-line block ×3, first 2 shown]
	v_xor_b32_e32 v3, 1, v2
	v_cmp_gt_i32_e32 vcc_lo, 32, v3
	s_wait_alu 0xfffd
	v_cndmask_b32_e32 v2, v2, v3, vcc_lo
	v_cmp_eq_u32_e32 vcc_lo, 3, v0
	s_wait_dscnt 0x1
	v_add_f32_e32 v3, v15, v5
	s_delay_alu instid0(VALU_DEP_3)
	v_dual_add_f32 v2, v16, v4 :: v_dual_lshlrev_b32 v7, 2, v2
	s_wait_dscnt 0x0
	v_add_f32_e32 v4, v14, v6
	ds_bpermute_b32 v6, v7, v3
	ds_bpermute_b32 v5, v7, v2
	;; [unrolled: 1-line block ×3, first 2 shown]
	s_and_b32 exec_lo, exec_lo, vcc_lo
	s_cbranch_execz .LBB110_10
; %bb.26:
	s_load_b64 s[0:1], s[0:1], 0x50
	s_wait_dscnt 0x1
	v_add_f32_e32 v0, v2, v5
	v_add_f32_e32 v2, v3, v6
	s_wait_dscnt 0x0
	v_add_f32_e32 v4, v4, v7
	v_lshl_add_u32 v3, v1, 1, v1
	s_cmp_eq_f32 s12, 0
	v_dual_mul_f32 v1, s14, v2 :: v_dual_mul_f32 v0, s14, v0
	s_delay_alu instid0(VALU_DEP_3) | instskip(NEXT) | instid1(VALU_DEP_3)
	v_mul_f32_e32 v2, s14, v4
	v_ashrrev_i32_e32 v4, 31, v3
	s_cbranch_scc0 .LBB110_28
; %bb.27:
	s_delay_alu instid0(VALU_DEP_1) | instskip(SKIP_2) | instid1(VALU_DEP_1)
	v_lshlrev_b64_e32 v[5:6], 2, v[3:4]
	s_mov_b32 s2, 0
	s_wait_kmcnt 0x0
	v_add_co_u32 v5, vcc_lo, s0, v5
	s_wait_alu 0xfffd
	s_delay_alu instid0(VALU_DEP_2)
	v_add_co_ci_u32_e64 v6, null, s1, v6, vcc_lo
	global_store_b96 v[5:6], v[0:2], off
.LBB110_28:
	s_wait_alu 0xfffe
	s_and_not1_b32 vcc_lo, exec_lo, s2
	s_wait_alu 0xfffe
	s_cbranch_vccnz .LBB110_10
; %bb.29:
	v_lshlrev_b64_e32 v[3:4], 2, v[3:4]
	s_wait_kmcnt 0x0
	s_delay_alu instid0(VALU_DEP_1) | instskip(SKIP_1) | instid1(VALU_DEP_2)
	v_add_co_u32 v6, vcc_lo, s0, v3
	s_wait_alu 0xfffd
	v_add_co_ci_u32_e64 v7, null, s1, v4, vcc_lo
	global_load_b96 v[3:5], v[6:7], off
	s_wait_loadcnt 0x0
	v_dual_fmac_f32 v0, s12, v3 :: v_dual_fmac_f32 v1, s12, v4
	v_fmac_f32_e32 v2, s12, v5
	global_store_b96 v[6:7], v[0:2], off
	s_endpgm
	.section	.rodata,"a",@progbits
	.p2align	6, 0x0
	.amdhsa_kernel _ZN9rocsparseL18bsrxmvn_3x3_kernelILj256ELj4Efli18rocsparse_bfloat16S1_fEEvT3_20rocsparse_direction_NS_24const_host_device_scalarIT1_EES2_PKS2_PKT2_SB_S8_PKT4_PKT5_S6_PT6_21rocsparse_index_base_b
		.amdhsa_group_segment_fixed_size 0
		.amdhsa_private_segment_fixed_size 0
		.amdhsa_kernarg_size 96
		.amdhsa_user_sgpr_count 2
		.amdhsa_user_sgpr_dispatch_ptr 0
		.amdhsa_user_sgpr_queue_ptr 0
		.amdhsa_user_sgpr_kernarg_segment_ptr 1
		.amdhsa_user_sgpr_dispatch_id 0
		.amdhsa_user_sgpr_private_segment_size 0
		.amdhsa_wavefront_size32 1
		.amdhsa_uses_dynamic_stack 0
		.amdhsa_enable_private_segment 0
		.amdhsa_system_sgpr_workgroup_id_x 1
		.amdhsa_system_sgpr_workgroup_id_y 0
		.amdhsa_system_sgpr_workgroup_id_z 0
		.amdhsa_system_sgpr_workgroup_info 0
		.amdhsa_system_vgpr_workitem_id 0
		.amdhsa_next_free_vgpr 29
		.amdhsa_next_free_sgpr 18
		.amdhsa_reserve_vcc 1
		.amdhsa_float_round_mode_32 0
		.amdhsa_float_round_mode_16_64 0
		.amdhsa_float_denorm_mode_32 3
		.amdhsa_float_denorm_mode_16_64 3
		.amdhsa_fp16_overflow 0
		.amdhsa_workgroup_processor_mode 1
		.amdhsa_memory_ordered 1
		.amdhsa_forward_progress 1
		.amdhsa_inst_pref_size 15
		.amdhsa_round_robin_scheduling 0
		.amdhsa_exception_fp_ieee_invalid_op 0
		.amdhsa_exception_fp_denorm_src 0
		.amdhsa_exception_fp_ieee_div_zero 0
		.amdhsa_exception_fp_ieee_overflow 0
		.amdhsa_exception_fp_ieee_underflow 0
		.amdhsa_exception_fp_ieee_inexact 0
		.amdhsa_exception_int_div_zero 0
	.end_amdhsa_kernel
	.section	.text._ZN9rocsparseL18bsrxmvn_3x3_kernelILj256ELj4Efli18rocsparse_bfloat16S1_fEEvT3_20rocsparse_direction_NS_24const_host_device_scalarIT1_EES2_PKS2_PKT2_SB_S8_PKT4_PKT5_S6_PT6_21rocsparse_index_base_b,"axG",@progbits,_ZN9rocsparseL18bsrxmvn_3x3_kernelILj256ELj4Efli18rocsparse_bfloat16S1_fEEvT3_20rocsparse_direction_NS_24const_host_device_scalarIT1_EES2_PKS2_PKT2_SB_S8_PKT4_PKT5_S6_PT6_21rocsparse_index_base_b,comdat
.Lfunc_end110:
	.size	_ZN9rocsparseL18bsrxmvn_3x3_kernelILj256ELj4Efli18rocsparse_bfloat16S1_fEEvT3_20rocsparse_direction_NS_24const_host_device_scalarIT1_EES2_PKS2_PKT2_SB_S8_PKT4_PKT5_S6_PT6_21rocsparse_index_base_b, .Lfunc_end110-_ZN9rocsparseL18bsrxmvn_3x3_kernelILj256ELj4Efli18rocsparse_bfloat16S1_fEEvT3_20rocsparse_direction_NS_24const_host_device_scalarIT1_EES2_PKS2_PKT2_SB_S8_PKT4_PKT5_S6_PT6_21rocsparse_index_base_b
                                        ; -- End function
	.set _ZN9rocsparseL18bsrxmvn_3x3_kernelILj256ELj4Efli18rocsparse_bfloat16S1_fEEvT3_20rocsparse_direction_NS_24const_host_device_scalarIT1_EES2_PKS2_PKT2_SB_S8_PKT4_PKT5_S6_PT6_21rocsparse_index_base_b.num_vgpr, 29
	.set _ZN9rocsparseL18bsrxmvn_3x3_kernelILj256ELj4Efli18rocsparse_bfloat16S1_fEEvT3_20rocsparse_direction_NS_24const_host_device_scalarIT1_EES2_PKS2_PKT2_SB_S8_PKT4_PKT5_S6_PT6_21rocsparse_index_base_b.num_agpr, 0
	.set _ZN9rocsparseL18bsrxmvn_3x3_kernelILj256ELj4Efli18rocsparse_bfloat16S1_fEEvT3_20rocsparse_direction_NS_24const_host_device_scalarIT1_EES2_PKS2_PKT2_SB_S8_PKT4_PKT5_S6_PT6_21rocsparse_index_base_b.numbered_sgpr, 18
	.set _ZN9rocsparseL18bsrxmvn_3x3_kernelILj256ELj4Efli18rocsparse_bfloat16S1_fEEvT3_20rocsparse_direction_NS_24const_host_device_scalarIT1_EES2_PKS2_PKT2_SB_S8_PKT4_PKT5_S6_PT6_21rocsparse_index_base_b.num_named_barrier, 0
	.set _ZN9rocsparseL18bsrxmvn_3x3_kernelILj256ELj4Efli18rocsparse_bfloat16S1_fEEvT3_20rocsparse_direction_NS_24const_host_device_scalarIT1_EES2_PKS2_PKT2_SB_S8_PKT4_PKT5_S6_PT6_21rocsparse_index_base_b.private_seg_size, 0
	.set _ZN9rocsparseL18bsrxmvn_3x3_kernelILj256ELj4Efli18rocsparse_bfloat16S1_fEEvT3_20rocsparse_direction_NS_24const_host_device_scalarIT1_EES2_PKS2_PKT2_SB_S8_PKT4_PKT5_S6_PT6_21rocsparse_index_base_b.uses_vcc, 1
	.set _ZN9rocsparseL18bsrxmvn_3x3_kernelILj256ELj4Efli18rocsparse_bfloat16S1_fEEvT3_20rocsparse_direction_NS_24const_host_device_scalarIT1_EES2_PKS2_PKT2_SB_S8_PKT4_PKT5_S6_PT6_21rocsparse_index_base_b.uses_flat_scratch, 0
	.set _ZN9rocsparseL18bsrxmvn_3x3_kernelILj256ELj4Efli18rocsparse_bfloat16S1_fEEvT3_20rocsparse_direction_NS_24const_host_device_scalarIT1_EES2_PKS2_PKT2_SB_S8_PKT4_PKT5_S6_PT6_21rocsparse_index_base_b.has_dyn_sized_stack, 0
	.set _ZN9rocsparseL18bsrxmvn_3x3_kernelILj256ELj4Efli18rocsparse_bfloat16S1_fEEvT3_20rocsparse_direction_NS_24const_host_device_scalarIT1_EES2_PKS2_PKT2_SB_S8_PKT4_PKT5_S6_PT6_21rocsparse_index_base_b.has_recursion, 0
	.set _ZN9rocsparseL18bsrxmvn_3x3_kernelILj256ELj4Efli18rocsparse_bfloat16S1_fEEvT3_20rocsparse_direction_NS_24const_host_device_scalarIT1_EES2_PKS2_PKT2_SB_S8_PKT4_PKT5_S6_PT6_21rocsparse_index_base_b.has_indirect_call, 0
	.section	.AMDGPU.csdata,"",@progbits
; Kernel info:
; codeLenInByte = 1804
; TotalNumSgprs: 20
; NumVgprs: 29
; ScratchSize: 0
; MemoryBound: 0
; FloatMode: 240
; IeeeMode: 1
; LDSByteSize: 0 bytes/workgroup (compile time only)
; SGPRBlocks: 0
; VGPRBlocks: 3
; NumSGPRsForWavesPerEU: 20
; NumVGPRsForWavesPerEU: 29
; Occupancy: 16
; WaveLimiterHint : 1
; COMPUTE_PGM_RSRC2:SCRATCH_EN: 0
; COMPUTE_PGM_RSRC2:USER_SGPR: 2
; COMPUTE_PGM_RSRC2:TRAP_HANDLER: 0
; COMPUTE_PGM_RSRC2:TGID_X_EN: 1
; COMPUTE_PGM_RSRC2:TGID_Y_EN: 0
; COMPUTE_PGM_RSRC2:TGID_Z_EN: 0
; COMPUTE_PGM_RSRC2:TIDIG_COMP_CNT: 0
	.section	.text._ZN9rocsparseL18bsrxmvn_3x3_kernelILj256ELj8Efli18rocsparse_bfloat16S1_fEEvT3_20rocsparse_direction_NS_24const_host_device_scalarIT1_EES2_PKS2_PKT2_SB_S8_PKT4_PKT5_S6_PT6_21rocsparse_index_base_b,"axG",@progbits,_ZN9rocsparseL18bsrxmvn_3x3_kernelILj256ELj8Efli18rocsparse_bfloat16S1_fEEvT3_20rocsparse_direction_NS_24const_host_device_scalarIT1_EES2_PKS2_PKT2_SB_S8_PKT4_PKT5_S6_PT6_21rocsparse_index_base_b,comdat
	.globl	_ZN9rocsparseL18bsrxmvn_3x3_kernelILj256ELj8Efli18rocsparse_bfloat16S1_fEEvT3_20rocsparse_direction_NS_24const_host_device_scalarIT1_EES2_PKS2_PKT2_SB_S8_PKT4_PKT5_S6_PT6_21rocsparse_index_base_b ; -- Begin function _ZN9rocsparseL18bsrxmvn_3x3_kernelILj256ELj8Efli18rocsparse_bfloat16S1_fEEvT3_20rocsparse_direction_NS_24const_host_device_scalarIT1_EES2_PKS2_PKT2_SB_S8_PKT4_PKT5_S6_PT6_21rocsparse_index_base_b
	.p2align	8
	.type	_ZN9rocsparseL18bsrxmvn_3x3_kernelILj256ELj8Efli18rocsparse_bfloat16S1_fEEvT3_20rocsparse_direction_NS_24const_host_device_scalarIT1_EES2_PKS2_PKT2_SB_S8_PKT4_PKT5_S6_PT6_21rocsparse_index_base_b,@function
_ZN9rocsparseL18bsrxmvn_3x3_kernelILj256ELj8Efli18rocsparse_bfloat16S1_fEEvT3_20rocsparse_direction_NS_24const_host_device_scalarIT1_EES2_PKS2_PKT2_SB_S8_PKT4_PKT5_S6_PT6_21rocsparse_index_base_b: ; @_ZN9rocsparseL18bsrxmvn_3x3_kernelILj256ELj8Efli18rocsparse_bfloat16S1_fEEvT3_20rocsparse_direction_NS_24const_host_device_scalarIT1_EES2_PKS2_PKT2_SB_S8_PKT4_PKT5_S6_PT6_21rocsparse_index_base_b
; %bb.0:
	s_clause 0x2
	s_load_b64 s[16:17], s[0:1], 0x58
	s_load_b64 s[14:15], s[0:1], 0x8
	;; [unrolled: 1-line block ×3, first 2 shown]
	s_wait_kmcnt 0x0
	s_bitcmp1_b32 s17, 0
	s_cselect_b32 s2, -1, 0
	s_delay_alu instid0(SALU_CYCLE_1)
	s_and_b32 vcc_lo, exec_lo, s2
	s_xor_b32 s2, s2, -1
	s_cbranch_vccnz .LBB111_2
; %bb.1:
	s_load_b32 s14, s[14:15], 0x0
.LBB111_2:
	s_and_not1_b32 vcc_lo, exec_lo, s2
	s_cbranch_vccnz .LBB111_4
; %bb.3:
	s_load_b32 s12, s[12:13], 0x0
.LBB111_4:
	s_wait_kmcnt 0x0
	s_cmp_neq_f32 s14, 0
	s_mov_b32 s6, 0
	s_cselect_b32 s2, -1, 0
	s_cmp_neq_f32 s12, 1.0
	s_cselect_b32 s3, -1, 0
	s_delay_alu instid0(SALU_CYCLE_1) | instskip(NEXT) | instid1(SALU_CYCLE_1)
	s_or_b32 s2, s2, s3
	s_and_not1_b32 vcc_lo, exec_lo, s2
	s_cbranch_vccnz .LBB111_10
; %bb.5:
	s_clause 0x1
	s_load_b64 s[4:5], s[0:1], 0x18
	s_load_b64 s[2:3], s[0:1], 0x0
	v_lshrrev_b32_e32 v1, 3, v0
	s_delay_alu instid0(VALU_DEP_1)
	v_lshl_or_b32 v1, ttmp9, 5, v1
	s_wait_kmcnt 0x0
	s_cmp_lg_u64 s[4:5], 0
	s_cbranch_scc0 .LBB111_11
; %bb.6:
	s_load_b32 s6, s[0:1], 0x10
	s_mov_b32 s7, 0
                                        ; implicit-def: $vgpr2
	s_wait_kmcnt 0x0
	v_cmp_gt_i32_e32 vcc_lo, s6, v1
	s_mov_b32 s6, 0
	s_and_saveexec_b32 s8, vcc_lo
	s_delay_alu instid0(SALU_CYCLE_1)
	s_xor_b32 s8, exec_lo, s8
	s_cbranch_execz .LBB111_8
; %bb.7:
	v_ashrrev_i32_e32 v2, 31, v1
	s_mov_b32 s6, exec_lo
	s_delay_alu instid0(VALU_DEP_1) | instskip(NEXT) | instid1(VALU_DEP_1)
	v_lshlrev_b64_e32 v[2:3], 2, v[1:2]
	v_add_co_u32 v2, vcc_lo, s4, v2
	s_delay_alu instid0(VALU_DEP_1)
	v_add_co_ci_u32_e64 v3, null, s5, v3, vcc_lo
	global_load_b32 v2, v[2:3], off
	s_wait_loadcnt 0x0
	v_subrev_nc_u32_e32 v2, s16, v2
.LBB111_8:
	s_or_b32 exec_lo, exec_lo, s8
	s_delay_alu instid0(SALU_CYCLE_1)
	s_and_b32 vcc_lo, exec_lo, s7
	s_wait_alu 0xfffe
	s_cbranch_vccz .LBB111_12
.LBB111_9:
	v_cmp_gt_i32_e32 vcc_lo, s2, v1
	s_and_not1_b32 s2, s6, exec_lo
	s_and_b32 s4, vcc_lo, exec_lo
	s_wait_alu 0xfffe
	s_or_b32 s6, s2, s4
	s_wait_alu 0xfffe
	s_and_saveexec_b32 s2, s6
	s_cbranch_execnz .LBB111_13
.LBB111_10:
	s_endpgm
.LBB111_11:
                                        ; implicit-def: $vgpr2
	s_cbranch_execnz .LBB111_9
.LBB111_12:
	v_mov_b32_e32 v1, v2
	s_and_saveexec_b32 s2, s6
	s_cbranch_execz .LBB111_10
.LBB111_13:
	s_load_b256 s[4:11], s[0:1], 0x20
	s_delay_alu instid0(VALU_DEP_1) | instskip(SKIP_2) | instid1(VALU_DEP_3)
	v_ashrrev_i32_e32 v2, 31, v1
	v_and_b32_e32 v0, 7, v0
	v_mov_b32_e32 v14, 0
	v_lshlrev_b64_e32 v[2:3], 3, v[1:2]
	s_wait_kmcnt 0x0
	s_delay_alu instid0(VALU_DEP_1) | instskip(SKIP_1) | instid1(VALU_DEP_2)
	v_add_co_u32 v4, vcc_lo, s4, v2
	s_wait_alu 0xfffd
	v_add_co_ci_u32_e64 v5, null, s5, v3, vcc_lo
	v_add_co_u32 v2, vcc_lo, s6, v2
	s_wait_alu 0xfffd
	v_add_co_ci_u32_e64 v3, null, s7, v3, vcc_lo
	global_load_b64 v[6:7], v[4:5], off
	v_add_co_u32 v4, vcc_lo, v4, 8
	s_wait_alu 0xfffd
	v_add_co_ci_u32_e64 v5, null, 0, v5, vcc_lo
	s_cmp_eq_u64 s[6:7], 0
	s_load_b64 s[4:5], s[0:1], 0x40
	s_cselect_b32 vcc_lo, -1, 0
	s_cmp_eq_u32 s3, 1
	s_wait_alu 0xfffe
	v_dual_cndmask_b32 v3, v3, v5 :: v_dual_cndmask_b32 v2, v2, v4
	global_load_b64 v[8:9], v[2:3], off
	s_wait_loadcnt 0x1
	v_sub_co_u32 v2, vcc_lo, v6, s16
	s_wait_alu 0xfffd
	v_subrev_co_ci_u32_e64 v3, null, 0, v7, vcc_lo
	s_delay_alu instid0(VALU_DEP_2) | instskip(SKIP_1) | instid1(VALU_DEP_2)
	v_add_co_u32 v2, vcc_lo, v2, v0
	s_wait_alu 0xfffd
	v_add_co_ci_u32_e64 v3, null, 0, v3, vcc_lo
	s_delay_alu instid0(VALU_DEP_2) | instskip(NEXT) | instid1(VALU_DEP_1)
	v_mad_co_u64_u32 v[4:5], null, v2, 18, s[10:11]
	v_mad_co_u64_u32 v[5:6], null, v3, 18, v[5:6]
	s_wait_loadcnt 0x0
	v_sub_co_u32 v6, vcc_lo, v8, s16
	s_wait_alu 0xfffd
	v_subrev_co_ci_u32_e64 v7, null, 0, v9, vcc_lo
	s_delay_alu instid0(VALU_DEP_1)
	v_cmp_lt_i64_e64 s2, v[2:3], v[6:7]
	s_cbranch_scc1 .LBB111_19
; %bb.14:
	v_dual_mov_b32 v15, 0 :: v_dual_mov_b32 v16, 0
	s_and_saveexec_b32 s6, s2
	s_cbranch_execz .LBB111_18
; %bb.15:
	v_lshlrev_b64_e32 v[10:11], 2, v[2:3]
	v_dual_mov_b32 v14, 0 :: v_dual_mov_b32 v9, v5
	v_dual_mov_b32 v8, v4 :: v_dual_mov_b32 v13, v3
	;; [unrolled: 1-line block ×3, first 2 shown]
	s_delay_alu instid0(VALU_DEP_4)
	v_add_co_u32 v10, vcc_lo, s8, v10
	s_wait_alu 0xfffd
	v_add_co_ci_u32_e64 v11, null, s9, v11, vcc_lo
	v_mov_b32_e32 v16, 0
	s_mov_b32 s7, 0
.LBB111_16:                             ; =>This Inner Loop Header: Depth=1
	global_load_b32 v17, v[10:11], off
	s_wait_loadcnt 0x0
	v_subrev_nc_u32_e32 v17, s16, v17
	s_delay_alu instid0(VALU_DEP_1) | instskip(NEXT) | instid1(VALU_DEP_1)
	v_lshl_add_u32 v17, v17, 1, v17
	v_ashrrev_i32_e32 v18, 31, v17
	s_delay_alu instid0(VALU_DEP_1) | instskip(SKIP_1) | instid1(VALU_DEP_1)
	v_lshlrev_b64_e32 v[17:18], 1, v[17:18]
	s_wait_kmcnt 0x0
	v_add_co_u32 v21, vcc_lo, s4, v17
	s_wait_alu 0xfffd
	s_delay_alu instid0(VALU_DEP_2)
	v_add_co_ci_u32_e64 v22, null, s5, v18, vcc_lo
	v_add_co_u32 v12, vcc_lo, v12, 8
	global_load_b128 v[17:20], v[8:9], off
	global_load_b32 v23, v[21:22], off
	global_load_u16 v24, v[8:9], off offset:16
	global_load_u16 v21, v[21:22], off offset:4
	s_wait_alu 0xfffd
	v_add_co_ci_u32_e64 v13, null, 0, v13, vcc_lo
	v_add_co_u32 v8, vcc_lo, 0x90, v8
	s_wait_alu 0xfffd
	v_add_co_ci_u32_e64 v9, null, 0, v9, vcc_lo
	s_delay_alu instid0(VALU_DEP_3) | instskip(SKIP_4) | instid1(VALU_DEP_3)
	v_cmp_ge_i64_e64 s3, v[12:13], v[6:7]
	v_add_co_u32 v10, vcc_lo, v10, 32
	s_wait_alu 0xfffd
	v_add_co_ci_u32_e64 v11, null, 0, v11, vcc_lo
	s_wait_alu 0xfffe
	s_or_b32 s7, s3, s7
	s_wait_loadcnt 0x2
	v_lshlrev_b32_e32 v28, 16, v23
	s_wait_loadcnt 0x0
	v_lshlrev_b32_e32 v21, 16, v21
	v_lshlrev_b32_e32 v26, 16, v19
	v_and_b32_e32 v23, 0xffff0000, v23
	v_lshlrev_b32_e32 v27, 16, v20
	v_lshlrev_b32_e32 v25, 16, v18
	v_and_b32_e32 v18, 0xffff0000, v18
	v_lshlrev_b32_e32 v22, 16, v17
	v_and_b32_e32 v20, 0xffff0000, v20
	s_delay_alu instid0(VALU_DEP_3) | instskip(NEXT) | instid1(VALU_DEP_3)
	v_fmac_f32_e32 v15, v18, v28
	v_dual_fmac_f32 v16, v22, v28 :: v_dual_and_b32 v17, 0xffff0000, v17
	v_lshlrev_b32_e32 v18, 16, v24
	s_delay_alu instid0(VALU_DEP_2) | instskip(SKIP_1) | instid1(VALU_DEP_1)
	v_fmac_f32_e32 v16, v17, v23
	v_fmac_f32_e32 v14, v27, v28
	;; [unrolled: 1-line block ×3, first 2 shown]
	s_delay_alu instid0(VALU_DEP_3) | instskip(NEXT) | instid1(VALU_DEP_2)
	v_dual_fmac_f32 v16, v25, v21 :: v_dual_and_b32 v19, 0xffff0000, v19
	v_fmac_f32_e32 v14, v18, v21
	v_fmac_f32_e32 v15, v26, v23
	s_delay_alu instid0(VALU_DEP_1)
	v_fmac_f32_e32 v15, v19, v21
	s_wait_alu 0xfffe
	s_and_not1_b32 exec_lo, exec_lo, s7
	s_cbranch_execnz .LBB111_16
; %bb.17:
	s_or_b32 exec_lo, exec_lo, s7
.LBB111_18:
	s_wait_alu 0xfffe
	s_or_b32 exec_lo, exec_lo, s6
	s_cbranch_execz .LBB111_20
	s_branch .LBB111_25
.LBB111_19:
                                        ; implicit-def: $vgpr14
                                        ; implicit-def: $vgpr15
                                        ; implicit-def: $vgpr16
.LBB111_20:
	v_dual_mov_b32 v14, 0 :: v_dual_mov_b32 v15, 0
	v_mov_b32_e32 v16, 0
	s_and_saveexec_b32 s3, s2
	s_cbranch_execz .LBB111_24
; %bb.21:
	v_lshlrev_b64_e32 v[8:9], 2, v[2:3]
	v_dual_mov_b32 v14, 0 :: v_dual_mov_b32 v15, 0
	v_mov_b32_e32 v16, 0
	s_mov_b32 s6, 0
	s_delay_alu instid0(VALU_DEP_3)
	v_add_co_u32 v8, vcc_lo, s8, v8
	s_wait_alu 0xfffd
	v_add_co_ci_u32_e64 v9, null, s9, v9, vcc_lo
.LBB111_22:                             ; =>This Inner Loop Header: Depth=1
	global_load_b32 v10, v[8:9], off
	s_wait_loadcnt 0x0
	v_subrev_nc_u32_e32 v10, s16, v10
	s_delay_alu instid0(VALU_DEP_1) | instskip(NEXT) | instid1(VALU_DEP_1)
	v_lshl_add_u32 v10, v10, 1, v10
	v_ashrrev_i32_e32 v11, 31, v10
	s_delay_alu instid0(VALU_DEP_1) | instskip(SKIP_1) | instid1(VALU_DEP_1)
	v_lshlrev_b64_e32 v[10:11], 1, v[10:11]
	s_wait_kmcnt 0x0
	v_add_co_u32 v17, vcc_lo, s4, v10
	s_wait_alu 0xfffd
	s_delay_alu instid0(VALU_DEP_2)
	v_add_co_ci_u32_e64 v18, null, s5, v11, vcc_lo
	v_add_co_u32 v2, vcc_lo, v2, 8
	global_load_b128 v[10:13], v[4:5], off
	global_load_b32 v19, v[17:18], off
	global_load_u16 v20, v[4:5], off offset:16
	global_load_u16 v17, v[17:18], off offset:4
	s_wait_alu 0xfffd
	v_add_co_ci_u32_e64 v3, null, 0, v3, vcc_lo
	v_add_co_u32 v4, vcc_lo, 0x90, v4
	s_wait_alu 0xfffd
	v_add_co_ci_u32_e64 v5, null, 0, v5, vcc_lo
	s_delay_alu instid0(VALU_DEP_3) | instskip(SKIP_4) | instid1(VALU_DEP_3)
	v_cmp_ge_i64_e64 s2, v[2:3], v[6:7]
	v_add_co_u32 v8, vcc_lo, v8, 32
	s_wait_alu 0xfffd
	v_add_co_ci_u32_e64 v9, null, 0, v9, vcc_lo
	s_wait_alu 0xfffe
	s_or_b32 s6, s2, s6
	s_wait_loadcnt 0x2
	v_lshlrev_b32_e32 v24, 16, v19
	v_lshlrev_b32_e32 v18, 16, v10
	s_wait_loadcnt 0x0
	v_lshlrev_b32_e32 v17, 16, v17
	v_and_b32_e32 v19, 0xffff0000, v19
	v_lshlrev_b32_e32 v23, 16, v13
	v_and_b32_e32 v13, 0xffff0000, v13
	;; [unrolled: 2-line block ×3, first 2 shown]
	v_and_b32_e32 v12, 0xffff0000, v12
	s_delay_alu instid0(VALU_DEP_2) | instskip(SKIP_3) | instid1(VALU_DEP_3)
	v_fmac_f32_e32 v15, v10, v24
	v_dual_fmac_f32 v16, v18, v24 :: v_dual_lshlrev_b32 v21, 16, v11
	v_and_b32_e32 v11, 0xffff0000, v11
	v_lshlrev_b32_e32 v10, 16, v20
	v_fmac_f32_e32 v14, v21, v24
	s_delay_alu instid0(VALU_DEP_3) | instskip(NEXT) | instid1(VALU_DEP_1)
	v_fmac_f32_e32 v16, v11, v19
	v_dual_fmac_f32 v16, v23, v17 :: v_dual_fmac_f32 v15, v22, v19
	s_delay_alu instid0(VALU_DEP_1) | instskip(NEXT) | instid1(VALU_DEP_1)
	v_dual_fmac_f32 v14, v12, v19 :: v_dual_fmac_f32 v15, v13, v17
	v_fmac_f32_e32 v14, v10, v17
	s_wait_alu 0xfffe
	s_and_not1_b32 exec_lo, exec_lo, s6
	s_cbranch_execnz .LBB111_22
; %bb.23:
	s_or_b32 exec_lo, exec_lo, s6
.LBB111_24:
	s_wait_alu 0xfffe
	s_or_b32 exec_lo, exec_lo, s3
.LBB111_25:
	v_mbcnt_lo_u32_b32 v2, -1, 0
	s_mov_b32 s2, -1
	s_delay_alu instid0(VALU_DEP_1) | instskip(SKIP_2) | instid1(VALU_DEP_3)
	v_xor_b32_e32 v3, 4, v2
	v_xor_b32_e32 v6, 2, v2
	;; [unrolled: 1-line block ×3, first 2 shown]
	v_cmp_gt_i32_e32 vcc_lo, 32, v3
	s_wait_alu 0xfffd
	v_cndmask_b32_e32 v3, v2, v3, vcc_lo
	v_cmp_gt_i32_e32 vcc_lo, 32, v6
	s_wait_alu 0xfffd
	v_cndmask_b32_e32 v6, v2, v6, vcc_lo
	v_cmp_gt_i32_e32 vcc_lo, 32, v9
	s_delay_alu instid0(VALU_DEP_2)
	v_lshlrev_b32_e32 v6, 2, v6
	v_lshlrev_b32_e32 v3, 2, v3
	ds_bpermute_b32 v4, v3, v16
	s_wait_dscnt 0x0
	v_add_f32_e32 v4, v16, v4
	ds_bpermute_b32 v5, v3, v15
	ds_bpermute_b32 v3, v3, v14
	s_wait_dscnt 0x1
	v_add_f32_e32 v5, v15, v5
	s_wait_dscnt 0x0
	v_add_f32_e32 v7, v14, v3
	ds_bpermute_b32 v3, v6, v4
	ds_bpermute_b32 v8, v6, v5
	;; [unrolled: 1-line block ×3, first 2 shown]
	s_wait_alu 0xfffd
	v_cndmask_b32_e32 v2, v2, v9, vcc_lo
	v_cmp_eq_u32_e32 vcc_lo, 7, v0
	s_wait_dscnt 0x2
	s_delay_alu instid0(VALU_DEP_2)
	v_dual_add_f32 v2, v4, v3 :: v_dual_lshlrev_b32 v9, 2, v2
	s_wait_dscnt 0x0
	v_dual_add_f32 v3, v5, v8 :: v_dual_add_f32 v4, v7, v6
	ds_bpermute_b32 v5, v9, v2
	ds_bpermute_b32 v6, v9, v3
	;; [unrolled: 1-line block ×3, first 2 shown]
	s_and_b32 exec_lo, exec_lo, vcc_lo
	s_cbranch_execz .LBB111_10
; %bb.26:
	s_load_b64 s[0:1], s[0:1], 0x50
	s_wait_dscnt 0x2
	v_add_f32_e32 v0, v2, v5
	s_wait_dscnt 0x1
	v_add_f32_e32 v2, v3, v6
	;; [unrolled: 2-line block ×3, first 2 shown]
	v_lshl_add_u32 v3, v1, 1, v1
	s_cmp_eq_f32 s12, 0
	v_dual_mul_f32 v1, s14, v2 :: v_dual_mul_f32 v0, s14, v0
	s_delay_alu instid0(VALU_DEP_3) | instskip(NEXT) | instid1(VALU_DEP_3)
	v_mul_f32_e32 v2, s14, v4
	v_ashrrev_i32_e32 v4, 31, v3
	s_cbranch_scc0 .LBB111_28
; %bb.27:
	s_delay_alu instid0(VALU_DEP_1) | instskip(SKIP_2) | instid1(VALU_DEP_1)
	v_lshlrev_b64_e32 v[5:6], 2, v[3:4]
	s_mov_b32 s2, 0
	s_wait_kmcnt 0x0
	v_add_co_u32 v5, vcc_lo, s0, v5
	s_wait_alu 0xfffd
	s_delay_alu instid0(VALU_DEP_2)
	v_add_co_ci_u32_e64 v6, null, s1, v6, vcc_lo
	global_store_b96 v[5:6], v[0:2], off
.LBB111_28:
	s_wait_alu 0xfffe
	s_and_not1_b32 vcc_lo, exec_lo, s2
	s_wait_alu 0xfffe
	s_cbranch_vccnz .LBB111_10
; %bb.29:
	v_lshlrev_b64_e32 v[3:4], 2, v[3:4]
	s_wait_kmcnt 0x0
	s_delay_alu instid0(VALU_DEP_1) | instskip(SKIP_1) | instid1(VALU_DEP_2)
	v_add_co_u32 v6, vcc_lo, s0, v3
	s_wait_alu 0xfffd
	v_add_co_ci_u32_e64 v7, null, s1, v4, vcc_lo
	global_load_b96 v[3:5], v[6:7], off
	s_wait_loadcnt 0x0
	v_dual_fmac_f32 v0, s12, v3 :: v_dual_fmac_f32 v1, s12, v4
	v_fmac_f32_e32 v2, s12, v5
	global_store_b96 v[6:7], v[0:2], off
	s_endpgm
	.section	.rodata,"a",@progbits
	.p2align	6, 0x0
	.amdhsa_kernel _ZN9rocsparseL18bsrxmvn_3x3_kernelILj256ELj8Efli18rocsparse_bfloat16S1_fEEvT3_20rocsparse_direction_NS_24const_host_device_scalarIT1_EES2_PKS2_PKT2_SB_S8_PKT4_PKT5_S6_PT6_21rocsparse_index_base_b
		.amdhsa_group_segment_fixed_size 0
		.amdhsa_private_segment_fixed_size 0
		.amdhsa_kernarg_size 96
		.amdhsa_user_sgpr_count 2
		.amdhsa_user_sgpr_dispatch_ptr 0
		.amdhsa_user_sgpr_queue_ptr 0
		.amdhsa_user_sgpr_kernarg_segment_ptr 1
		.amdhsa_user_sgpr_dispatch_id 0
		.amdhsa_user_sgpr_private_segment_size 0
		.amdhsa_wavefront_size32 1
		.amdhsa_uses_dynamic_stack 0
		.amdhsa_enable_private_segment 0
		.amdhsa_system_sgpr_workgroup_id_x 1
		.amdhsa_system_sgpr_workgroup_id_y 0
		.amdhsa_system_sgpr_workgroup_id_z 0
		.amdhsa_system_sgpr_workgroup_info 0
		.amdhsa_system_vgpr_workitem_id 0
		.amdhsa_next_free_vgpr 29
		.amdhsa_next_free_sgpr 18
		.amdhsa_reserve_vcc 1
		.amdhsa_float_round_mode_32 0
		.amdhsa_float_round_mode_16_64 0
		.amdhsa_float_denorm_mode_32 3
		.amdhsa_float_denorm_mode_16_64 3
		.amdhsa_fp16_overflow 0
		.amdhsa_workgroup_processor_mode 1
		.amdhsa_memory_ordered 1
		.amdhsa_forward_progress 1
		.amdhsa_inst_pref_size 15
		.amdhsa_round_robin_scheduling 0
		.amdhsa_exception_fp_ieee_invalid_op 0
		.amdhsa_exception_fp_denorm_src 0
		.amdhsa_exception_fp_ieee_div_zero 0
		.amdhsa_exception_fp_ieee_overflow 0
		.amdhsa_exception_fp_ieee_underflow 0
		.amdhsa_exception_fp_ieee_inexact 0
		.amdhsa_exception_int_div_zero 0
	.end_amdhsa_kernel
	.section	.text._ZN9rocsparseL18bsrxmvn_3x3_kernelILj256ELj8Efli18rocsparse_bfloat16S1_fEEvT3_20rocsparse_direction_NS_24const_host_device_scalarIT1_EES2_PKS2_PKT2_SB_S8_PKT4_PKT5_S6_PT6_21rocsparse_index_base_b,"axG",@progbits,_ZN9rocsparseL18bsrxmvn_3x3_kernelILj256ELj8Efli18rocsparse_bfloat16S1_fEEvT3_20rocsparse_direction_NS_24const_host_device_scalarIT1_EES2_PKS2_PKT2_SB_S8_PKT4_PKT5_S6_PT6_21rocsparse_index_base_b,comdat
.Lfunc_end111:
	.size	_ZN9rocsparseL18bsrxmvn_3x3_kernelILj256ELj8Efli18rocsparse_bfloat16S1_fEEvT3_20rocsparse_direction_NS_24const_host_device_scalarIT1_EES2_PKS2_PKT2_SB_S8_PKT4_PKT5_S6_PT6_21rocsparse_index_base_b, .Lfunc_end111-_ZN9rocsparseL18bsrxmvn_3x3_kernelILj256ELj8Efli18rocsparse_bfloat16S1_fEEvT3_20rocsparse_direction_NS_24const_host_device_scalarIT1_EES2_PKS2_PKT2_SB_S8_PKT4_PKT5_S6_PT6_21rocsparse_index_base_b
                                        ; -- End function
	.set _ZN9rocsparseL18bsrxmvn_3x3_kernelILj256ELj8Efli18rocsparse_bfloat16S1_fEEvT3_20rocsparse_direction_NS_24const_host_device_scalarIT1_EES2_PKS2_PKT2_SB_S8_PKT4_PKT5_S6_PT6_21rocsparse_index_base_b.num_vgpr, 29
	.set _ZN9rocsparseL18bsrxmvn_3x3_kernelILj256ELj8Efli18rocsparse_bfloat16S1_fEEvT3_20rocsparse_direction_NS_24const_host_device_scalarIT1_EES2_PKS2_PKT2_SB_S8_PKT4_PKT5_S6_PT6_21rocsparse_index_base_b.num_agpr, 0
	.set _ZN9rocsparseL18bsrxmvn_3x3_kernelILj256ELj8Efli18rocsparse_bfloat16S1_fEEvT3_20rocsparse_direction_NS_24const_host_device_scalarIT1_EES2_PKS2_PKT2_SB_S8_PKT4_PKT5_S6_PT6_21rocsparse_index_base_b.numbered_sgpr, 18
	.set _ZN9rocsparseL18bsrxmvn_3x3_kernelILj256ELj8Efli18rocsparse_bfloat16S1_fEEvT3_20rocsparse_direction_NS_24const_host_device_scalarIT1_EES2_PKS2_PKT2_SB_S8_PKT4_PKT5_S6_PT6_21rocsparse_index_base_b.num_named_barrier, 0
	.set _ZN9rocsparseL18bsrxmvn_3x3_kernelILj256ELj8Efli18rocsparse_bfloat16S1_fEEvT3_20rocsparse_direction_NS_24const_host_device_scalarIT1_EES2_PKS2_PKT2_SB_S8_PKT4_PKT5_S6_PT6_21rocsparse_index_base_b.private_seg_size, 0
	.set _ZN9rocsparseL18bsrxmvn_3x3_kernelILj256ELj8Efli18rocsparse_bfloat16S1_fEEvT3_20rocsparse_direction_NS_24const_host_device_scalarIT1_EES2_PKS2_PKT2_SB_S8_PKT4_PKT5_S6_PT6_21rocsparse_index_base_b.uses_vcc, 1
	.set _ZN9rocsparseL18bsrxmvn_3x3_kernelILj256ELj8Efli18rocsparse_bfloat16S1_fEEvT3_20rocsparse_direction_NS_24const_host_device_scalarIT1_EES2_PKS2_PKT2_SB_S8_PKT4_PKT5_S6_PT6_21rocsparse_index_base_b.uses_flat_scratch, 0
	.set _ZN9rocsparseL18bsrxmvn_3x3_kernelILj256ELj8Efli18rocsparse_bfloat16S1_fEEvT3_20rocsparse_direction_NS_24const_host_device_scalarIT1_EES2_PKS2_PKT2_SB_S8_PKT4_PKT5_S6_PT6_21rocsparse_index_base_b.has_dyn_sized_stack, 0
	.set _ZN9rocsparseL18bsrxmvn_3x3_kernelILj256ELj8Efli18rocsparse_bfloat16S1_fEEvT3_20rocsparse_direction_NS_24const_host_device_scalarIT1_EES2_PKS2_PKT2_SB_S8_PKT4_PKT5_S6_PT6_21rocsparse_index_base_b.has_recursion, 0
	.set _ZN9rocsparseL18bsrxmvn_3x3_kernelILj256ELj8Efli18rocsparse_bfloat16S1_fEEvT3_20rocsparse_direction_NS_24const_host_device_scalarIT1_EES2_PKS2_PKT2_SB_S8_PKT4_PKT5_S6_PT6_21rocsparse_index_base_b.has_indirect_call, 0
	.section	.AMDGPU.csdata,"",@progbits
; Kernel info:
; codeLenInByte = 1876
; TotalNumSgprs: 20
; NumVgprs: 29
; ScratchSize: 0
; MemoryBound: 0
; FloatMode: 240
; IeeeMode: 1
; LDSByteSize: 0 bytes/workgroup (compile time only)
; SGPRBlocks: 0
; VGPRBlocks: 3
; NumSGPRsForWavesPerEU: 20
; NumVGPRsForWavesPerEU: 29
; Occupancy: 16
; WaveLimiterHint : 1
; COMPUTE_PGM_RSRC2:SCRATCH_EN: 0
; COMPUTE_PGM_RSRC2:USER_SGPR: 2
; COMPUTE_PGM_RSRC2:TRAP_HANDLER: 0
; COMPUTE_PGM_RSRC2:TGID_X_EN: 1
; COMPUTE_PGM_RSRC2:TGID_Y_EN: 0
; COMPUTE_PGM_RSRC2:TGID_Z_EN: 0
; COMPUTE_PGM_RSRC2:TIDIG_COMP_CNT: 0
	.section	.text._ZN9rocsparseL18bsrxmvn_3x3_kernelILj256ELj16Efli18rocsparse_bfloat16S1_fEEvT3_20rocsparse_direction_NS_24const_host_device_scalarIT1_EES2_PKS2_PKT2_SB_S8_PKT4_PKT5_S6_PT6_21rocsparse_index_base_b,"axG",@progbits,_ZN9rocsparseL18bsrxmvn_3x3_kernelILj256ELj16Efli18rocsparse_bfloat16S1_fEEvT3_20rocsparse_direction_NS_24const_host_device_scalarIT1_EES2_PKS2_PKT2_SB_S8_PKT4_PKT5_S6_PT6_21rocsparse_index_base_b,comdat
	.globl	_ZN9rocsparseL18bsrxmvn_3x3_kernelILj256ELj16Efli18rocsparse_bfloat16S1_fEEvT3_20rocsparse_direction_NS_24const_host_device_scalarIT1_EES2_PKS2_PKT2_SB_S8_PKT4_PKT5_S6_PT6_21rocsparse_index_base_b ; -- Begin function _ZN9rocsparseL18bsrxmvn_3x3_kernelILj256ELj16Efli18rocsparse_bfloat16S1_fEEvT3_20rocsparse_direction_NS_24const_host_device_scalarIT1_EES2_PKS2_PKT2_SB_S8_PKT4_PKT5_S6_PT6_21rocsparse_index_base_b
	.p2align	8
	.type	_ZN9rocsparseL18bsrxmvn_3x3_kernelILj256ELj16Efli18rocsparse_bfloat16S1_fEEvT3_20rocsparse_direction_NS_24const_host_device_scalarIT1_EES2_PKS2_PKT2_SB_S8_PKT4_PKT5_S6_PT6_21rocsparse_index_base_b,@function
_ZN9rocsparseL18bsrxmvn_3x3_kernelILj256ELj16Efli18rocsparse_bfloat16S1_fEEvT3_20rocsparse_direction_NS_24const_host_device_scalarIT1_EES2_PKS2_PKT2_SB_S8_PKT4_PKT5_S6_PT6_21rocsparse_index_base_b: ; @_ZN9rocsparseL18bsrxmvn_3x3_kernelILj256ELj16Efli18rocsparse_bfloat16S1_fEEvT3_20rocsparse_direction_NS_24const_host_device_scalarIT1_EES2_PKS2_PKT2_SB_S8_PKT4_PKT5_S6_PT6_21rocsparse_index_base_b
; %bb.0:
	s_clause 0x2
	s_load_b64 s[16:17], s[0:1], 0x58
	s_load_b64 s[14:15], s[0:1], 0x8
	;; [unrolled: 1-line block ×3, first 2 shown]
	s_wait_kmcnt 0x0
	s_bitcmp1_b32 s17, 0
	s_cselect_b32 s2, -1, 0
	s_delay_alu instid0(SALU_CYCLE_1)
	s_and_b32 vcc_lo, exec_lo, s2
	s_xor_b32 s2, s2, -1
	s_cbranch_vccnz .LBB112_2
; %bb.1:
	s_load_b32 s14, s[14:15], 0x0
.LBB112_2:
	s_and_not1_b32 vcc_lo, exec_lo, s2
	s_cbranch_vccnz .LBB112_4
; %bb.3:
	s_load_b32 s12, s[12:13], 0x0
.LBB112_4:
	s_wait_kmcnt 0x0
	s_cmp_neq_f32 s14, 0
	s_mov_b32 s6, 0
	s_cselect_b32 s2, -1, 0
	s_cmp_neq_f32 s12, 1.0
	s_cselect_b32 s3, -1, 0
	s_delay_alu instid0(SALU_CYCLE_1) | instskip(NEXT) | instid1(SALU_CYCLE_1)
	s_or_b32 s2, s2, s3
	s_and_not1_b32 vcc_lo, exec_lo, s2
	s_cbranch_vccnz .LBB112_10
; %bb.5:
	s_clause 0x1
	s_load_b64 s[4:5], s[0:1], 0x18
	s_load_b64 s[2:3], s[0:1], 0x0
	v_lshrrev_b32_e32 v1, 4, v0
	s_delay_alu instid0(VALU_DEP_1)
	v_lshl_or_b32 v1, ttmp9, 4, v1
	s_wait_kmcnt 0x0
	s_cmp_lg_u64 s[4:5], 0
	s_cbranch_scc0 .LBB112_11
; %bb.6:
	s_load_b32 s6, s[0:1], 0x10
	s_mov_b32 s7, 0
                                        ; implicit-def: $vgpr2
	s_wait_kmcnt 0x0
	v_cmp_gt_i32_e32 vcc_lo, s6, v1
	s_mov_b32 s6, 0
	s_and_saveexec_b32 s8, vcc_lo
	s_delay_alu instid0(SALU_CYCLE_1)
	s_xor_b32 s8, exec_lo, s8
	s_cbranch_execz .LBB112_8
; %bb.7:
	v_ashrrev_i32_e32 v2, 31, v1
	s_mov_b32 s6, exec_lo
	s_delay_alu instid0(VALU_DEP_1) | instskip(NEXT) | instid1(VALU_DEP_1)
	v_lshlrev_b64_e32 v[2:3], 2, v[1:2]
	v_add_co_u32 v2, vcc_lo, s4, v2
	s_delay_alu instid0(VALU_DEP_1)
	v_add_co_ci_u32_e64 v3, null, s5, v3, vcc_lo
	global_load_b32 v2, v[2:3], off
	s_wait_loadcnt 0x0
	v_subrev_nc_u32_e32 v2, s16, v2
.LBB112_8:
	s_or_b32 exec_lo, exec_lo, s8
	s_delay_alu instid0(SALU_CYCLE_1)
	s_and_b32 vcc_lo, exec_lo, s7
	s_wait_alu 0xfffe
	s_cbranch_vccz .LBB112_12
.LBB112_9:
	v_cmp_gt_i32_e32 vcc_lo, s2, v1
	s_and_not1_b32 s2, s6, exec_lo
	s_and_b32 s4, vcc_lo, exec_lo
	s_wait_alu 0xfffe
	s_or_b32 s6, s2, s4
	s_wait_alu 0xfffe
	s_and_saveexec_b32 s2, s6
	s_cbranch_execnz .LBB112_13
.LBB112_10:
	s_endpgm
.LBB112_11:
                                        ; implicit-def: $vgpr2
	s_cbranch_execnz .LBB112_9
.LBB112_12:
	v_mov_b32_e32 v1, v2
	s_and_saveexec_b32 s2, s6
	s_cbranch_execz .LBB112_10
.LBB112_13:
	s_load_b256 s[4:11], s[0:1], 0x20
	s_delay_alu instid0(VALU_DEP_1) | instskip(SKIP_2) | instid1(VALU_DEP_3)
	v_ashrrev_i32_e32 v2, 31, v1
	v_and_b32_e32 v0, 15, v0
	v_mov_b32_e32 v14, 0
	v_lshlrev_b64_e32 v[2:3], 3, v[1:2]
	s_wait_kmcnt 0x0
	s_delay_alu instid0(VALU_DEP_1) | instskip(SKIP_1) | instid1(VALU_DEP_2)
	v_add_co_u32 v4, vcc_lo, s4, v2
	s_wait_alu 0xfffd
	v_add_co_ci_u32_e64 v5, null, s5, v3, vcc_lo
	v_add_co_u32 v2, vcc_lo, s6, v2
	s_wait_alu 0xfffd
	v_add_co_ci_u32_e64 v3, null, s7, v3, vcc_lo
	global_load_b64 v[6:7], v[4:5], off
	v_add_co_u32 v4, vcc_lo, v4, 8
	s_wait_alu 0xfffd
	v_add_co_ci_u32_e64 v5, null, 0, v5, vcc_lo
	s_cmp_eq_u64 s[6:7], 0
	s_load_b64 s[4:5], s[0:1], 0x40
	s_cselect_b32 vcc_lo, -1, 0
	s_cmp_eq_u32 s3, 1
	s_wait_alu 0xfffe
	v_dual_cndmask_b32 v3, v3, v5 :: v_dual_cndmask_b32 v2, v2, v4
	global_load_b64 v[8:9], v[2:3], off
	s_wait_loadcnt 0x1
	v_sub_co_u32 v2, vcc_lo, v6, s16
	s_wait_alu 0xfffd
	v_subrev_co_ci_u32_e64 v3, null, 0, v7, vcc_lo
	s_delay_alu instid0(VALU_DEP_2) | instskip(SKIP_1) | instid1(VALU_DEP_2)
	v_add_co_u32 v2, vcc_lo, v2, v0
	s_wait_alu 0xfffd
	v_add_co_ci_u32_e64 v3, null, 0, v3, vcc_lo
	s_delay_alu instid0(VALU_DEP_2) | instskip(NEXT) | instid1(VALU_DEP_1)
	v_mad_co_u64_u32 v[4:5], null, v2, 18, s[10:11]
	v_mad_co_u64_u32 v[5:6], null, v3, 18, v[5:6]
	s_wait_loadcnt 0x0
	v_sub_co_u32 v6, vcc_lo, v8, s16
	s_wait_alu 0xfffd
	v_subrev_co_ci_u32_e64 v7, null, 0, v9, vcc_lo
	s_delay_alu instid0(VALU_DEP_1)
	v_cmp_lt_i64_e64 s2, v[2:3], v[6:7]
	s_cbranch_scc1 .LBB112_19
; %bb.14:
	v_dual_mov_b32 v15, 0 :: v_dual_mov_b32 v16, 0
	s_and_saveexec_b32 s6, s2
	s_cbranch_execz .LBB112_18
; %bb.15:
	v_lshlrev_b64_e32 v[10:11], 2, v[2:3]
	v_dual_mov_b32 v14, 0 :: v_dual_mov_b32 v9, v5
	v_dual_mov_b32 v8, v4 :: v_dual_mov_b32 v13, v3
	;; [unrolled: 1-line block ×3, first 2 shown]
	s_delay_alu instid0(VALU_DEP_4)
	v_add_co_u32 v10, vcc_lo, s8, v10
	s_wait_alu 0xfffd
	v_add_co_ci_u32_e64 v11, null, s9, v11, vcc_lo
	v_mov_b32_e32 v16, 0
	s_mov_b32 s7, 0
.LBB112_16:                             ; =>This Inner Loop Header: Depth=1
	global_load_b32 v17, v[10:11], off
	s_wait_loadcnt 0x0
	v_subrev_nc_u32_e32 v17, s16, v17
	s_delay_alu instid0(VALU_DEP_1) | instskip(NEXT) | instid1(VALU_DEP_1)
	v_lshl_add_u32 v17, v17, 1, v17
	v_ashrrev_i32_e32 v18, 31, v17
	s_delay_alu instid0(VALU_DEP_1) | instskip(SKIP_1) | instid1(VALU_DEP_1)
	v_lshlrev_b64_e32 v[17:18], 1, v[17:18]
	s_wait_kmcnt 0x0
	v_add_co_u32 v21, vcc_lo, s4, v17
	s_wait_alu 0xfffd
	s_delay_alu instid0(VALU_DEP_2)
	v_add_co_ci_u32_e64 v22, null, s5, v18, vcc_lo
	v_add_co_u32 v12, vcc_lo, v12, 16
	global_load_b128 v[17:20], v[8:9], off
	global_load_b32 v23, v[21:22], off
	global_load_u16 v24, v[8:9], off offset:16
	global_load_u16 v21, v[21:22], off offset:4
	s_wait_alu 0xfffd
	v_add_co_ci_u32_e64 v13, null, 0, v13, vcc_lo
	v_add_co_u32 v8, vcc_lo, 0x120, v8
	s_wait_alu 0xfffd
	v_add_co_ci_u32_e64 v9, null, 0, v9, vcc_lo
	s_delay_alu instid0(VALU_DEP_3) | instskip(SKIP_4) | instid1(VALU_DEP_3)
	v_cmp_ge_i64_e64 s3, v[12:13], v[6:7]
	v_add_co_u32 v10, vcc_lo, v10, 64
	s_wait_alu 0xfffd
	v_add_co_ci_u32_e64 v11, null, 0, v11, vcc_lo
	s_wait_alu 0xfffe
	s_or_b32 s7, s3, s7
	s_wait_loadcnt 0x2
	v_lshlrev_b32_e32 v28, 16, v23
	s_wait_loadcnt 0x0
	v_lshlrev_b32_e32 v21, 16, v21
	v_lshlrev_b32_e32 v26, 16, v19
	v_and_b32_e32 v23, 0xffff0000, v23
	v_lshlrev_b32_e32 v27, 16, v20
	v_lshlrev_b32_e32 v25, 16, v18
	v_and_b32_e32 v18, 0xffff0000, v18
	v_lshlrev_b32_e32 v22, 16, v17
	v_and_b32_e32 v20, 0xffff0000, v20
	s_delay_alu instid0(VALU_DEP_3) | instskip(NEXT) | instid1(VALU_DEP_3)
	v_fmac_f32_e32 v15, v18, v28
	v_dual_fmac_f32 v16, v22, v28 :: v_dual_and_b32 v17, 0xffff0000, v17
	v_lshlrev_b32_e32 v18, 16, v24
	s_delay_alu instid0(VALU_DEP_2) | instskip(SKIP_1) | instid1(VALU_DEP_1)
	v_fmac_f32_e32 v16, v17, v23
	v_fmac_f32_e32 v14, v27, v28
	v_fmac_f32_e32 v14, v20, v23
	s_delay_alu instid0(VALU_DEP_3) | instskip(NEXT) | instid1(VALU_DEP_2)
	v_dual_fmac_f32 v16, v25, v21 :: v_dual_and_b32 v19, 0xffff0000, v19
	v_fmac_f32_e32 v14, v18, v21
	v_fmac_f32_e32 v15, v26, v23
	s_delay_alu instid0(VALU_DEP_1)
	v_fmac_f32_e32 v15, v19, v21
	s_wait_alu 0xfffe
	s_and_not1_b32 exec_lo, exec_lo, s7
	s_cbranch_execnz .LBB112_16
; %bb.17:
	s_or_b32 exec_lo, exec_lo, s7
.LBB112_18:
	s_wait_alu 0xfffe
	s_or_b32 exec_lo, exec_lo, s6
	s_cbranch_execz .LBB112_20
	s_branch .LBB112_25
.LBB112_19:
                                        ; implicit-def: $vgpr14
                                        ; implicit-def: $vgpr15
                                        ; implicit-def: $vgpr16
.LBB112_20:
	v_dual_mov_b32 v14, 0 :: v_dual_mov_b32 v15, 0
	v_mov_b32_e32 v16, 0
	s_and_saveexec_b32 s3, s2
	s_cbranch_execz .LBB112_24
; %bb.21:
	v_lshlrev_b64_e32 v[8:9], 2, v[2:3]
	v_dual_mov_b32 v14, 0 :: v_dual_mov_b32 v15, 0
	v_mov_b32_e32 v16, 0
	s_mov_b32 s6, 0
	s_delay_alu instid0(VALU_DEP_3)
	v_add_co_u32 v8, vcc_lo, s8, v8
	s_wait_alu 0xfffd
	v_add_co_ci_u32_e64 v9, null, s9, v9, vcc_lo
.LBB112_22:                             ; =>This Inner Loop Header: Depth=1
	global_load_b32 v10, v[8:9], off
	s_wait_loadcnt 0x0
	v_subrev_nc_u32_e32 v10, s16, v10
	s_delay_alu instid0(VALU_DEP_1) | instskip(NEXT) | instid1(VALU_DEP_1)
	v_lshl_add_u32 v10, v10, 1, v10
	v_ashrrev_i32_e32 v11, 31, v10
	s_delay_alu instid0(VALU_DEP_1) | instskip(SKIP_1) | instid1(VALU_DEP_1)
	v_lshlrev_b64_e32 v[10:11], 1, v[10:11]
	s_wait_kmcnt 0x0
	v_add_co_u32 v17, vcc_lo, s4, v10
	s_wait_alu 0xfffd
	s_delay_alu instid0(VALU_DEP_2)
	v_add_co_ci_u32_e64 v18, null, s5, v11, vcc_lo
	v_add_co_u32 v2, vcc_lo, v2, 16
	global_load_b128 v[10:13], v[4:5], off
	global_load_b32 v19, v[17:18], off
	global_load_u16 v20, v[4:5], off offset:16
	global_load_u16 v17, v[17:18], off offset:4
	s_wait_alu 0xfffd
	v_add_co_ci_u32_e64 v3, null, 0, v3, vcc_lo
	v_add_co_u32 v4, vcc_lo, 0x120, v4
	s_wait_alu 0xfffd
	v_add_co_ci_u32_e64 v5, null, 0, v5, vcc_lo
	s_delay_alu instid0(VALU_DEP_3) | instskip(SKIP_4) | instid1(VALU_DEP_3)
	v_cmp_ge_i64_e64 s2, v[2:3], v[6:7]
	v_add_co_u32 v8, vcc_lo, v8, 64
	s_wait_alu 0xfffd
	v_add_co_ci_u32_e64 v9, null, 0, v9, vcc_lo
	s_wait_alu 0xfffe
	s_or_b32 s6, s2, s6
	s_wait_loadcnt 0x2
	v_lshlrev_b32_e32 v24, 16, v19
	v_lshlrev_b32_e32 v18, 16, v10
	s_wait_loadcnt 0x0
	v_lshlrev_b32_e32 v17, 16, v17
	v_and_b32_e32 v19, 0xffff0000, v19
	v_lshlrev_b32_e32 v23, 16, v13
	v_and_b32_e32 v13, 0xffff0000, v13
	;; [unrolled: 2-line block ×3, first 2 shown]
	v_and_b32_e32 v12, 0xffff0000, v12
	s_delay_alu instid0(VALU_DEP_2) | instskip(SKIP_3) | instid1(VALU_DEP_3)
	v_fmac_f32_e32 v15, v10, v24
	v_dual_fmac_f32 v16, v18, v24 :: v_dual_lshlrev_b32 v21, 16, v11
	v_and_b32_e32 v11, 0xffff0000, v11
	v_lshlrev_b32_e32 v10, 16, v20
	v_fmac_f32_e32 v14, v21, v24
	s_delay_alu instid0(VALU_DEP_3) | instskip(NEXT) | instid1(VALU_DEP_1)
	v_fmac_f32_e32 v16, v11, v19
	v_dual_fmac_f32 v16, v23, v17 :: v_dual_fmac_f32 v15, v22, v19
	s_delay_alu instid0(VALU_DEP_1) | instskip(NEXT) | instid1(VALU_DEP_1)
	v_dual_fmac_f32 v14, v12, v19 :: v_dual_fmac_f32 v15, v13, v17
	v_fmac_f32_e32 v14, v10, v17
	s_wait_alu 0xfffe
	s_and_not1_b32 exec_lo, exec_lo, s6
	s_cbranch_execnz .LBB112_22
; %bb.23:
	s_or_b32 exec_lo, exec_lo, s6
.LBB112_24:
	s_wait_alu 0xfffe
	s_or_b32 exec_lo, exec_lo, s3
.LBB112_25:
	v_mbcnt_lo_u32_b32 v2, -1, 0
	s_mov_b32 s2, -1
	s_delay_alu instid0(VALU_DEP_1) | instskip(SKIP_2) | instid1(VALU_DEP_3)
	v_xor_b32_e32 v3, 8, v2
	v_xor_b32_e32 v6, 4, v2
	v_xor_b32_e32 v9, 2, v2
	v_cmp_gt_i32_e32 vcc_lo, 32, v3
	s_wait_alu 0xfffd
	v_cndmask_b32_e32 v3, v2, v3, vcc_lo
	v_cmp_gt_i32_e32 vcc_lo, 32, v6
	s_wait_alu 0xfffd
	v_cndmask_b32_e32 v6, v2, v6, vcc_lo
	v_cmp_gt_i32_e32 vcc_lo, 32, v9
	s_delay_alu instid0(VALU_DEP_2)
	v_lshlrev_b32_e32 v6, 2, v6
	v_lshlrev_b32_e32 v3, 2, v3
	ds_bpermute_b32 v4, v3, v16
	s_wait_dscnt 0x0
	v_add_f32_e32 v4, v16, v4
	ds_bpermute_b32 v5, v3, v15
	ds_bpermute_b32 v3, v3, v14
	;; [unrolled: 1-line block ×3, first 2 shown]
	s_wait_alu 0xfffd
	v_cndmask_b32_e32 v9, v2, v9, vcc_lo
	s_wait_dscnt 0x2
	v_add_f32_e32 v5, v15, v5
	s_wait_dscnt 0x1
	v_add_f32_e32 v3, v14, v3
	;; [unrolled: 2-line block ×3, first 2 shown]
	ds_bpermute_b32 v8, v6, v5
	ds_bpermute_b32 v6, v6, v3
	v_lshlrev_b32_e32 v9, 2, v9
	s_wait_dscnt 0x0
	v_dual_add_f32 v5, v5, v8 :: v_dual_add_f32 v6, v3, v6
	ds_bpermute_b32 v3, v9, v4
	ds_bpermute_b32 v7, v9, v5
	;; [unrolled: 1-line block ×3, first 2 shown]
	v_xor_b32_e32 v9, 1, v2
	s_delay_alu instid0(VALU_DEP_1) | instskip(SKIP_4) | instid1(VALU_DEP_2)
	v_cmp_gt_i32_e32 vcc_lo, 32, v9
	s_wait_alu 0xfffd
	v_cndmask_b32_e32 v2, v2, v9, vcc_lo
	v_cmp_eq_u32_e32 vcc_lo, 15, v0
	s_wait_dscnt 0x2
	v_dual_add_f32 v2, v4, v3 :: v_dual_lshlrev_b32 v9, 2, v2
	s_wait_dscnt 0x0
	v_dual_add_f32 v3, v5, v7 :: v_dual_add_f32 v4, v6, v8
	ds_bpermute_b32 v5, v9, v2
	ds_bpermute_b32 v6, v9, v3
	ds_bpermute_b32 v7, v9, v4
	s_and_b32 exec_lo, exec_lo, vcc_lo
	s_cbranch_execz .LBB112_10
; %bb.26:
	s_load_b64 s[0:1], s[0:1], 0x50
	s_wait_dscnt 0x2
	v_add_f32_e32 v0, v2, v5
	s_wait_dscnt 0x1
	v_add_f32_e32 v2, v3, v6
	;; [unrolled: 2-line block ×3, first 2 shown]
	v_lshl_add_u32 v3, v1, 1, v1
	s_cmp_eq_f32 s12, 0
	v_dual_mul_f32 v1, s14, v2 :: v_dual_mul_f32 v0, s14, v0
	s_delay_alu instid0(VALU_DEP_3) | instskip(NEXT) | instid1(VALU_DEP_3)
	v_mul_f32_e32 v2, s14, v4
	v_ashrrev_i32_e32 v4, 31, v3
	s_cbranch_scc0 .LBB112_28
; %bb.27:
	s_delay_alu instid0(VALU_DEP_1) | instskip(SKIP_2) | instid1(VALU_DEP_1)
	v_lshlrev_b64_e32 v[5:6], 2, v[3:4]
	s_mov_b32 s2, 0
	s_wait_kmcnt 0x0
	v_add_co_u32 v5, vcc_lo, s0, v5
	s_wait_alu 0xfffd
	s_delay_alu instid0(VALU_DEP_2)
	v_add_co_ci_u32_e64 v6, null, s1, v6, vcc_lo
	global_store_b96 v[5:6], v[0:2], off
.LBB112_28:
	s_wait_alu 0xfffe
	s_and_not1_b32 vcc_lo, exec_lo, s2
	s_wait_alu 0xfffe
	s_cbranch_vccnz .LBB112_10
; %bb.29:
	v_lshlrev_b64_e32 v[3:4], 2, v[3:4]
	s_wait_kmcnt 0x0
	s_delay_alu instid0(VALU_DEP_1) | instskip(SKIP_1) | instid1(VALU_DEP_2)
	v_add_co_u32 v6, vcc_lo, s0, v3
	s_wait_alu 0xfffd
	v_add_co_ci_u32_e64 v7, null, s1, v4, vcc_lo
	global_load_b96 v[3:5], v[6:7], off
	s_wait_loadcnt 0x0
	v_dual_fmac_f32 v0, s12, v3 :: v_dual_fmac_f32 v1, s12, v4
	v_fmac_f32_e32 v2, s12, v5
	global_store_b96 v[6:7], v[0:2], off
	s_endpgm
	.section	.rodata,"a",@progbits
	.p2align	6, 0x0
	.amdhsa_kernel _ZN9rocsparseL18bsrxmvn_3x3_kernelILj256ELj16Efli18rocsparse_bfloat16S1_fEEvT3_20rocsparse_direction_NS_24const_host_device_scalarIT1_EES2_PKS2_PKT2_SB_S8_PKT4_PKT5_S6_PT6_21rocsparse_index_base_b
		.amdhsa_group_segment_fixed_size 0
		.amdhsa_private_segment_fixed_size 0
		.amdhsa_kernarg_size 96
		.amdhsa_user_sgpr_count 2
		.amdhsa_user_sgpr_dispatch_ptr 0
		.amdhsa_user_sgpr_queue_ptr 0
		.amdhsa_user_sgpr_kernarg_segment_ptr 1
		.amdhsa_user_sgpr_dispatch_id 0
		.amdhsa_user_sgpr_private_segment_size 0
		.amdhsa_wavefront_size32 1
		.amdhsa_uses_dynamic_stack 0
		.amdhsa_enable_private_segment 0
		.amdhsa_system_sgpr_workgroup_id_x 1
		.amdhsa_system_sgpr_workgroup_id_y 0
		.amdhsa_system_sgpr_workgroup_id_z 0
		.amdhsa_system_sgpr_workgroup_info 0
		.amdhsa_system_vgpr_workitem_id 0
		.amdhsa_next_free_vgpr 29
		.amdhsa_next_free_sgpr 18
		.amdhsa_reserve_vcc 1
		.amdhsa_float_round_mode_32 0
		.amdhsa_float_round_mode_16_64 0
		.amdhsa_float_denorm_mode_32 3
		.amdhsa_float_denorm_mode_16_64 3
		.amdhsa_fp16_overflow 0
		.amdhsa_workgroup_processor_mode 1
		.amdhsa_memory_ordered 1
		.amdhsa_forward_progress 1
		.amdhsa_inst_pref_size 16
		.amdhsa_round_robin_scheduling 0
		.amdhsa_exception_fp_ieee_invalid_op 0
		.amdhsa_exception_fp_denorm_src 0
		.amdhsa_exception_fp_ieee_div_zero 0
		.amdhsa_exception_fp_ieee_overflow 0
		.amdhsa_exception_fp_ieee_underflow 0
		.amdhsa_exception_fp_ieee_inexact 0
		.amdhsa_exception_int_div_zero 0
	.end_amdhsa_kernel
	.section	.text._ZN9rocsparseL18bsrxmvn_3x3_kernelILj256ELj16Efli18rocsparse_bfloat16S1_fEEvT3_20rocsparse_direction_NS_24const_host_device_scalarIT1_EES2_PKS2_PKT2_SB_S8_PKT4_PKT5_S6_PT6_21rocsparse_index_base_b,"axG",@progbits,_ZN9rocsparseL18bsrxmvn_3x3_kernelILj256ELj16Efli18rocsparse_bfloat16S1_fEEvT3_20rocsparse_direction_NS_24const_host_device_scalarIT1_EES2_PKS2_PKT2_SB_S8_PKT4_PKT5_S6_PT6_21rocsparse_index_base_b,comdat
.Lfunc_end112:
	.size	_ZN9rocsparseL18bsrxmvn_3x3_kernelILj256ELj16Efli18rocsparse_bfloat16S1_fEEvT3_20rocsparse_direction_NS_24const_host_device_scalarIT1_EES2_PKS2_PKT2_SB_S8_PKT4_PKT5_S6_PT6_21rocsparse_index_base_b, .Lfunc_end112-_ZN9rocsparseL18bsrxmvn_3x3_kernelILj256ELj16Efli18rocsparse_bfloat16S1_fEEvT3_20rocsparse_direction_NS_24const_host_device_scalarIT1_EES2_PKS2_PKT2_SB_S8_PKT4_PKT5_S6_PT6_21rocsparse_index_base_b
                                        ; -- End function
	.set _ZN9rocsparseL18bsrxmvn_3x3_kernelILj256ELj16Efli18rocsparse_bfloat16S1_fEEvT3_20rocsparse_direction_NS_24const_host_device_scalarIT1_EES2_PKS2_PKT2_SB_S8_PKT4_PKT5_S6_PT6_21rocsparse_index_base_b.num_vgpr, 29
	.set _ZN9rocsparseL18bsrxmvn_3x3_kernelILj256ELj16Efli18rocsparse_bfloat16S1_fEEvT3_20rocsparse_direction_NS_24const_host_device_scalarIT1_EES2_PKS2_PKT2_SB_S8_PKT4_PKT5_S6_PT6_21rocsparse_index_base_b.num_agpr, 0
	.set _ZN9rocsparseL18bsrxmvn_3x3_kernelILj256ELj16Efli18rocsparse_bfloat16S1_fEEvT3_20rocsparse_direction_NS_24const_host_device_scalarIT1_EES2_PKS2_PKT2_SB_S8_PKT4_PKT5_S6_PT6_21rocsparse_index_base_b.numbered_sgpr, 18
	.set _ZN9rocsparseL18bsrxmvn_3x3_kernelILj256ELj16Efli18rocsparse_bfloat16S1_fEEvT3_20rocsparse_direction_NS_24const_host_device_scalarIT1_EES2_PKS2_PKT2_SB_S8_PKT4_PKT5_S6_PT6_21rocsparse_index_base_b.num_named_barrier, 0
	.set _ZN9rocsparseL18bsrxmvn_3x3_kernelILj256ELj16Efli18rocsparse_bfloat16S1_fEEvT3_20rocsparse_direction_NS_24const_host_device_scalarIT1_EES2_PKS2_PKT2_SB_S8_PKT4_PKT5_S6_PT6_21rocsparse_index_base_b.private_seg_size, 0
	.set _ZN9rocsparseL18bsrxmvn_3x3_kernelILj256ELj16Efli18rocsparse_bfloat16S1_fEEvT3_20rocsparse_direction_NS_24const_host_device_scalarIT1_EES2_PKS2_PKT2_SB_S8_PKT4_PKT5_S6_PT6_21rocsparse_index_base_b.uses_vcc, 1
	.set _ZN9rocsparseL18bsrxmvn_3x3_kernelILj256ELj16Efli18rocsparse_bfloat16S1_fEEvT3_20rocsparse_direction_NS_24const_host_device_scalarIT1_EES2_PKS2_PKT2_SB_S8_PKT4_PKT5_S6_PT6_21rocsparse_index_base_b.uses_flat_scratch, 0
	.set _ZN9rocsparseL18bsrxmvn_3x3_kernelILj256ELj16Efli18rocsparse_bfloat16S1_fEEvT3_20rocsparse_direction_NS_24const_host_device_scalarIT1_EES2_PKS2_PKT2_SB_S8_PKT4_PKT5_S6_PT6_21rocsparse_index_base_b.has_dyn_sized_stack, 0
	.set _ZN9rocsparseL18bsrxmvn_3x3_kernelILj256ELj16Efli18rocsparse_bfloat16S1_fEEvT3_20rocsparse_direction_NS_24const_host_device_scalarIT1_EES2_PKS2_PKT2_SB_S8_PKT4_PKT5_S6_PT6_21rocsparse_index_base_b.has_recursion, 0
	.set _ZN9rocsparseL18bsrxmvn_3x3_kernelILj256ELj16Efli18rocsparse_bfloat16S1_fEEvT3_20rocsparse_direction_NS_24const_host_device_scalarIT1_EES2_PKS2_PKT2_SB_S8_PKT4_PKT5_S6_PT6_21rocsparse_index_base_b.has_indirect_call, 0
	.section	.AMDGPU.csdata,"",@progbits
; Kernel info:
; codeLenInByte = 1940
; TotalNumSgprs: 20
; NumVgprs: 29
; ScratchSize: 0
; MemoryBound: 0
; FloatMode: 240
; IeeeMode: 1
; LDSByteSize: 0 bytes/workgroup (compile time only)
; SGPRBlocks: 0
; VGPRBlocks: 3
; NumSGPRsForWavesPerEU: 20
; NumVGPRsForWavesPerEU: 29
; Occupancy: 16
; WaveLimiterHint : 1
; COMPUTE_PGM_RSRC2:SCRATCH_EN: 0
; COMPUTE_PGM_RSRC2:USER_SGPR: 2
; COMPUTE_PGM_RSRC2:TRAP_HANDLER: 0
; COMPUTE_PGM_RSRC2:TGID_X_EN: 1
; COMPUTE_PGM_RSRC2:TGID_Y_EN: 0
; COMPUTE_PGM_RSRC2:TGID_Z_EN: 0
; COMPUTE_PGM_RSRC2:TIDIG_COMP_CNT: 0
	.section	.text._ZN9rocsparseL18bsrxmvn_3x3_kernelILj256ELj32Efli18rocsparse_bfloat16S1_fEEvT3_20rocsparse_direction_NS_24const_host_device_scalarIT1_EES2_PKS2_PKT2_SB_S8_PKT4_PKT5_S6_PT6_21rocsparse_index_base_b,"axG",@progbits,_ZN9rocsparseL18bsrxmvn_3x3_kernelILj256ELj32Efli18rocsparse_bfloat16S1_fEEvT3_20rocsparse_direction_NS_24const_host_device_scalarIT1_EES2_PKS2_PKT2_SB_S8_PKT4_PKT5_S6_PT6_21rocsparse_index_base_b,comdat
	.globl	_ZN9rocsparseL18bsrxmvn_3x3_kernelILj256ELj32Efli18rocsparse_bfloat16S1_fEEvT3_20rocsparse_direction_NS_24const_host_device_scalarIT1_EES2_PKS2_PKT2_SB_S8_PKT4_PKT5_S6_PT6_21rocsparse_index_base_b ; -- Begin function _ZN9rocsparseL18bsrxmvn_3x3_kernelILj256ELj32Efli18rocsparse_bfloat16S1_fEEvT3_20rocsparse_direction_NS_24const_host_device_scalarIT1_EES2_PKS2_PKT2_SB_S8_PKT4_PKT5_S6_PT6_21rocsparse_index_base_b
	.p2align	8
	.type	_ZN9rocsparseL18bsrxmvn_3x3_kernelILj256ELj32Efli18rocsparse_bfloat16S1_fEEvT3_20rocsparse_direction_NS_24const_host_device_scalarIT1_EES2_PKS2_PKT2_SB_S8_PKT4_PKT5_S6_PT6_21rocsparse_index_base_b,@function
_ZN9rocsparseL18bsrxmvn_3x3_kernelILj256ELj32Efli18rocsparse_bfloat16S1_fEEvT3_20rocsparse_direction_NS_24const_host_device_scalarIT1_EES2_PKS2_PKT2_SB_S8_PKT4_PKT5_S6_PT6_21rocsparse_index_base_b: ; @_ZN9rocsparseL18bsrxmvn_3x3_kernelILj256ELj32Efli18rocsparse_bfloat16S1_fEEvT3_20rocsparse_direction_NS_24const_host_device_scalarIT1_EES2_PKS2_PKT2_SB_S8_PKT4_PKT5_S6_PT6_21rocsparse_index_base_b
; %bb.0:
	s_clause 0x2
	s_load_b64 s[16:17], s[0:1], 0x58
	s_load_b64 s[14:15], s[0:1], 0x8
	s_load_b64 s[12:13], s[0:1], 0x48
	s_wait_kmcnt 0x0
	s_bitcmp1_b32 s17, 0
	s_cselect_b32 s2, -1, 0
	s_delay_alu instid0(SALU_CYCLE_1)
	s_and_b32 vcc_lo, exec_lo, s2
	s_xor_b32 s2, s2, -1
	s_cbranch_vccnz .LBB113_2
; %bb.1:
	s_load_b32 s14, s[14:15], 0x0
.LBB113_2:
	s_and_not1_b32 vcc_lo, exec_lo, s2
	s_cbranch_vccnz .LBB113_4
; %bb.3:
	s_load_b32 s12, s[12:13], 0x0
.LBB113_4:
	s_wait_kmcnt 0x0
	s_cmp_neq_f32 s14, 0
	s_mov_b32 s6, 0
	s_cselect_b32 s2, -1, 0
	s_cmp_neq_f32 s12, 1.0
	s_cselect_b32 s3, -1, 0
	s_delay_alu instid0(SALU_CYCLE_1) | instskip(NEXT) | instid1(SALU_CYCLE_1)
	s_or_b32 s2, s2, s3
	s_and_not1_b32 vcc_lo, exec_lo, s2
	s_cbranch_vccnz .LBB113_10
; %bb.5:
	s_clause 0x1
	s_load_b64 s[4:5], s[0:1], 0x18
	s_load_b64 s[2:3], s[0:1], 0x0
	v_lshrrev_b32_e32 v1, 5, v0
	s_delay_alu instid0(VALU_DEP_1)
	v_lshl_or_b32 v1, ttmp9, 3, v1
	s_wait_kmcnt 0x0
	s_cmp_lg_u64 s[4:5], 0
	s_cbranch_scc0 .LBB113_11
; %bb.6:
	s_load_b32 s6, s[0:1], 0x10
	s_mov_b32 s7, 0
                                        ; implicit-def: $vgpr2
	s_wait_kmcnt 0x0
	v_cmp_gt_i32_e32 vcc_lo, s6, v1
	s_mov_b32 s6, 0
	s_and_saveexec_b32 s8, vcc_lo
	s_delay_alu instid0(SALU_CYCLE_1)
	s_xor_b32 s8, exec_lo, s8
	s_cbranch_execz .LBB113_8
; %bb.7:
	v_ashrrev_i32_e32 v2, 31, v1
	s_mov_b32 s6, exec_lo
	s_delay_alu instid0(VALU_DEP_1) | instskip(NEXT) | instid1(VALU_DEP_1)
	v_lshlrev_b64_e32 v[2:3], 2, v[1:2]
	v_add_co_u32 v2, vcc_lo, s4, v2
	s_delay_alu instid0(VALU_DEP_1)
	v_add_co_ci_u32_e64 v3, null, s5, v3, vcc_lo
	global_load_b32 v2, v[2:3], off
	s_wait_loadcnt 0x0
	v_subrev_nc_u32_e32 v2, s16, v2
.LBB113_8:
	s_or_b32 exec_lo, exec_lo, s8
	s_delay_alu instid0(SALU_CYCLE_1)
	s_and_b32 vcc_lo, exec_lo, s7
	s_wait_alu 0xfffe
	s_cbranch_vccz .LBB113_12
.LBB113_9:
	v_cmp_gt_i32_e32 vcc_lo, s2, v1
	s_and_not1_b32 s2, s6, exec_lo
	s_and_b32 s4, vcc_lo, exec_lo
	s_wait_alu 0xfffe
	s_or_b32 s6, s2, s4
	s_wait_alu 0xfffe
	s_and_saveexec_b32 s2, s6
	s_cbranch_execnz .LBB113_13
.LBB113_10:
	s_endpgm
.LBB113_11:
                                        ; implicit-def: $vgpr2
	s_cbranch_execnz .LBB113_9
.LBB113_12:
	v_mov_b32_e32 v1, v2
	s_and_saveexec_b32 s2, s6
	s_cbranch_execz .LBB113_10
.LBB113_13:
	s_load_b256 s[4:11], s[0:1], 0x20
	s_delay_alu instid0(VALU_DEP_1) | instskip(SKIP_2) | instid1(VALU_DEP_3)
	v_ashrrev_i32_e32 v2, 31, v1
	v_and_b32_e32 v0, 31, v0
	v_mov_b32_e32 v14, 0
	v_lshlrev_b64_e32 v[2:3], 3, v[1:2]
	s_wait_kmcnt 0x0
	s_delay_alu instid0(VALU_DEP_1) | instskip(SKIP_1) | instid1(VALU_DEP_2)
	v_add_co_u32 v4, vcc_lo, s4, v2
	s_wait_alu 0xfffd
	v_add_co_ci_u32_e64 v5, null, s5, v3, vcc_lo
	v_add_co_u32 v2, vcc_lo, s6, v2
	s_wait_alu 0xfffd
	v_add_co_ci_u32_e64 v3, null, s7, v3, vcc_lo
	global_load_b64 v[6:7], v[4:5], off
	v_add_co_u32 v4, vcc_lo, v4, 8
	s_wait_alu 0xfffd
	v_add_co_ci_u32_e64 v5, null, 0, v5, vcc_lo
	s_cmp_eq_u64 s[6:7], 0
	s_load_b64 s[4:5], s[0:1], 0x40
	s_cselect_b32 vcc_lo, -1, 0
	s_cmp_eq_u32 s3, 1
	s_wait_alu 0xfffe
	v_dual_cndmask_b32 v3, v3, v5 :: v_dual_cndmask_b32 v2, v2, v4
	global_load_b64 v[8:9], v[2:3], off
	s_wait_loadcnt 0x1
	v_sub_co_u32 v2, vcc_lo, v6, s16
	s_wait_alu 0xfffd
	v_subrev_co_ci_u32_e64 v3, null, 0, v7, vcc_lo
	s_delay_alu instid0(VALU_DEP_2) | instskip(SKIP_1) | instid1(VALU_DEP_2)
	v_add_co_u32 v2, vcc_lo, v2, v0
	s_wait_alu 0xfffd
	v_add_co_ci_u32_e64 v3, null, 0, v3, vcc_lo
	s_delay_alu instid0(VALU_DEP_2) | instskip(NEXT) | instid1(VALU_DEP_1)
	v_mad_co_u64_u32 v[4:5], null, v2, 18, s[10:11]
	v_mad_co_u64_u32 v[5:6], null, v3, 18, v[5:6]
	s_wait_loadcnt 0x0
	v_sub_co_u32 v6, vcc_lo, v8, s16
	s_wait_alu 0xfffd
	v_subrev_co_ci_u32_e64 v7, null, 0, v9, vcc_lo
	s_delay_alu instid0(VALU_DEP_1)
	v_cmp_lt_i64_e64 s2, v[2:3], v[6:7]
	s_cbranch_scc1 .LBB113_19
; %bb.14:
	v_dual_mov_b32 v15, 0 :: v_dual_mov_b32 v16, 0
	s_and_saveexec_b32 s6, s2
	s_cbranch_execz .LBB113_18
; %bb.15:
	v_lshlrev_b64_e32 v[10:11], 2, v[2:3]
	v_dual_mov_b32 v14, 0 :: v_dual_mov_b32 v9, v5
	v_dual_mov_b32 v8, v4 :: v_dual_mov_b32 v13, v3
	;; [unrolled: 1-line block ×3, first 2 shown]
	s_delay_alu instid0(VALU_DEP_4)
	v_add_co_u32 v10, vcc_lo, s8, v10
	s_wait_alu 0xfffd
	v_add_co_ci_u32_e64 v11, null, s9, v11, vcc_lo
	v_mov_b32_e32 v16, 0
	s_mov_b32 s7, 0
.LBB113_16:                             ; =>This Inner Loop Header: Depth=1
	global_load_b32 v17, v[10:11], off
	s_wait_loadcnt 0x0
	v_subrev_nc_u32_e32 v17, s16, v17
	s_delay_alu instid0(VALU_DEP_1) | instskip(NEXT) | instid1(VALU_DEP_1)
	v_lshl_add_u32 v17, v17, 1, v17
	v_ashrrev_i32_e32 v18, 31, v17
	s_delay_alu instid0(VALU_DEP_1) | instskip(SKIP_1) | instid1(VALU_DEP_1)
	v_lshlrev_b64_e32 v[17:18], 1, v[17:18]
	s_wait_kmcnt 0x0
	v_add_co_u32 v21, vcc_lo, s4, v17
	s_wait_alu 0xfffd
	s_delay_alu instid0(VALU_DEP_2)
	v_add_co_ci_u32_e64 v22, null, s5, v18, vcc_lo
	v_add_co_u32 v12, vcc_lo, v12, 32
	global_load_b128 v[17:20], v[8:9], off
	global_load_b32 v23, v[21:22], off
	global_load_u16 v24, v[8:9], off offset:16
	global_load_u16 v21, v[21:22], off offset:4
	s_wait_alu 0xfffd
	v_add_co_ci_u32_e64 v13, null, 0, v13, vcc_lo
	v_add_co_u32 v8, vcc_lo, 0x240, v8
	s_wait_alu 0xfffd
	v_add_co_ci_u32_e64 v9, null, 0, v9, vcc_lo
	s_delay_alu instid0(VALU_DEP_3) | instskip(SKIP_4) | instid1(VALU_DEP_3)
	v_cmp_ge_i64_e64 s3, v[12:13], v[6:7]
	v_add_co_u32 v10, vcc_lo, 0x80, v10
	s_wait_alu 0xfffd
	v_add_co_ci_u32_e64 v11, null, 0, v11, vcc_lo
	s_wait_alu 0xfffe
	s_or_b32 s7, s3, s7
	s_wait_loadcnt 0x2
	v_lshlrev_b32_e32 v28, 16, v23
	s_wait_loadcnt 0x0
	v_lshlrev_b32_e32 v21, 16, v21
	v_lshlrev_b32_e32 v26, 16, v19
	v_and_b32_e32 v23, 0xffff0000, v23
	v_lshlrev_b32_e32 v27, 16, v20
	v_lshlrev_b32_e32 v25, 16, v18
	v_and_b32_e32 v18, 0xffff0000, v18
	v_lshlrev_b32_e32 v22, 16, v17
	v_and_b32_e32 v20, 0xffff0000, v20
	s_delay_alu instid0(VALU_DEP_3) | instskip(NEXT) | instid1(VALU_DEP_3)
	v_fmac_f32_e32 v15, v18, v28
	v_dual_fmac_f32 v16, v22, v28 :: v_dual_and_b32 v17, 0xffff0000, v17
	v_lshlrev_b32_e32 v18, 16, v24
	s_delay_alu instid0(VALU_DEP_2) | instskip(SKIP_1) | instid1(VALU_DEP_1)
	v_fmac_f32_e32 v16, v17, v23
	v_fmac_f32_e32 v14, v27, v28
	;; [unrolled: 1-line block ×3, first 2 shown]
	s_delay_alu instid0(VALU_DEP_3) | instskip(NEXT) | instid1(VALU_DEP_2)
	v_dual_fmac_f32 v16, v25, v21 :: v_dual_and_b32 v19, 0xffff0000, v19
	v_fmac_f32_e32 v14, v18, v21
	v_fmac_f32_e32 v15, v26, v23
	s_delay_alu instid0(VALU_DEP_1)
	v_fmac_f32_e32 v15, v19, v21
	s_wait_alu 0xfffe
	s_and_not1_b32 exec_lo, exec_lo, s7
	s_cbranch_execnz .LBB113_16
; %bb.17:
	s_or_b32 exec_lo, exec_lo, s7
.LBB113_18:
	s_wait_alu 0xfffe
	s_or_b32 exec_lo, exec_lo, s6
	s_cbranch_execz .LBB113_20
	s_branch .LBB113_25
.LBB113_19:
                                        ; implicit-def: $vgpr14
                                        ; implicit-def: $vgpr15
                                        ; implicit-def: $vgpr16
.LBB113_20:
	v_dual_mov_b32 v14, 0 :: v_dual_mov_b32 v15, 0
	v_mov_b32_e32 v16, 0
	s_and_saveexec_b32 s3, s2
	s_cbranch_execz .LBB113_24
; %bb.21:
	v_lshlrev_b64_e32 v[8:9], 2, v[2:3]
	v_dual_mov_b32 v14, 0 :: v_dual_mov_b32 v15, 0
	v_mov_b32_e32 v16, 0
	s_mov_b32 s6, 0
	s_delay_alu instid0(VALU_DEP_3)
	v_add_co_u32 v8, vcc_lo, s8, v8
	s_wait_alu 0xfffd
	v_add_co_ci_u32_e64 v9, null, s9, v9, vcc_lo
.LBB113_22:                             ; =>This Inner Loop Header: Depth=1
	global_load_b32 v10, v[8:9], off
	s_wait_loadcnt 0x0
	v_subrev_nc_u32_e32 v10, s16, v10
	s_delay_alu instid0(VALU_DEP_1) | instskip(NEXT) | instid1(VALU_DEP_1)
	v_lshl_add_u32 v10, v10, 1, v10
	v_ashrrev_i32_e32 v11, 31, v10
	s_delay_alu instid0(VALU_DEP_1) | instskip(SKIP_1) | instid1(VALU_DEP_1)
	v_lshlrev_b64_e32 v[10:11], 1, v[10:11]
	s_wait_kmcnt 0x0
	v_add_co_u32 v17, vcc_lo, s4, v10
	s_wait_alu 0xfffd
	s_delay_alu instid0(VALU_DEP_2)
	v_add_co_ci_u32_e64 v18, null, s5, v11, vcc_lo
	v_add_co_u32 v2, vcc_lo, v2, 32
	global_load_b128 v[10:13], v[4:5], off
	global_load_b32 v19, v[17:18], off
	global_load_u16 v20, v[4:5], off offset:16
	global_load_u16 v17, v[17:18], off offset:4
	s_wait_alu 0xfffd
	v_add_co_ci_u32_e64 v3, null, 0, v3, vcc_lo
	v_add_co_u32 v4, vcc_lo, 0x240, v4
	s_wait_alu 0xfffd
	v_add_co_ci_u32_e64 v5, null, 0, v5, vcc_lo
	s_delay_alu instid0(VALU_DEP_3) | instskip(SKIP_4) | instid1(VALU_DEP_3)
	v_cmp_ge_i64_e64 s2, v[2:3], v[6:7]
	v_add_co_u32 v8, vcc_lo, 0x80, v8
	s_wait_alu 0xfffd
	v_add_co_ci_u32_e64 v9, null, 0, v9, vcc_lo
	s_wait_alu 0xfffe
	s_or_b32 s6, s2, s6
	s_wait_loadcnt 0x2
	v_lshlrev_b32_e32 v24, 16, v19
	v_lshlrev_b32_e32 v18, 16, v10
	s_wait_loadcnt 0x0
	v_lshlrev_b32_e32 v17, 16, v17
	v_and_b32_e32 v19, 0xffff0000, v19
	v_lshlrev_b32_e32 v23, 16, v13
	v_and_b32_e32 v13, 0xffff0000, v13
	;; [unrolled: 2-line block ×3, first 2 shown]
	v_and_b32_e32 v12, 0xffff0000, v12
	s_delay_alu instid0(VALU_DEP_2) | instskip(SKIP_3) | instid1(VALU_DEP_3)
	v_fmac_f32_e32 v15, v10, v24
	v_dual_fmac_f32 v16, v18, v24 :: v_dual_lshlrev_b32 v21, 16, v11
	v_and_b32_e32 v11, 0xffff0000, v11
	v_lshlrev_b32_e32 v10, 16, v20
	v_fmac_f32_e32 v14, v21, v24
	s_delay_alu instid0(VALU_DEP_3) | instskip(NEXT) | instid1(VALU_DEP_1)
	v_fmac_f32_e32 v16, v11, v19
	v_dual_fmac_f32 v16, v23, v17 :: v_dual_fmac_f32 v15, v22, v19
	s_delay_alu instid0(VALU_DEP_1) | instskip(NEXT) | instid1(VALU_DEP_1)
	v_dual_fmac_f32 v14, v12, v19 :: v_dual_fmac_f32 v15, v13, v17
	v_fmac_f32_e32 v14, v10, v17
	s_wait_alu 0xfffe
	s_and_not1_b32 exec_lo, exec_lo, s6
	s_cbranch_execnz .LBB113_22
; %bb.23:
	s_or_b32 exec_lo, exec_lo, s6
.LBB113_24:
	s_wait_alu 0xfffe
	s_or_b32 exec_lo, exec_lo, s3
.LBB113_25:
	v_mbcnt_lo_u32_b32 v2, -1, 0
	s_mov_b32 s2, -1
	s_delay_alu instid0(VALU_DEP_1) | instskip(SKIP_2) | instid1(VALU_DEP_3)
	v_xor_b32_e32 v3, 16, v2
	v_xor_b32_e32 v6, 8, v2
	;; [unrolled: 1-line block ×3, first 2 shown]
	v_cmp_gt_i32_e32 vcc_lo, 32, v3
	s_wait_alu 0xfffd
	v_cndmask_b32_e32 v3, v2, v3, vcc_lo
	v_cmp_gt_i32_e32 vcc_lo, 32, v6
	s_wait_alu 0xfffd
	v_cndmask_b32_e32 v6, v2, v6, vcc_lo
	v_cmp_gt_i32_e32 vcc_lo, 32, v9
	s_delay_alu instid0(VALU_DEP_2)
	v_lshlrev_b32_e32 v6, 2, v6
	v_lshlrev_b32_e32 v3, 2, v3
	ds_bpermute_b32 v4, v3, v16
	s_wait_dscnt 0x0
	v_add_f32_e32 v4, v16, v4
	ds_bpermute_b32 v5, v3, v15
	ds_bpermute_b32 v3, v3, v14
	;; [unrolled: 1-line block ×3, first 2 shown]
	s_wait_alu 0xfffd
	v_cndmask_b32_e32 v9, v2, v9, vcc_lo
	s_wait_dscnt 0x0
	v_dual_add_f32 v5, v15, v5 :: v_dual_add_f32 v4, v4, v7
	v_add_f32_e32 v3, v14, v3
	ds_bpermute_b32 v8, v6, v5
	ds_bpermute_b32 v6, v6, v3
	s_wait_dscnt 0x1
	v_add_f32_e32 v5, v5, v8
	s_wait_dscnt 0x0
	v_add_f32_e32 v3, v3, v6
	v_lshlrev_b32_e32 v9, 2, v9
	ds_bpermute_b32 v6, v9, v4
	ds_bpermute_b32 v8, v9, v3
	s_wait_dscnt 0x1
	v_add_f32_e32 v4, v4, v6
	s_wait_dscnt 0x0
	v_add_f32_e32 v6, v3, v8
	ds_bpermute_b32 v7, v9, v5
	v_xor_b32_e32 v9, 2, v2
	s_delay_alu instid0(VALU_DEP_1) | instskip(SKIP_2) | instid1(VALU_DEP_1)
	v_cmp_gt_i32_e32 vcc_lo, 32, v9
	s_wait_alu 0xfffd
	v_cndmask_b32_e32 v9, v2, v9, vcc_lo
	v_lshlrev_b32_e32 v9, 2, v9
	s_wait_dscnt 0x0
	v_add_f32_e32 v5, v5, v7
	ds_bpermute_b32 v3, v9, v4
	ds_bpermute_b32 v8, v9, v6
	;; [unrolled: 1-line block ×3, first 2 shown]
	v_xor_b32_e32 v9, 1, v2
	s_delay_alu instid0(VALU_DEP_1) | instskip(SKIP_4) | instid1(VALU_DEP_2)
	v_cmp_gt_i32_e32 vcc_lo, 32, v9
	s_wait_alu 0xfffd
	v_cndmask_b32_e32 v2, v2, v9, vcc_lo
	v_cmp_eq_u32_e32 vcc_lo, 31, v0
	s_wait_dscnt 0x2
	v_dual_add_f32 v2, v4, v3 :: v_dual_lshlrev_b32 v9, 2, v2
	s_wait_dscnt 0x0
	v_dual_add_f32 v4, v6, v8 :: v_dual_add_f32 v3, v5, v7
	ds_bpermute_b32 v5, v9, v2
	ds_bpermute_b32 v7, v9, v4
	;; [unrolled: 1-line block ×3, first 2 shown]
	s_and_b32 exec_lo, exec_lo, vcc_lo
	s_cbranch_execz .LBB113_10
; %bb.26:
	s_load_b64 s[0:1], s[0:1], 0x50
	s_wait_dscnt 0x2
	v_add_f32_e32 v0, v2, v5
	s_wait_dscnt 0x0
	v_add_f32_e32 v2, v3, v6
	v_add_f32_e32 v4, v4, v7
	v_lshl_add_u32 v3, v1, 1, v1
	s_cmp_eq_f32 s12, 0
	s_delay_alu instid0(VALU_DEP_3) | instskip(NEXT) | instid1(VALU_DEP_3)
	v_dual_mul_f32 v1, s14, v2 :: v_dual_mul_f32 v0, s14, v0
	v_mul_f32_e32 v2, s14, v4
	s_delay_alu instid0(VALU_DEP_3)
	v_ashrrev_i32_e32 v4, 31, v3
	s_cbranch_scc0 .LBB113_28
; %bb.27:
	s_delay_alu instid0(VALU_DEP_1) | instskip(SKIP_2) | instid1(VALU_DEP_1)
	v_lshlrev_b64_e32 v[5:6], 2, v[3:4]
	s_mov_b32 s2, 0
	s_wait_kmcnt 0x0
	v_add_co_u32 v5, vcc_lo, s0, v5
	s_wait_alu 0xfffd
	s_delay_alu instid0(VALU_DEP_2)
	v_add_co_ci_u32_e64 v6, null, s1, v6, vcc_lo
	global_store_b96 v[5:6], v[0:2], off
.LBB113_28:
	s_wait_alu 0xfffe
	s_and_not1_b32 vcc_lo, exec_lo, s2
	s_wait_alu 0xfffe
	s_cbranch_vccnz .LBB113_10
; %bb.29:
	v_lshlrev_b64_e32 v[3:4], 2, v[3:4]
	s_wait_kmcnt 0x0
	s_delay_alu instid0(VALU_DEP_1) | instskip(SKIP_1) | instid1(VALU_DEP_2)
	v_add_co_u32 v6, vcc_lo, s0, v3
	s_wait_alu 0xfffd
	v_add_co_ci_u32_e64 v7, null, s1, v4, vcc_lo
	global_load_b96 v[3:5], v[6:7], off
	s_wait_loadcnt 0x0
	v_dual_fmac_f32 v0, s12, v3 :: v_dual_fmac_f32 v1, s12, v4
	v_fmac_f32_e32 v2, s12, v5
	global_store_b96 v[6:7], v[0:2], off
	s_endpgm
	.section	.rodata,"a",@progbits
	.p2align	6, 0x0
	.amdhsa_kernel _ZN9rocsparseL18bsrxmvn_3x3_kernelILj256ELj32Efli18rocsparse_bfloat16S1_fEEvT3_20rocsparse_direction_NS_24const_host_device_scalarIT1_EES2_PKS2_PKT2_SB_S8_PKT4_PKT5_S6_PT6_21rocsparse_index_base_b
		.amdhsa_group_segment_fixed_size 0
		.amdhsa_private_segment_fixed_size 0
		.amdhsa_kernarg_size 96
		.amdhsa_user_sgpr_count 2
		.amdhsa_user_sgpr_dispatch_ptr 0
		.amdhsa_user_sgpr_queue_ptr 0
		.amdhsa_user_sgpr_kernarg_segment_ptr 1
		.amdhsa_user_sgpr_dispatch_id 0
		.amdhsa_user_sgpr_private_segment_size 0
		.amdhsa_wavefront_size32 1
		.amdhsa_uses_dynamic_stack 0
		.amdhsa_enable_private_segment 0
		.amdhsa_system_sgpr_workgroup_id_x 1
		.amdhsa_system_sgpr_workgroup_id_y 0
		.amdhsa_system_sgpr_workgroup_id_z 0
		.amdhsa_system_sgpr_workgroup_info 0
		.amdhsa_system_vgpr_workitem_id 0
		.amdhsa_next_free_vgpr 29
		.amdhsa_next_free_sgpr 18
		.amdhsa_reserve_vcc 1
		.amdhsa_float_round_mode_32 0
		.amdhsa_float_round_mode_16_64 0
		.amdhsa_float_denorm_mode_32 3
		.amdhsa_float_denorm_mode_16_64 3
		.amdhsa_fp16_overflow 0
		.amdhsa_workgroup_processor_mode 1
		.amdhsa_memory_ordered 1
		.amdhsa_forward_progress 1
		.amdhsa_inst_pref_size 16
		.amdhsa_round_robin_scheduling 0
		.amdhsa_exception_fp_ieee_invalid_op 0
		.amdhsa_exception_fp_denorm_src 0
		.amdhsa_exception_fp_ieee_div_zero 0
		.amdhsa_exception_fp_ieee_overflow 0
		.amdhsa_exception_fp_ieee_underflow 0
		.amdhsa_exception_fp_ieee_inexact 0
		.amdhsa_exception_int_div_zero 0
	.end_amdhsa_kernel
	.section	.text._ZN9rocsparseL18bsrxmvn_3x3_kernelILj256ELj32Efli18rocsparse_bfloat16S1_fEEvT3_20rocsparse_direction_NS_24const_host_device_scalarIT1_EES2_PKS2_PKT2_SB_S8_PKT4_PKT5_S6_PT6_21rocsparse_index_base_b,"axG",@progbits,_ZN9rocsparseL18bsrxmvn_3x3_kernelILj256ELj32Efli18rocsparse_bfloat16S1_fEEvT3_20rocsparse_direction_NS_24const_host_device_scalarIT1_EES2_PKS2_PKT2_SB_S8_PKT4_PKT5_S6_PT6_21rocsparse_index_base_b,comdat
.Lfunc_end113:
	.size	_ZN9rocsparseL18bsrxmvn_3x3_kernelILj256ELj32Efli18rocsparse_bfloat16S1_fEEvT3_20rocsparse_direction_NS_24const_host_device_scalarIT1_EES2_PKS2_PKT2_SB_S8_PKT4_PKT5_S6_PT6_21rocsparse_index_base_b, .Lfunc_end113-_ZN9rocsparseL18bsrxmvn_3x3_kernelILj256ELj32Efli18rocsparse_bfloat16S1_fEEvT3_20rocsparse_direction_NS_24const_host_device_scalarIT1_EES2_PKS2_PKT2_SB_S8_PKT4_PKT5_S6_PT6_21rocsparse_index_base_b
                                        ; -- End function
	.set _ZN9rocsparseL18bsrxmvn_3x3_kernelILj256ELj32Efli18rocsparse_bfloat16S1_fEEvT3_20rocsparse_direction_NS_24const_host_device_scalarIT1_EES2_PKS2_PKT2_SB_S8_PKT4_PKT5_S6_PT6_21rocsparse_index_base_b.num_vgpr, 29
	.set _ZN9rocsparseL18bsrxmvn_3x3_kernelILj256ELj32Efli18rocsparse_bfloat16S1_fEEvT3_20rocsparse_direction_NS_24const_host_device_scalarIT1_EES2_PKS2_PKT2_SB_S8_PKT4_PKT5_S6_PT6_21rocsparse_index_base_b.num_agpr, 0
	.set _ZN9rocsparseL18bsrxmvn_3x3_kernelILj256ELj32Efli18rocsparse_bfloat16S1_fEEvT3_20rocsparse_direction_NS_24const_host_device_scalarIT1_EES2_PKS2_PKT2_SB_S8_PKT4_PKT5_S6_PT6_21rocsparse_index_base_b.numbered_sgpr, 18
	.set _ZN9rocsparseL18bsrxmvn_3x3_kernelILj256ELj32Efli18rocsparse_bfloat16S1_fEEvT3_20rocsparse_direction_NS_24const_host_device_scalarIT1_EES2_PKS2_PKT2_SB_S8_PKT4_PKT5_S6_PT6_21rocsparse_index_base_b.num_named_barrier, 0
	.set _ZN9rocsparseL18bsrxmvn_3x3_kernelILj256ELj32Efli18rocsparse_bfloat16S1_fEEvT3_20rocsparse_direction_NS_24const_host_device_scalarIT1_EES2_PKS2_PKT2_SB_S8_PKT4_PKT5_S6_PT6_21rocsparse_index_base_b.private_seg_size, 0
	.set _ZN9rocsparseL18bsrxmvn_3x3_kernelILj256ELj32Efli18rocsparse_bfloat16S1_fEEvT3_20rocsparse_direction_NS_24const_host_device_scalarIT1_EES2_PKS2_PKT2_SB_S8_PKT4_PKT5_S6_PT6_21rocsparse_index_base_b.uses_vcc, 1
	.set _ZN9rocsparseL18bsrxmvn_3x3_kernelILj256ELj32Efli18rocsparse_bfloat16S1_fEEvT3_20rocsparse_direction_NS_24const_host_device_scalarIT1_EES2_PKS2_PKT2_SB_S8_PKT4_PKT5_S6_PT6_21rocsparse_index_base_b.uses_flat_scratch, 0
	.set _ZN9rocsparseL18bsrxmvn_3x3_kernelILj256ELj32Efli18rocsparse_bfloat16S1_fEEvT3_20rocsparse_direction_NS_24const_host_device_scalarIT1_EES2_PKS2_PKT2_SB_S8_PKT4_PKT5_S6_PT6_21rocsparse_index_base_b.has_dyn_sized_stack, 0
	.set _ZN9rocsparseL18bsrxmvn_3x3_kernelILj256ELj32Efli18rocsparse_bfloat16S1_fEEvT3_20rocsparse_direction_NS_24const_host_device_scalarIT1_EES2_PKS2_PKT2_SB_S8_PKT4_PKT5_S6_PT6_21rocsparse_index_base_b.has_recursion, 0
	.set _ZN9rocsparseL18bsrxmvn_3x3_kernelILj256ELj32Efli18rocsparse_bfloat16S1_fEEvT3_20rocsparse_direction_NS_24const_host_device_scalarIT1_EES2_PKS2_PKT2_SB_S8_PKT4_PKT5_S6_PT6_21rocsparse_index_base_b.has_indirect_call, 0
	.section	.AMDGPU.csdata,"",@progbits
; Kernel info:
; codeLenInByte = 2016
; TotalNumSgprs: 20
; NumVgprs: 29
; ScratchSize: 0
; MemoryBound: 0
; FloatMode: 240
; IeeeMode: 1
; LDSByteSize: 0 bytes/workgroup (compile time only)
; SGPRBlocks: 0
; VGPRBlocks: 3
; NumSGPRsForWavesPerEU: 20
; NumVGPRsForWavesPerEU: 29
; Occupancy: 16
; WaveLimiterHint : 1
; COMPUTE_PGM_RSRC2:SCRATCH_EN: 0
; COMPUTE_PGM_RSRC2:USER_SGPR: 2
; COMPUTE_PGM_RSRC2:TRAP_HANDLER: 0
; COMPUTE_PGM_RSRC2:TGID_X_EN: 1
; COMPUTE_PGM_RSRC2:TGID_Y_EN: 0
; COMPUTE_PGM_RSRC2:TGID_Z_EN: 0
; COMPUTE_PGM_RSRC2:TIDIG_COMP_CNT: 0
	.section	.text._ZN9rocsparseL18bsrxmvn_3x3_kernelILj256ELj64Efli18rocsparse_bfloat16S1_fEEvT3_20rocsparse_direction_NS_24const_host_device_scalarIT1_EES2_PKS2_PKT2_SB_S8_PKT4_PKT5_S6_PT6_21rocsparse_index_base_b,"axG",@progbits,_ZN9rocsparseL18bsrxmvn_3x3_kernelILj256ELj64Efli18rocsparse_bfloat16S1_fEEvT3_20rocsparse_direction_NS_24const_host_device_scalarIT1_EES2_PKS2_PKT2_SB_S8_PKT4_PKT5_S6_PT6_21rocsparse_index_base_b,comdat
	.globl	_ZN9rocsparseL18bsrxmvn_3x3_kernelILj256ELj64Efli18rocsparse_bfloat16S1_fEEvT3_20rocsparse_direction_NS_24const_host_device_scalarIT1_EES2_PKS2_PKT2_SB_S8_PKT4_PKT5_S6_PT6_21rocsparse_index_base_b ; -- Begin function _ZN9rocsparseL18bsrxmvn_3x3_kernelILj256ELj64Efli18rocsparse_bfloat16S1_fEEvT3_20rocsparse_direction_NS_24const_host_device_scalarIT1_EES2_PKS2_PKT2_SB_S8_PKT4_PKT5_S6_PT6_21rocsparse_index_base_b
	.p2align	8
	.type	_ZN9rocsparseL18bsrxmvn_3x3_kernelILj256ELj64Efli18rocsparse_bfloat16S1_fEEvT3_20rocsparse_direction_NS_24const_host_device_scalarIT1_EES2_PKS2_PKT2_SB_S8_PKT4_PKT5_S6_PT6_21rocsparse_index_base_b,@function
_ZN9rocsparseL18bsrxmvn_3x3_kernelILj256ELj64Efli18rocsparse_bfloat16S1_fEEvT3_20rocsparse_direction_NS_24const_host_device_scalarIT1_EES2_PKS2_PKT2_SB_S8_PKT4_PKT5_S6_PT6_21rocsparse_index_base_b: ; @_ZN9rocsparseL18bsrxmvn_3x3_kernelILj256ELj64Efli18rocsparse_bfloat16S1_fEEvT3_20rocsparse_direction_NS_24const_host_device_scalarIT1_EES2_PKS2_PKT2_SB_S8_PKT4_PKT5_S6_PT6_21rocsparse_index_base_b
; %bb.0:
	s_clause 0x2
	s_load_b64 s[16:17], s[0:1], 0x58
	s_load_b64 s[14:15], s[0:1], 0x8
	s_load_b64 s[12:13], s[0:1], 0x48
	s_wait_kmcnt 0x0
	s_bitcmp1_b32 s17, 0
	s_cselect_b32 s2, -1, 0
	s_delay_alu instid0(SALU_CYCLE_1)
	s_and_b32 vcc_lo, exec_lo, s2
	s_xor_b32 s2, s2, -1
	s_cbranch_vccnz .LBB114_2
; %bb.1:
	s_load_b32 s14, s[14:15], 0x0
.LBB114_2:
	s_and_not1_b32 vcc_lo, exec_lo, s2
	s_cbranch_vccnz .LBB114_4
; %bb.3:
	s_load_b32 s12, s[12:13], 0x0
.LBB114_4:
	s_wait_kmcnt 0x0
	s_cmp_neq_f32 s14, 0
	s_mov_b32 s6, 0
	s_cselect_b32 s2, -1, 0
	s_cmp_neq_f32 s12, 1.0
	s_cselect_b32 s3, -1, 0
	s_delay_alu instid0(SALU_CYCLE_1) | instskip(NEXT) | instid1(SALU_CYCLE_1)
	s_or_b32 s2, s2, s3
	s_and_not1_b32 vcc_lo, exec_lo, s2
	s_cbranch_vccnz .LBB114_10
; %bb.5:
	s_clause 0x1
	s_load_b64 s[4:5], s[0:1], 0x18
	s_load_b64 s[2:3], s[0:1], 0x0
	v_lshrrev_b32_e32 v1, 6, v0
	s_delay_alu instid0(VALU_DEP_1)
	v_lshl_or_b32 v1, ttmp9, 2, v1
	s_wait_kmcnt 0x0
	s_cmp_lg_u64 s[4:5], 0
	s_cbranch_scc0 .LBB114_11
; %bb.6:
	s_load_b32 s6, s[0:1], 0x10
	s_mov_b32 s7, 0
                                        ; implicit-def: $vgpr2
	s_wait_kmcnt 0x0
	v_cmp_gt_i32_e32 vcc_lo, s6, v1
	s_mov_b32 s6, 0
	s_and_saveexec_b32 s8, vcc_lo
	s_delay_alu instid0(SALU_CYCLE_1)
	s_xor_b32 s8, exec_lo, s8
	s_cbranch_execz .LBB114_8
; %bb.7:
	v_ashrrev_i32_e32 v2, 31, v1
	s_mov_b32 s6, exec_lo
	s_delay_alu instid0(VALU_DEP_1) | instskip(NEXT) | instid1(VALU_DEP_1)
	v_lshlrev_b64_e32 v[2:3], 2, v[1:2]
	v_add_co_u32 v2, vcc_lo, s4, v2
	s_delay_alu instid0(VALU_DEP_1)
	v_add_co_ci_u32_e64 v3, null, s5, v3, vcc_lo
	global_load_b32 v2, v[2:3], off
	s_wait_loadcnt 0x0
	v_subrev_nc_u32_e32 v2, s16, v2
.LBB114_8:
	s_or_b32 exec_lo, exec_lo, s8
	s_delay_alu instid0(SALU_CYCLE_1)
	s_and_b32 vcc_lo, exec_lo, s7
	s_wait_alu 0xfffe
	s_cbranch_vccz .LBB114_12
.LBB114_9:
	v_cmp_gt_i32_e32 vcc_lo, s2, v1
	s_and_not1_b32 s2, s6, exec_lo
	s_and_b32 s4, vcc_lo, exec_lo
	s_wait_alu 0xfffe
	s_or_b32 s6, s2, s4
	s_wait_alu 0xfffe
	s_and_saveexec_b32 s2, s6
	s_cbranch_execnz .LBB114_13
.LBB114_10:
	s_endpgm
.LBB114_11:
                                        ; implicit-def: $vgpr2
	s_cbranch_execnz .LBB114_9
.LBB114_12:
	v_mov_b32_e32 v1, v2
	s_and_saveexec_b32 s2, s6
	s_cbranch_execz .LBB114_10
.LBB114_13:
	s_load_b256 s[4:11], s[0:1], 0x20
	s_delay_alu instid0(VALU_DEP_1) | instskip(SKIP_2) | instid1(VALU_DEP_3)
	v_ashrrev_i32_e32 v2, 31, v1
	v_and_b32_e32 v0, 63, v0
	v_mov_b32_e32 v14, 0
	v_lshlrev_b64_e32 v[2:3], 3, v[1:2]
	s_wait_kmcnt 0x0
	s_delay_alu instid0(VALU_DEP_1) | instskip(SKIP_1) | instid1(VALU_DEP_2)
	v_add_co_u32 v4, vcc_lo, s4, v2
	s_wait_alu 0xfffd
	v_add_co_ci_u32_e64 v5, null, s5, v3, vcc_lo
	v_add_co_u32 v2, vcc_lo, s6, v2
	s_wait_alu 0xfffd
	v_add_co_ci_u32_e64 v3, null, s7, v3, vcc_lo
	global_load_b64 v[6:7], v[4:5], off
	v_add_co_u32 v4, vcc_lo, v4, 8
	s_wait_alu 0xfffd
	v_add_co_ci_u32_e64 v5, null, 0, v5, vcc_lo
	s_cmp_eq_u64 s[6:7], 0
	s_load_b64 s[4:5], s[0:1], 0x40
	s_cselect_b32 vcc_lo, -1, 0
	s_cmp_eq_u32 s3, 1
	s_wait_alu 0xfffe
	v_dual_cndmask_b32 v3, v3, v5 :: v_dual_cndmask_b32 v2, v2, v4
	global_load_b64 v[8:9], v[2:3], off
	s_wait_loadcnt 0x1
	v_sub_co_u32 v2, vcc_lo, v6, s16
	s_wait_alu 0xfffd
	v_subrev_co_ci_u32_e64 v3, null, 0, v7, vcc_lo
	s_delay_alu instid0(VALU_DEP_2) | instskip(SKIP_1) | instid1(VALU_DEP_2)
	v_add_co_u32 v2, vcc_lo, v2, v0
	s_wait_alu 0xfffd
	v_add_co_ci_u32_e64 v3, null, 0, v3, vcc_lo
	s_delay_alu instid0(VALU_DEP_2) | instskip(NEXT) | instid1(VALU_DEP_1)
	v_mad_co_u64_u32 v[4:5], null, v2, 18, s[10:11]
	v_mad_co_u64_u32 v[5:6], null, v3, 18, v[5:6]
	s_wait_loadcnt 0x0
	v_sub_co_u32 v6, vcc_lo, v8, s16
	s_wait_alu 0xfffd
	v_subrev_co_ci_u32_e64 v7, null, 0, v9, vcc_lo
	s_delay_alu instid0(VALU_DEP_1)
	v_cmp_lt_i64_e64 s2, v[2:3], v[6:7]
	s_cbranch_scc1 .LBB114_19
; %bb.14:
	v_dual_mov_b32 v15, 0 :: v_dual_mov_b32 v16, 0
	s_and_saveexec_b32 s6, s2
	s_cbranch_execz .LBB114_18
; %bb.15:
	v_lshlrev_b64_e32 v[10:11], 2, v[2:3]
	v_dual_mov_b32 v14, 0 :: v_dual_mov_b32 v9, v5
	v_dual_mov_b32 v8, v4 :: v_dual_mov_b32 v13, v3
	;; [unrolled: 1-line block ×3, first 2 shown]
	s_delay_alu instid0(VALU_DEP_4)
	v_add_co_u32 v10, vcc_lo, s8, v10
	s_wait_alu 0xfffd
	v_add_co_ci_u32_e64 v11, null, s9, v11, vcc_lo
	v_mov_b32_e32 v16, 0
	s_mov_b32 s7, 0
.LBB114_16:                             ; =>This Inner Loop Header: Depth=1
	global_load_b32 v17, v[10:11], off
	s_wait_loadcnt 0x0
	v_subrev_nc_u32_e32 v17, s16, v17
	s_delay_alu instid0(VALU_DEP_1) | instskip(NEXT) | instid1(VALU_DEP_1)
	v_lshl_add_u32 v17, v17, 1, v17
	v_ashrrev_i32_e32 v18, 31, v17
	s_delay_alu instid0(VALU_DEP_1) | instskip(SKIP_1) | instid1(VALU_DEP_1)
	v_lshlrev_b64_e32 v[17:18], 1, v[17:18]
	s_wait_kmcnt 0x0
	v_add_co_u32 v21, vcc_lo, s4, v17
	s_wait_alu 0xfffd
	s_delay_alu instid0(VALU_DEP_2)
	v_add_co_ci_u32_e64 v22, null, s5, v18, vcc_lo
	v_add_co_u32 v12, vcc_lo, v12, 64
	global_load_b128 v[17:20], v[8:9], off
	global_load_b32 v23, v[21:22], off
	global_load_u16 v24, v[8:9], off offset:16
	global_load_u16 v21, v[21:22], off offset:4
	s_wait_alu 0xfffd
	v_add_co_ci_u32_e64 v13, null, 0, v13, vcc_lo
	v_add_co_u32 v8, vcc_lo, 0x480, v8
	s_wait_alu 0xfffd
	v_add_co_ci_u32_e64 v9, null, 0, v9, vcc_lo
	s_delay_alu instid0(VALU_DEP_3) | instskip(SKIP_4) | instid1(VALU_DEP_3)
	v_cmp_ge_i64_e64 s3, v[12:13], v[6:7]
	v_add_co_u32 v10, vcc_lo, 0x100, v10
	s_wait_alu 0xfffd
	v_add_co_ci_u32_e64 v11, null, 0, v11, vcc_lo
	s_wait_alu 0xfffe
	s_or_b32 s7, s3, s7
	s_wait_loadcnt 0x2
	v_lshlrev_b32_e32 v28, 16, v23
	s_wait_loadcnt 0x0
	v_lshlrev_b32_e32 v21, 16, v21
	v_lshlrev_b32_e32 v26, 16, v19
	v_and_b32_e32 v23, 0xffff0000, v23
	v_lshlrev_b32_e32 v27, 16, v20
	v_lshlrev_b32_e32 v25, 16, v18
	v_and_b32_e32 v18, 0xffff0000, v18
	v_lshlrev_b32_e32 v22, 16, v17
	v_and_b32_e32 v20, 0xffff0000, v20
	s_delay_alu instid0(VALU_DEP_3) | instskip(NEXT) | instid1(VALU_DEP_3)
	v_fmac_f32_e32 v15, v18, v28
	v_dual_fmac_f32 v16, v22, v28 :: v_dual_and_b32 v17, 0xffff0000, v17
	v_lshlrev_b32_e32 v18, 16, v24
	s_delay_alu instid0(VALU_DEP_2) | instskip(SKIP_1) | instid1(VALU_DEP_1)
	v_fmac_f32_e32 v16, v17, v23
	v_fmac_f32_e32 v14, v27, v28
	;; [unrolled: 1-line block ×3, first 2 shown]
	s_delay_alu instid0(VALU_DEP_3) | instskip(NEXT) | instid1(VALU_DEP_2)
	v_dual_fmac_f32 v16, v25, v21 :: v_dual_and_b32 v19, 0xffff0000, v19
	v_fmac_f32_e32 v14, v18, v21
	v_fmac_f32_e32 v15, v26, v23
	s_delay_alu instid0(VALU_DEP_1)
	v_fmac_f32_e32 v15, v19, v21
	s_wait_alu 0xfffe
	s_and_not1_b32 exec_lo, exec_lo, s7
	s_cbranch_execnz .LBB114_16
; %bb.17:
	s_or_b32 exec_lo, exec_lo, s7
.LBB114_18:
	s_wait_alu 0xfffe
	s_or_b32 exec_lo, exec_lo, s6
	s_cbranch_execz .LBB114_20
	s_branch .LBB114_25
.LBB114_19:
                                        ; implicit-def: $vgpr14
                                        ; implicit-def: $vgpr15
                                        ; implicit-def: $vgpr16
.LBB114_20:
	v_dual_mov_b32 v14, 0 :: v_dual_mov_b32 v15, 0
	v_mov_b32_e32 v16, 0
	s_and_saveexec_b32 s3, s2
	s_cbranch_execz .LBB114_24
; %bb.21:
	v_lshlrev_b64_e32 v[8:9], 2, v[2:3]
	v_dual_mov_b32 v14, 0 :: v_dual_mov_b32 v15, 0
	v_mov_b32_e32 v16, 0
	s_mov_b32 s6, 0
	s_delay_alu instid0(VALU_DEP_3)
	v_add_co_u32 v8, vcc_lo, s8, v8
	s_wait_alu 0xfffd
	v_add_co_ci_u32_e64 v9, null, s9, v9, vcc_lo
.LBB114_22:                             ; =>This Inner Loop Header: Depth=1
	global_load_b32 v10, v[8:9], off
	s_wait_loadcnt 0x0
	v_subrev_nc_u32_e32 v10, s16, v10
	s_delay_alu instid0(VALU_DEP_1) | instskip(NEXT) | instid1(VALU_DEP_1)
	v_lshl_add_u32 v10, v10, 1, v10
	v_ashrrev_i32_e32 v11, 31, v10
	s_delay_alu instid0(VALU_DEP_1) | instskip(SKIP_1) | instid1(VALU_DEP_1)
	v_lshlrev_b64_e32 v[10:11], 1, v[10:11]
	s_wait_kmcnt 0x0
	v_add_co_u32 v17, vcc_lo, s4, v10
	s_wait_alu 0xfffd
	s_delay_alu instid0(VALU_DEP_2)
	v_add_co_ci_u32_e64 v18, null, s5, v11, vcc_lo
	v_add_co_u32 v2, vcc_lo, v2, 64
	global_load_b128 v[10:13], v[4:5], off
	global_load_b32 v19, v[17:18], off
	global_load_u16 v20, v[4:5], off offset:16
	global_load_u16 v17, v[17:18], off offset:4
	s_wait_alu 0xfffd
	v_add_co_ci_u32_e64 v3, null, 0, v3, vcc_lo
	v_add_co_u32 v4, vcc_lo, 0x480, v4
	s_wait_alu 0xfffd
	v_add_co_ci_u32_e64 v5, null, 0, v5, vcc_lo
	s_delay_alu instid0(VALU_DEP_3) | instskip(SKIP_4) | instid1(VALU_DEP_3)
	v_cmp_ge_i64_e64 s2, v[2:3], v[6:7]
	v_add_co_u32 v8, vcc_lo, 0x100, v8
	s_wait_alu 0xfffd
	v_add_co_ci_u32_e64 v9, null, 0, v9, vcc_lo
	s_wait_alu 0xfffe
	s_or_b32 s6, s2, s6
	s_wait_loadcnt 0x2
	v_lshlrev_b32_e32 v24, 16, v19
	v_lshlrev_b32_e32 v18, 16, v10
	s_wait_loadcnt 0x0
	v_lshlrev_b32_e32 v17, 16, v17
	v_and_b32_e32 v19, 0xffff0000, v19
	v_lshlrev_b32_e32 v23, 16, v13
	v_and_b32_e32 v13, 0xffff0000, v13
	;; [unrolled: 2-line block ×3, first 2 shown]
	v_and_b32_e32 v12, 0xffff0000, v12
	s_delay_alu instid0(VALU_DEP_2) | instskip(SKIP_3) | instid1(VALU_DEP_3)
	v_fmac_f32_e32 v15, v10, v24
	v_dual_fmac_f32 v16, v18, v24 :: v_dual_lshlrev_b32 v21, 16, v11
	v_and_b32_e32 v11, 0xffff0000, v11
	v_lshlrev_b32_e32 v10, 16, v20
	v_fmac_f32_e32 v14, v21, v24
	s_delay_alu instid0(VALU_DEP_3) | instskip(NEXT) | instid1(VALU_DEP_1)
	v_fmac_f32_e32 v16, v11, v19
	v_dual_fmac_f32 v16, v23, v17 :: v_dual_fmac_f32 v15, v22, v19
	s_delay_alu instid0(VALU_DEP_1) | instskip(NEXT) | instid1(VALU_DEP_1)
	v_dual_fmac_f32 v14, v12, v19 :: v_dual_fmac_f32 v15, v13, v17
	v_fmac_f32_e32 v14, v10, v17
	s_wait_alu 0xfffe
	s_and_not1_b32 exec_lo, exec_lo, s6
	s_cbranch_execnz .LBB114_22
; %bb.23:
	s_or_b32 exec_lo, exec_lo, s6
.LBB114_24:
	s_wait_alu 0xfffe
	s_or_b32 exec_lo, exec_lo, s3
.LBB114_25:
	v_mbcnt_lo_u32_b32 v2, -1, 0
	s_mov_b32 s2, -1
	s_delay_alu instid0(VALU_DEP_1) | instskip(SKIP_2) | instid1(VALU_DEP_3)
	v_or_b32_e32 v3, 32, v2
	v_xor_b32_e32 v6, 16, v2
	v_xor_b32_e32 v9, 8, v2
	v_cmp_gt_i32_e32 vcc_lo, 32, v3
	s_wait_alu 0xfffd
	v_cndmask_b32_e32 v3, v2, v3, vcc_lo
	v_cmp_gt_i32_e32 vcc_lo, 32, v6
	s_wait_alu 0xfffd
	v_cndmask_b32_e32 v6, v2, v6, vcc_lo
	v_cmp_gt_i32_e32 vcc_lo, 32, v9
	s_delay_alu instid0(VALU_DEP_2)
	v_lshlrev_b32_e32 v6, 2, v6
	v_lshlrev_b32_e32 v3, 2, v3
	ds_bpermute_b32 v4, v3, v16
	s_wait_dscnt 0x0
	v_add_f32_e32 v4, v16, v4
	ds_bpermute_b32 v5, v3, v15
	ds_bpermute_b32 v3, v3, v14
	;; [unrolled: 1-line block ×3, first 2 shown]
	s_wait_alu 0xfffd
	v_cndmask_b32_e32 v9, v2, v9, vcc_lo
	s_wait_dscnt 0x0
	v_dual_add_f32 v5, v15, v5 :: v_dual_add_f32 v4, v4, v7
	v_add_f32_e32 v3, v14, v3
	ds_bpermute_b32 v8, v6, v5
	v_lshlrev_b32_e32 v9, 2, v9
	ds_bpermute_b32 v6, v6, v3
	s_wait_dscnt 0x1
	v_add_f32_e32 v5, v5, v8
	s_wait_dscnt 0x0
	v_add_f32_e32 v3, v3, v6
	ds_bpermute_b32 v6, v9, v4
	ds_bpermute_b32 v7, v9, v5
	;; [unrolled: 1-line block ×3, first 2 shown]
	v_xor_b32_e32 v9, 4, v2
	s_delay_alu instid0(VALU_DEP_1)
	v_cmp_gt_i32_e32 vcc_lo, 32, v9
	s_wait_dscnt 0x1
	v_dual_add_f32 v4, v4, v6 :: v_dual_add_f32 v5, v5, v7
	s_wait_dscnt 0x0
	v_add_f32_e32 v3, v3, v8
	s_wait_alu 0xfffd
	v_cndmask_b32_e32 v9, v2, v9, vcc_lo
	s_delay_alu instid0(VALU_DEP_1) | instskip(SKIP_4) | instid1(VALU_DEP_1)
	v_lshlrev_b32_e32 v9, 2, v9
	ds_bpermute_b32 v6, v9, v4
	ds_bpermute_b32 v7, v9, v5
	;; [unrolled: 1-line block ×3, first 2 shown]
	v_xor_b32_e32 v9, 2, v2
	v_cmp_gt_i32_e32 vcc_lo, 32, v9
	s_wait_alu 0xfffd
	v_cndmask_b32_e32 v9, v2, v9, vcc_lo
	s_wait_dscnt 0x2
	s_delay_alu instid0(VALU_DEP_1)
	v_dual_add_f32 v4, v4, v6 :: v_dual_lshlrev_b32 v9, 2, v9
	s_wait_dscnt 0x0
	v_dual_add_f32 v5, v5, v7 :: v_dual_add_f32 v6, v3, v8
	ds_bpermute_b32 v3, v9, v4
	ds_bpermute_b32 v7, v9, v5
	;; [unrolled: 1-line block ×3, first 2 shown]
	v_xor_b32_e32 v9, 1, v2
	s_delay_alu instid0(VALU_DEP_1) | instskip(SKIP_4) | instid1(VALU_DEP_2)
	v_cmp_gt_i32_e32 vcc_lo, 32, v9
	s_wait_alu 0xfffd
	v_cndmask_b32_e32 v2, v2, v9, vcc_lo
	v_cmp_eq_u32_e32 vcc_lo, 63, v0
	s_wait_dscnt 0x2
	v_dual_add_f32 v2, v4, v3 :: v_dual_lshlrev_b32 v9, 2, v2
	s_wait_dscnt 0x0
	v_dual_add_f32 v3, v5, v7 :: v_dual_add_f32 v4, v6, v8
	ds_bpermute_b32 v5, v9, v2
	ds_bpermute_b32 v6, v9, v3
	;; [unrolled: 1-line block ×3, first 2 shown]
	s_and_b32 exec_lo, exec_lo, vcc_lo
	s_cbranch_execz .LBB114_10
; %bb.26:
	s_load_b64 s[0:1], s[0:1], 0x50
	s_wait_dscnt 0x2
	v_add_f32_e32 v0, v2, v5
	s_wait_dscnt 0x1
	v_add_f32_e32 v2, v3, v6
	;; [unrolled: 2-line block ×3, first 2 shown]
	v_lshl_add_u32 v3, v1, 1, v1
	s_cmp_eq_f32 s12, 0
	v_dual_mul_f32 v1, s14, v2 :: v_dual_mul_f32 v0, s14, v0
	s_delay_alu instid0(VALU_DEP_3) | instskip(NEXT) | instid1(VALU_DEP_3)
	v_mul_f32_e32 v2, s14, v4
	v_ashrrev_i32_e32 v4, 31, v3
	s_cbranch_scc0 .LBB114_28
; %bb.27:
	s_delay_alu instid0(VALU_DEP_1) | instskip(SKIP_2) | instid1(VALU_DEP_1)
	v_lshlrev_b64_e32 v[5:6], 2, v[3:4]
	s_mov_b32 s2, 0
	s_wait_kmcnt 0x0
	v_add_co_u32 v5, vcc_lo, s0, v5
	s_wait_alu 0xfffd
	s_delay_alu instid0(VALU_DEP_2)
	v_add_co_ci_u32_e64 v6, null, s1, v6, vcc_lo
	global_store_b96 v[5:6], v[0:2], off
.LBB114_28:
	s_wait_alu 0xfffe
	s_and_not1_b32 vcc_lo, exec_lo, s2
	s_wait_alu 0xfffe
	s_cbranch_vccnz .LBB114_10
; %bb.29:
	v_lshlrev_b64_e32 v[3:4], 2, v[3:4]
	s_wait_kmcnt 0x0
	s_delay_alu instid0(VALU_DEP_1) | instskip(SKIP_1) | instid1(VALU_DEP_2)
	v_add_co_u32 v6, vcc_lo, s0, v3
	s_wait_alu 0xfffd
	v_add_co_ci_u32_e64 v7, null, s1, v4, vcc_lo
	global_load_b96 v[3:5], v[6:7], off
	s_wait_loadcnt 0x0
	v_dual_fmac_f32 v0, s12, v3 :: v_dual_fmac_f32 v1, s12, v4
	v_fmac_f32_e32 v2, s12, v5
	global_store_b96 v[6:7], v[0:2], off
	s_endpgm
	.section	.rodata,"a",@progbits
	.p2align	6, 0x0
	.amdhsa_kernel _ZN9rocsparseL18bsrxmvn_3x3_kernelILj256ELj64Efli18rocsparse_bfloat16S1_fEEvT3_20rocsparse_direction_NS_24const_host_device_scalarIT1_EES2_PKS2_PKT2_SB_S8_PKT4_PKT5_S6_PT6_21rocsparse_index_base_b
		.amdhsa_group_segment_fixed_size 0
		.amdhsa_private_segment_fixed_size 0
		.amdhsa_kernarg_size 96
		.amdhsa_user_sgpr_count 2
		.amdhsa_user_sgpr_dispatch_ptr 0
		.amdhsa_user_sgpr_queue_ptr 0
		.amdhsa_user_sgpr_kernarg_segment_ptr 1
		.amdhsa_user_sgpr_dispatch_id 0
		.amdhsa_user_sgpr_private_segment_size 0
		.amdhsa_wavefront_size32 1
		.amdhsa_uses_dynamic_stack 0
		.amdhsa_enable_private_segment 0
		.amdhsa_system_sgpr_workgroup_id_x 1
		.amdhsa_system_sgpr_workgroup_id_y 0
		.amdhsa_system_sgpr_workgroup_id_z 0
		.amdhsa_system_sgpr_workgroup_info 0
		.amdhsa_system_vgpr_workitem_id 0
		.amdhsa_next_free_vgpr 29
		.amdhsa_next_free_sgpr 18
		.amdhsa_reserve_vcc 1
		.amdhsa_float_round_mode_32 0
		.amdhsa_float_round_mode_16_64 0
		.amdhsa_float_denorm_mode_32 3
		.amdhsa_float_denorm_mode_16_64 3
		.amdhsa_fp16_overflow 0
		.amdhsa_workgroup_processor_mode 1
		.amdhsa_memory_ordered 1
		.amdhsa_forward_progress 1
		.amdhsa_inst_pref_size 17
		.amdhsa_round_robin_scheduling 0
		.amdhsa_exception_fp_ieee_invalid_op 0
		.amdhsa_exception_fp_denorm_src 0
		.amdhsa_exception_fp_ieee_div_zero 0
		.amdhsa_exception_fp_ieee_overflow 0
		.amdhsa_exception_fp_ieee_underflow 0
		.amdhsa_exception_fp_ieee_inexact 0
		.amdhsa_exception_int_div_zero 0
	.end_amdhsa_kernel
	.section	.text._ZN9rocsparseL18bsrxmvn_3x3_kernelILj256ELj64Efli18rocsparse_bfloat16S1_fEEvT3_20rocsparse_direction_NS_24const_host_device_scalarIT1_EES2_PKS2_PKT2_SB_S8_PKT4_PKT5_S6_PT6_21rocsparse_index_base_b,"axG",@progbits,_ZN9rocsparseL18bsrxmvn_3x3_kernelILj256ELj64Efli18rocsparse_bfloat16S1_fEEvT3_20rocsparse_direction_NS_24const_host_device_scalarIT1_EES2_PKS2_PKT2_SB_S8_PKT4_PKT5_S6_PT6_21rocsparse_index_base_b,comdat
.Lfunc_end114:
	.size	_ZN9rocsparseL18bsrxmvn_3x3_kernelILj256ELj64Efli18rocsparse_bfloat16S1_fEEvT3_20rocsparse_direction_NS_24const_host_device_scalarIT1_EES2_PKS2_PKT2_SB_S8_PKT4_PKT5_S6_PT6_21rocsparse_index_base_b, .Lfunc_end114-_ZN9rocsparseL18bsrxmvn_3x3_kernelILj256ELj64Efli18rocsparse_bfloat16S1_fEEvT3_20rocsparse_direction_NS_24const_host_device_scalarIT1_EES2_PKS2_PKT2_SB_S8_PKT4_PKT5_S6_PT6_21rocsparse_index_base_b
                                        ; -- End function
	.set _ZN9rocsparseL18bsrxmvn_3x3_kernelILj256ELj64Efli18rocsparse_bfloat16S1_fEEvT3_20rocsparse_direction_NS_24const_host_device_scalarIT1_EES2_PKS2_PKT2_SB_S8_PKT4_PKT5_S6_PT6_21rocsparse_index_base_b.num_vgpr, 29
	.set _ZN9rocsparseL18bsrxmvn_3x3_kernelILj256ELj64Efli18rocsparse_bfloat16S1_fEEvT3_20rocsparse_direction_NS_24const_host_device_scalarIT1_EES2_PKS2_PKT2_SB_S8_PKT4_PKT5_S6_PT6_21rocsparse_index_base_b.num_agpr, 0
	.set _ZN9rocsparseL18bsrxmvn_3x3_kernelILj256ELj64Efli18rocsparse_bfloat16S1_fEEvT3_20rocsparse_direction_NS_24const_host_device_scalarIT1_EES2_PKS2_PKT2_SB_S8_PKT4_PKT5_S6_PT6_21rocsparse_index_base_b.numbered_sgpr, 18
	.set _ZN9rocsparseL18bsrxmvn_3x3_kernelILj256ELj64Efli18rocsparse_bfloat16S1_fEEvT3_20rocsparse_direction_NS_24const_host_device_scalarIT1_EES2_PKS2_PKT2_SB_S8_PKT4_PKT5_S6_PT6_21rocsparse_index_base_b.num_named_barrier, 0
	.set _ZN9rocsparseL18bsrxmvn_3x3_kernelILj256ELj64Efli18rocsparse_bfloat16S1_fEEvT3_20rocsparse_direction_NS_24const_host_device_scalarIT1_EES2_PKS2_PKT2_SB_S8_PKT4_PKT5_S6_PT6_21rocsparse_index_base_b.private_seg_size, 0
	.set _ZN9rocsparseL18bsrxmvn_3x3_kernelILj256ELj64Efli18rocsparse_bfloat16S1_fEEvT3_20rocsparse_direction_NS_24const_host_device_scalarIT1_EES2_PKS2_PKT2_SB_S8_PKT4_PKT5_S6_PT6_21rocsparse_index_base_b.uses_vcc, 1
	.set _ZN9rocsparseL18bsrxmvn_3x3_kernelILj256ELj64Efli18rocsparse_bfloat16S1_fEEvT3_20rocsparse_direction_NS_24const_host_device_scalarIT1_EES2_PKS2_PKT2_SB_S8_PKT4_PKT5_S6_PT6_21rocsparse_index_base_b.uses_flat_scratch, 0
	.set _ZN9rocsparseL18bsrxmvn_3x3_kernelILj256ELj64Efli18rocsparse_bfloat16S1_fEEvT3_20rocsparse_direction_NS_24const_host_device_scalarIT1_EES2_PKS2_PKT2_SB_S8_PKT4_PKT5_S6_PT6_21rocsparse_index_base_b.has_dyn_sized_stack, 0
	.set _ZN9rocsparseL18bsrxmvn_3x3_kernelILj256ELj64Efli18rocsparse_bfloat16S1_fEEvT3_20rocsparse_direction_NS_24const_host_device_scalarIT1_EES2_PKS2_PKT2_SB_S8_PKT4_PKT5_S6_PT6_21rocsparse_index_base_b.has_recursion, 0
	.set _ZN9rocsparseL18bsrxmvn_3x3_kernelILj256ELj64Efli18rocsparse_bfloat16S1_fEEvT3_20rocsparse_direction_NS_24const_host_device_scalarIT1_EES2_PKS2_PKT2_SB_S8_PKT4_PKT5_S6_PT6_21rocsparse_index_base_b.has_indirect_call, 0
	.section	.AMDGPU.csdata,"",@progbits
; Kernel info:
; codeLenInByte = 2084
; TotalNumSgprs: 20
; NumVgprs: 29
; ScratchSize: 0
; MemoryBound: 0
; FloatMode: 240
; IeeeMode: 1
; LDSByteSize: 0 bytes/workgroup (compile time only)
; SGPRBlocks: 0
; VGPRBlocks: 3
; NumSGPRsForWavesPerEU: 20
; NumVGPRsForWavesPerEU: 29
; Occupancy: 16
; WaveLimiterHint : 1
; COMPUTE_PGM_RSRC2:SCRATCH_EN: 0
; COMPUTE_PGM_RSRC2:USER_SGPR: 2
; COMPUTE_PGM_RSRC2:TRAP_HANDLER: 0
; COMPUTE_PGM_RSRC2:TGID_X_EN: 1
; COMPUTE_PGM_RSRC2:TGID_Y_EN: 0
; COMPUTE_PGM_RSRC2:TGID_Z_EN: 0
; COMPUTE_PGM_RSRC2:TIDIG_COMP_CNT: 0
	.section	.text._ZN9rocsparseL18bsrxmvn_3x3_kernelILj256ELj4Efll18rocsparse_bfloat16S1_fEEvT3_20rocsparse_direction_NS_24const_host_device_scalarIT1_EES2_PKS2_PKT2_SB_S8_PKT4_PKT5_S6_PT6_21rocsparse_index_base_b,"axG",@progbits,_ZN9rocsparseL18bsrxmvn_3x3_kernelILj256ELj4Efll18rocsparse_bfloat16S1_fEEvT3_20rocsparse_direction_NS_24const_host_device_scalarIT1_EES2_PKS2_PKT2_SB_S8_PKT4_PKT5_S6_PT6_21rocsparse_index_base_b,comdat
	.globl	_ZN9rocsparseL18bsrxmvn_3x3_kernelILj256ELj4Efll18rocsparse_bfloat16S1_fEEvT3_20rocsparse_direction_NS_24const_host_device_scalarIT1_EES2_PKS2_PKT2_SB_S8_PKT4_PKT5_S6_PT6_21rocsparse_index_base_b ; -- Begin function _ZN9rocsparseL18bsrxmvn_3x3_kernelILj256ELj4Efll18rocsparse_bfloat16S1_fEEvT3_20rocsparse_direction_NS_24const_host_device_scalarIT1_EES2_PKS2_PKT2_SB_S8_PKT4_PKT5_S6_PT6_21rocsparse_index_base_b
	.p2align	8
	.type	_ZN9rocsparseL18bsrxmvn_3x3_kernelILj256ELj4Efll18rocsparse_bfloat16S1_fEEvT3_20rocsparse_direction_NS_24const_host_device_scalarIT1_EES2_PKS2_PKT2_SB_S8_PKT4_PKT5_S6_PT6_21rocsparse_index_base_b,@function
_ZN9rocsparseL18bsrxmvn_3x3_kernelILj256ELj4Efll18rocsparse_bfloat16S1_fEEvT3_20rocsparse_direction_NS_24const_host_device_scalarIT1_EES2_PKS2_PKT2_SB_S8_PKT4_PKT5_S6_PT6_21rocsparse_index_base_b: ; @_ZN9rocsparseL18bsrxmvn_3x3_kernelILj256ELj4Efll18rocsparse_bfloat16S1_fEEvT3_20rocsparse_direction_NS_24const_host_device_scalarIT1_EES2_PKS2_PKT2_SB_S8_PKT4_PKT5_S6_PT6_21rocsparse_index_base_b
; %bb.0:
	s_clause 0x2
	s_load_b64 s[2:3], s[0:1], 0x60
	s_load_b128 s[12:15], s[0:1], 0x10
	s_load_b64 s[16:17], s[0:1], 0x50
	s_wait_kmcnt 0x0
	s_bitcmp1_b32 s3, 0
	s_cselect_b32 s3, -1, 0
	s_delay_alu instid0(SALU_CYCLE_1)
	s_and_b32 vcc_lo, exec_lo, s3
	s_xor_b32 s3, s3, -1
	s_cbranch_vccnz .LBB115_2
; %bb.1:
	s_load_b32 s12, s[12:13], 0x0
.LBB115_2:
	s_and_not1_b32 vcc_lo, exec_lo, s3
	s_cbranch_vccnz .LBB115_4
; %bb.3:
	s_load_b32 s16, s[16:17], 0x0
.LBB115_4:
	s_wait_kmcnt 0x0
	s_cmp_neq_f32 s12, 0
	s_mov_b32 s6, 0
	s_cselect_b32 s3, -1, 0
	s_cmp_neq_f32 s16, 1.0
	s_cselect_b32 s4, -1, 0
	s_delay_alu instid0(SALU_CYCLE_1) | instskip(NEXT) | instid1(SALU_CYCLE_1)
	s_or_b32 s3, s3, s4
	s_and_not1_b32 vcc_lo, exec_lo, s3
	s_cbranch_vccnz .LBB115_10
; %bb.5:
	s_load_b64 s[4:5], s[0:1], 0x20
	v_lshrrev_b32_e32 v1, 2, v0
	v_mov_b32_e32 v6, 0
	s_delay_alu instid0(VALU_DEP_2)
	v_lshl_or_b32 v5, ttmp9, 6, v1
	s_wait_kmcnt 0x0
	s_cmp_lg_u64 s[4:5], 0
	s_cbranch_scc0 .LBB115_11
; %bb.6:
	s_mov_b32 s7, 0
                                        ; implicit-def: $vgpr3_vgpr4
                                        ; implicit-def: $vgpr1_vgpr2
	s_mov_b32 s3, exec_lo
	v_cmpx_gt_i64_e64 s[14:15], v[5:6]
	s_xor_b32 s8, exec_lo, s3
	s_cbranch_execz .LBB115_8
; %bb.7:
	v_lshlrev_b64_e32 v[1:2], 3, v[5:6]
	s_mov_b32 s3, 0
	s_mov_b32 s6, exec_lo
	s_delay_alu instid0(VALU_DEP_1) | instskip(NEXT) | instid1(VALU_DEP_1)
	v_add_co_u32 v1, vcc_lo, s4, v1
	v_add_co_ci_u32_e64 v2, null, s5, v2, vcc_lo
	global_load_b64 v[1:2], v[1:2], off
	s_wait_loadcnt 0x0
	v_sub_co_u32 v3, vcc_lo, v1, s2
	s_wait_alu 0xfffd
	v_subrev_co_ci_u32_e64 v4, null, 0, v2, vcc_lo
	v_dual_mov_b32 v1, s2 :: v_dual_mov_b32 v2, s3
.LBB115_8:
	s_or_b32 exec_lo, exec_lo, s8
	s_delay_alu instid0(SALU_CYCLE_1)
	s_and_b32 vcc_lo, exec_lo, s7
	s_wait_alu 0xfffe
	s_cbranch_vccnz .LBB115_12
.LBB115_9:
	s_and_saveexec_b32 s2, s6
	s_cbranch_execnz .LBB115_15
.LBB115_10:
	s_endpgm
.LBB115_11:
                                        ; implicit-def: $vgpr3_vgpr4
                                        ; implicit-def: $vgpr1_vgpr2
	s_cbranch_execz .LBB115_9
.LBB115_12:
	s_load_b64 s[4:5], s[0:1], 0x0
	s_wait_kmcnt 0x0
	v_cmp_gt_i64_e32 vcc_lo, s[4:5], v[5:6]
	s_and_saveexec_b32 s4, vcc_lo
; %bb.13:
	s_mov_b32 s3, 0
	s_or_b32 s6, s6, exec_lo
; %bb.14:
	s_wait_alu 0xfffe
	s_or_b32 exec_lo, exec_lo, s4
	v_dual_mov_b32 v1, s2 :: v_dual_mov_b32 v2, s3
	v_dual_mov_b32 v3, v5 :: v_dual_mov_b32 v4, v6
	s_and_saveexec_b32 s2, s6
	s_cbranch_execz .LBB115_10
.LBB115_15:
	s_load_b256 s[4:11], s[0:1], 0x28
	s_delay_alu instid0(VALU_DEP_1) | instskip(SKIP_2) | instid1(VALU_DEP_2)
	v_lshlrev_b64_e32 v[5:6], 3, v[3:4]
	v_dual_mov_b32 v17, 0 :: v_dual_and_b32 v0, 3, v0
	s_wait_kmcnt 0x0
	v_add_co_u32 v7, vcc_lo, s4, v5
	s_wait_alu 0xfffd
	s_delay_alu instid0(VALU_DEP_3)
	v_add_co_ci_u32_e64 v8, null, s5, v6, vcc_lo
	v_add_co_u32 v5, vcc_lo, s6, v5
	s_wait_alu 0xfffd
	v_add_co_ci_u32_e64 v6, null, s7, v6, vcc_lo
	global_load_b64 v[9:10], v[7:8], off
	v_add_co_u32 v7, vcc_lo, v7, 8
	s_wait_alu 0xfffd
	v_add_co_ci_u32_e64 v8, null, 0, v8, vcc_lo
	s_cmp_eq_u64 s[6:7], 0
	s_cselect_b32 vcc_lo, -1, 0
	s_wait_alu 0xfffe
	v_dual_cndmask_b32 v6, v6, v8 :: v_dual_cndmask_b32 v5, v5, v7
	global_load_b64 v[11:12], v[5:6], off
	s_clause 0x1
	s_load_b32 s3, s[0:1], 0x8
	s_load_b64 s[4:5], s[0:1], 0x48
	s_wait_kmcnt 0x0
	s_cmp_eq_u32 s3, 1
	s_wait_loadcnt 0x1
	v_sub_co_u32 v5, vcc_lo, v9, v1
	s_wait_alu 0xfffd
	v_sub_co_ci_u32_e64 v6, null, v10, v2, vcc_lo
	s_delay_alu instid0(VALU_DEP_2) | instskip(SKIP_1) | instid1(VALU_DEP_2)
	v_add_co_u32 v5, vcc_lo, v5, v0
	s_wait_alu 0xfffd
	v_add_co_ci_u32_e64 v6, null, 0, v6, vcc_lo
	s_delay_alu instid0(VALU_DEP_2) | instskip(NEXT) | instid1(VALU_DEP_1)
	v_mad_co_u64_u32 v[7:8], null, v5, 18, s[10:11]
	v_mad_co_u64_u32 v[8:9], null, v6, 18, v[8:9]
	s_wait_loadcnt 0x0
	v_sub_co_u32 v9, vcc_lo, v11, v1
	s_wait_alu 0xfffd
	v_sub_co_ci_u32_e64 v10, null, v12, v2, vcc_lo
	s_delay_alu instid0(VALU_DEP_1)
	v_cmp_lt_i64_e64 s2, v[5:6], v[9:10]
	s_cbranch_scc1 .LBB115_21
; %bb.16:
	v_dual_mov_b32 v18, 0 :: v_dual_mov_b32 v19, 0
	s_and_saveexec_b32 s6, s2
	s_cbranch_execz .LBB115_20
; %bb.17:
	v_lshlrev_b64_e32 v[13:14], 3, v[5:6]
	v_dual_mov_b32 v17, 0 :: v_dual_mov_b32 v12, v8
	v_dual_mov_b32 v11, v7 :: v_dual_mov_b32 v16, v6
	;; [unrolled: 1-line block ×3, first 2 shown]
	s_delay_alu instid0(VALU_DEP_4)
	v_add_co_u32 v13, vcc_lo, s8, v13
	s_wait_alu 0xfffd
	v_add_co_ci_u32_e64 v14, null, s9, v14, vcc_lo
	v_mov_b32_e32 v19, 0
	s_mov_b32 s7, 0
.LBB115_18:                             ; =>This Inner Loop Header: Depth=1
	global_load_b64 v[20:21], v[13:14], off
	s_wait_loadcnt 0x0
	v_sub_co_u32 v20, vcc_lo, v20, v1
	s_wait_alu 0xfffd
	v_sub_co_ci_u32_e64 v21, null, v21, v2, vcc_lo
	v_add_co_u32 v15, vcc_lo, v15, 4
	s_delay_alu instid0(VALU_DEP_3) | instskip(SKIP_2) | instid1(VALU_DEP_1)
	v_mad_co_u64_u32 v[24:25], null, v20, 6, s[4:5]
	s_wait_alu 0xfffd
	v_add_co_ci_u32_e64 v16, null, 0, v16, vcc_lo
	v_cmp_ge_i64_e64 s3, v[15:16], v[9:10]
	s_delay_alu instid0(VALU_DEP_3) | instskip(SKIP_2) | instid1(VALU_DEP_1)
	v_mov_b32_e32 v20, v25
	s_wait_alu 0xfffe
	s_or_b32 s7, s3, s7
	v_mad_co_u64_u32 v[20:21], null, v21, 6, v[20:21]
	s_delay_alu instid0(VALU_DEP_1)
	v_mov_b32_e32 v25, v20
	global_load_b128 v[20:23], v[11:12], off
	global_load_b32 v26, v[24:25], off
	global_load_u16 v27, v[11:12], off offset:16
	global_load_u16 v24, v[24:25], off offset:4
	v_add_co_u32 v11, vcc_lo, 0x48, v11
	s_wait_alu 0xfffd
	v_add_co_ci_u32_e64 v12, null, 0, v12, vcc_lo
	v_add_co_u32 v13, vcc_lo, v13, 32
	s_wait_alu 0xfffd
	v_add_co_ci_u32_e64 v14, null, 0, v14, vcc_lo
	s_wait_loadcnt 0x2
	v_lshlrev_b32_e32 v31, 16, v26
	v_lshlrev_b32_e32 v28, 16, v21
	v_and_b32_e32 v21, 0xffff0000, v21
	v_lshlrev_b32_e32 v25, 16, v20
	v_and_b32_e32 v20, 0xffff0000, v20
	s_wait_loadcnt 0x0
	v_lshlrev_b32_e32 v24, 16, v24
	v_dual_fmac_f32 v18, v21, v31 :: v_dual_lshlrev_b32 v29, 16, v22
	v_dual_fmac_f32 v19, v25, v31 :: v_dual_and_b32 v26, 0xffff0000, v26
	v_lshlrev_b32_e32 v30, 16, v23
	v_lshlrev_b32_e32 v21, 16, v27
	s_delay_alu instid0(VALU_DEP_3) | instskip(NEXT) | instid1(VALU_DEP_3)
	v_fmac_f32_e32 v19, v20, v26
	v_dual_fmac_f32 v17, v30, v31 :: v_dual_and_b32 v22, 0xffff0000, v22
	s_delay_alu instid0(VALU_DEP_2) | instskip(SKIP_1) | instid1(VALU_DEP_1)
	v_fmac_f32_e32 v19, v28, v24
	v_dual_fmac_f32 v18, v29, v26 :: v_dual_and_b32 v23, 0xffff0000, v23
	v_dual_fmac_f32 v17, v23, v26 :: v_dual_fmac_f32 v18, v22, v24
	s_delay_alu instid0(VALU_DEP_1)
	v_fmac_f32_e32 v17, v21, v24
	s_wait_alu 0xfffe
	s_and_not1_b32 exec_lo, exec_lo, s7
	s_cbranch_execnz .LBB115_18
; %bb.19:
	s_or_b32 exec_lo, exec_lo, s7
.LBB115_20:
	s_wait_alu 0xfffe
	s_or_b32 exec_lo, exec_lo, s6
	s_cbranch_execz .LBB115_22
	s_branch .LBB115_27
.LBB115_21:
                                        ; implicit-def: $vgpr17
                                        ; implicit-def: $vgpr18
                                        ; implicit-def: $vgpr19
.LBB115_22:
	v_dual_mov_b32 v17, 0 :: v_dual_mov_b32 v18, 0
	v_mov_b32_e32 v19, 0
	s_and_saveexec_b32 s3, s2
	s_cbranch_execz .LBB115_26
; %bb.23:
	v_lshlrev_b64_e32 v[11:12], 3, v[5:6]
	v_dual_mov_b32 v17, 0 :: v_dual_mov_b32 v18, 0
	v_mov_b32_e32 v19, 0
	s_mov_b32 s6, 0
	s_delay_alu instid0(VALU_DEP_3)
	v_add_co_u32 v11, vcc_lo, s8, v11
	s_wait_alu 0xfffd
	v_add_co_ci_u32_e64 v12, null, s9, v12, vcc_lo
.LBB115_24:                             ; =>This Inner Loop Header: Depth=1
	global_load_b64 v[13:14], v[11:12], off
	s_wait_loadcnt 0x0
	v_sub_co_u32 v13, vcc_lo, v13, v1
	s_wait_alu 0xfffd
	v_sub_co_ci_u32_e64 v14, null, v14, v2, vcc_lo
	v_add_co_u32 v5, vcc_lo, v5, 4
	s_delay_alu instid0(VALU_DEP_3) | instskip(SKIP_2) | instid1(VALU_DEP_1)
	v_mad_co_u64_u32 v[20:21], null, v13, 6, s[4:5]
	s_wait_alu 0xfffd
	v_add_co_ci_u32_e64 v6, null, 0, v6, vcc_lo
	v_cmp_ge_i64_e64 s2, v[5:6], v[9:10]
	s_delay_alu instid0(VALU_DEP_3) | instskip(SKIP_2) | instid1(VALU_DEP_1)
	v_mov_b32_e32 v13, v21
	s_wait_alu 0xfffe
	s_or_b32 s6, s2, s6
	v_mad_co_u64_u32 v[13:14], null, v14, 6, v[13:14]
	s_delay_alu instid0(VALU_DEP_1)
	v_mov_b32_e32 v21, v13
	global_load_b128 v[13:16], v[7:8], off
	global_load_b32 v22, v[20:21], off
	global_load_u16 v23, v[7:8], off offset:16
	global_load_u16 v20, v[20:21], off offset:4
	v_add_co_u32 v7, vcc_lo, 0x48, v7
	s_wait_alu 0xfffd
	v_add_co_ci_u32_e64 v8, null, 0, v8, vcc_lo
	v_add_co_u32 v11, vcc_lo, v11, 32
	s_wait_alu 0xfffd
	v_add_co_ci_u32_e64 v12, null, 0, v12, vcc_lo
	s_wait_loadcnt 0x3
	v_lshlrev_b32_e32 v24, 16, v14
	s_wait_loadcnt 0x2
	v_lshlrev_b32_e32 v27, 16, v22
	v_lshlrev_b32_e32 v21, 16, v13
	v_and_b32_e32 v14, 0xffff0000, v14
	v_lshlrev_b32_e32 v26, 16, v16
	s_delay_alu instid0(VALU_DEP_4)
	v_dual_fmac_f32 v17, v24, v27 :: v_dual_and_b32 v16, 0xffff0000, v16
	s_wait_loadcnt 0x0
	v_lshlrev_b32_e32 v20, 16, v20
	v_lshlrev_b32_e32 v25, 16, v15
	v_and_b32_e32 v22, 0xffff0000, v22
	v_and_b32_e32 v13, 0xffff0000, v13
	;; [unrolled: 1-line block ×3, first 2 shown]
	s_delay_alu instid0(VALU_DEP_2) | instskip(SKIP_2) | instid1(VALU_DEP_2)
	v_fmac_f32_e32 v18, v13, v27
	v_fmac_f32_e32 v19, v21, v27
	v_lshlrev_b32_e32 v13, 16, v23
	v_fmac_f32_e32 v19, v14, v22
	s_delay_alu instid0(VALU_DEP_1) | instskip(NEXT) | instid1(VALU_DEP_1)
	v_dual_fmac_f32 v19, v26, v20 :: v_dual_fmac_f32 v18, v25, v22
	v_dual_fmac_f32 v17, v15, v22 :: v_dual_fmac_f32 v18, v16, v20
	s_delay_alu instid0(VALU_DEP_1)
	v_fmac_f32_e32 v17, v13, v20
	s_wait_alu 0xfffe
	s_and_not1_b32 exec_lo, exec_lo, s6
	s_cbranch_execnz .LBB115_24
; %bb.25:
	s_or_b32 exec_lo, exec_lo, s6
.LBB115_26:
	s_wait_alu 0xfffe
	s_or_b32 exec_lo, exec_lo, s3
.LBB115_27:
	v_mbcnt_lo_u32_b32 v1, -1, 0
	s_mov_b32 s2, -1
	s_delay_alu instid0(VALU_DEP_1) | instskip(NEXT) | instid1(VALU_DEP_1)
	v_xor_b32_e32 v2, 2, v1
	v_cmp_gt_i32_e32 vcc_lo, 32, v2
	s_wait_alu 0xfffd
	v_cndmask_b32_e32 v2, v1, v2, vcc_lo
	s_delay_alu instid0(VALU_DEP_1) | instskip(SKIP_4) | instid1(VALU_DEP_1)
	v_lshlrev_b32_e32 v2, 2, v2
	ds_bpermute_b32 v5, v2, v19
	ds_bpermute_b32 v6, v2, v18
	;; [unrolled: 1-line block ×3, first 2 shown]
	v_xor_b32_e32 v2, 1, v1
	v_cmp_gt_i32_e32 vcc_lo, 32, v2
	s_wait_alu 0xfffd
	v_cndmask_b32_e32 v1, v1, v2, vcc_lo
	v_cmp_eq_u32_e32 vcc_lo, 3, v0
	s_delay_alu instid0(VALU_DEP_2)
	v_lshlrev_b32_e32 v8, 2, v1
	s_wait_dscnt 0x1
	v_dual_add_f32 v1, v19, v5 :: v_dual_add_f32 v2, v18, v6
	s_wait_dscnt 0x0
	v_add_f32_e32 v5, v17, v7
	ds_bpermute_b32 v6, v8, v1
	ds_bpermute_b32 v7, v8, v2
	;; [unrolled: 1-line block ×3, first 2 shown]
	s_and_b32 exec_lo, exec_lo, vcc_lo
	s_cbranch_execz .LBB115_10
; %bb.28:
	s_load_b64 s[0:1], s[0:1], 0x58
	s_wait_dscnt 0x1
	v_dual_add_f32 v0, v1, v6 :: v_dual_add_f32 v1, v2, v7
	s_wait_dscnt 0x0
	v_add_f32_e32 v2, v5, v8
	s_cmp_eq_f32 s16, 0
	s_delay_alu instid0(VALU_DEP_2) | instskip(NEXT) | instid1(VALU_DEP_2)
	v_dual_mul_f32 v0, s12, v0 :: v_dual_mul_f32 v1, s12, v1
	v_mul_f32_e32 v2, s12, v2
	s_cbranch_scc0 .LBB115_30
; %bb.29:
	s_wait_kmcnt 0x0
	v_mad_co_u64_u32 v[5:6], null, v3, 12, s[0:1]
	s_mov_b32 s2, 0
	v_mad_co_u64_u32 v[6:7], null, v4, 12, v[6:7]
	global_store_b96 v[5:6], v[0:2], off
.LBB115_30:
	s_wait_alu 0xfffe
	s_and_not1_b32 vcc_lo, exec_lo, s2
	s_wait_alu 0xfffe
	s_cbranch_vccnz .LBB115_10
; %bb.31:
	s_wait_kmcnt 0x0
	v_mad_co_u64_u32 v[6:7], null, v3, 12, s[0:1]
	s_delay_alu instid0(VALU_DEP_1) | instskip(NEXT) | instid1(VALU_DEP_1)
	v_mov_b32_e32 v3, v7
	v_mad_co_u64_u32 v[3:4], null, v4, 12, v[3:4]
	s_delay_alu instid0(VALU_DEP_1)
	v_mov_b32_e32 v7, v3
	global_load_b96 v[3:5], v[6:7], off
	s_wait_loadcnt 0x0
	v_dual_fmac_f32 v0, s16, v3 :: v_dual_fmac_f32 v1, s16, v4
	v_fmac_f32_e32 v2, s16, v5
	global_store_b96 v[6:7], v[0:2], off
	s_endpgm
	.section	.rodata,"a",@progbits
	.p2align	6, 0x0
	.amdhsa_kernel _ZN9rocsparseL18bsrxmvn_3x3_kernelILj256ELj4Efll18rocsparse_bfloat16S1_fEEvT3_20rocsparse_direction_NS_24const_host_device_scalarIT1_EES2_PKS2_PKT2_SB_S8_PKT4_PKT5_S6_PT6_21rocsparse_index_base_b
		.amdhsa_group_segment_fixed_size 0
		.amdhsa_private_segment_fixed_size 0
		.amdhsa_kernarg_size 104
		.amdhsa_user_sgpr_count 2
		.amdhsa_user_sgpr_dispatch_ptr 0
		.amdhsa_user_sgpr_queue_ptr 0
		.amdhsa_user_sgpr_kernarg_segment_ptr 1
		.amdhsa_user_sgpr_dispatch_id 0
		.amdhsa_user_sgpr_private_segment_size 0
		.amdhsa_wavefront_size32 1
		.amdhsa_uses_dynamic_stack 0
		.amdhsa_enable_private_segment 0
		.amdhsa_system_sgpr_workgroup_id_x 1
		.amdhsa_system_sgpr_workgroup_id_y 0
		.amdhsa_system_sgpr_workgroup_id_z 0
		.amdhsa_system_sgpr_workgroup_info 0
		.amdhsa_system_vgpr_workitem_id 0
		.amdhsa_next_free_vgpr 32
		.amdhsa_next_free_sgpr 18
		.amdhsa_reserve_vcc 1
		.amdhsa_float_round_mode_32 0
		.amdhsa_float_round_mode_16_64 0
		.amdhsa_float_denorm_mode_32 3
		.amdhsa_float_denorm_mode_16_64 3
		.amdhsa_fp16_overflow 0
		.amdhsa_workgroup_processor_mode 1
		.amdhsa_memory_ordered 1
		.amdhsa_forward_progress 1
		.amdhsa_inst_pref_size 15
		.amdhsa_round_robin_scheduling 0
		.amdhsa_exception_fp_ieee_invalid_op 0
		.amdhsa_exception_fp_denorm_src 0
		.amdhsa_exception_fp_ieee_div_zero 0
		.amdhsa_exception_fp_ieee_overflow 0
		.amdhsa_exception_fp_ieee_underflow 0
		.amdhsa_exception_fp_ieee_inexact 0
		.amdhsa_exception_int_div_zero 0
	.end_amdhsa_kernel
	.section	.text._ZN9rocsparseL18bsrxmvn_3x3_kernelILj256ELj4Efll18rocsparse_bfloat16S1_fEEvT3_20rocsparse_direction_NS_24const_host_device_scalarIT1_EES2_PKS2_PKT2_SB_S8_PKT4_PKT5_S6_PT6_21rocsparse_index_base_b,"axG",@progbits,_ZN9rocsparseL18bsrxmvn_3x3_kernelILj256ELj4Efll18rocsparse_bfloat16S1_fEEvT3_20rocsparse_direction_NS_24const_host_device_scalarIT1_EES2_PKS2_PKT2_SB_S8_PKT4_PKT5_S6_PT6_21rocsparse_index_base_b,comdat
.Lfunc_end115:
	.size	_ZN9rocsparseL18bsrxmvn_3x3_kernelILj256ELj4Efll18rocsparse_bfloat16S1_fEEvT3_20rocsparse_direction_NS_24const_host_device_scalarIT1_EES2_PKS2_PKT2_SB_S8_PKT4_PKT5_S6_PT6_21rocsparse_index_base_b, .Lfunc_end115-_ZN9rocsparseL18bsrxmvn_3x3_kernelILj256ELj4Efll18rocsparse_bfloat16S1_fEEvT3_20rocsparse_direction_NS_24const_host_device_scalarIT1_EES2_PKS2_PKT2_SB_S8_PKT4_PKT5_S6_PT6_21rocsparse_index_base_b
                                        ; -- End function
	.set _ZN9rocsparseL18bsrxmvn_3x3_kernelILj256ELj4Efll18rocsparse_bfloat16S1_fEEvT3_20rocsparse_direction_NS_24const_host_device_scalarIT1_EES2_PKS2_PKT2_SB_S8_PKT4_PKT5_S6_PT6_21rocsparse_index_base_b.num_vgpr, 32
	.set _ZN9rocsparseL18bsrxmvn_3x3_kernelILj256ELj4Efll18rocsparse_bfloat16S1_fEEvT3_20rocsparse_direction_NS_24const_host_device_scalarIT1_EES2_PKS2_PKT2_SB_S8_PKT4_PKT5_S6_PT6_21rocsparse_index_base_b.num_agpr, 0
	.set _ZN9rocsparseL18bsrxmvn_3x3_kernelILj256ELj4Efll18rocsparse_bfloat16S1_fEEvT3_20rocsparse_direction_NS_24const_host_device_scalarIT1_EES2_PKS2_PKT2_SB_S8_PKT4_PKT5_S6_PT6_21rocsparse_index_base_b.numbered_sgpr, 18
	.set _ZN9rocsparseL18bsrxmvn_3x3_kernelILj256ELj4Efll18rocsparse_bfloat16S1_fEEvT3_20rocsparse_direction_NS_24const_host_device_scalarIT1_EES2_PKS2_PKT2_SB_S8_PKT4_PKT5_S6_PT6_21rocsparse_index_base_b.num_named_barrier, 0
	.set _ZN9rocsparseL18bsrxmvn_3x3_kernelILj256ELj4Efll18rocsparse_bfloat16S1_fEEvT3_20rocsparse_direction_NS_24const_host_device_scalarIT1_EES2_PKS2_PKT2_SB_S8_PKT4_PKT5_S6_PT6_21rocsparse_index_base_b.private_seg_size, 0
	.set _ZN9rocsparseL18bsrxmvn_3x3_kernelILj256ELj4Efll18rocsparse_bfloat16S1_fEEvT3_20rocsparse_direction_NS_24const_host_device_scalarIT1_EES2_PKS2_PKT2_SB_S8_PKT4_PKT5_S6_PT6_21rocsparse_index_base_b.uses_vcc, 1
	.set _ZN9rocsparseL18bsrxmvn_3x3_kernelILj256ELj4Efll18rocsparse_bfloat16S1_fEEvT3_20rocsparse_direction_NS_24const_host_device_scalarIT1_EES2_PKS2_PKT2_SB_S8_PKT4_PKT5_S6_PT6_21rocsparse_index_base_b.uses_flat_scratch, 0
	.set _ZN9rocsparseL18bsrxmvn_3x3_kernelILj256ELj4Efll18rocsparse_bfloat16S1_fEEvT3_20rocsparse_direction_NS_24const_host_device_scalarIT1_EES2_PKS2_PKT2_SB_S8_PKT4_PKT5_S6_PT6_21rocsparse_index_base_b.has_dyn_sized_stack, 0
	.set _ZN9rocsparseL18bsrxmvn_3x3_kernelILj256ELj4Efll18rocsparse_bfloat16S1_fEEvT3_20rocsparse_direction_NS_24const_host_device_scalarIT1_EES2_PKS2_PKT2_SB_S8_PKT4_PKT5_S6_PT6_21rocsparse_index_base_b.has_recursion, 0
	.set _ZN9rocsparseL18bsrxmvn_3x3_kernelILj256ELj4Efll18rocsparse_bfloat16S1_fEEvT3_20rocsparse_direction_NS_24const_host_device_scalarIT1_EES2_PKS2_PKT2_SB_S8_PKT4_PKT5_S6_PT6_21rocsparse_index_base_b.has_indirect_call, 0
	.section	.AMDGPU.csdata,"",@progbits
; Kernel info:
; codeLenInByte = 1808
; TotalNumSgprs: 20
; NumVgprs: 32
; ScratchSize: 0
; MemoryBound: 0
; FloatMode: 240
; IeeeMode: 1
; LDSByteSize: 0 bytes/workgroup (compile time only)
; SGPRBlocks: 0
; VGPRBlocks: 3
; NumSGPRsForWavesPerEU: 20
; NumVGPRsForWavesPerEU: 32
; Occupancy: 16
; WaveLimiterHint : 1
; COMPUTE_PGM_RSRC2:SCRATCH_EN: 0
; COMPUTE_PGM_RSRC2:USER_SGPR: 2
; COMPUTE_PGM_RSRC2:TRAP_HANDLER: 0
; COMPUTE_PGM_RSRC2:TGID_X_EN: 1
; COMPUTE_PGM_RSRC2:TGID_Y_EN: 0
; COMPUTE_PGM_RSRC2:TGID_Z_EN: 0
; COMPUTE_PGM_RSRC2:TIDIG_COMP_CNT: 0
	.section	.text._ZN9rocsparseL18bsrxmvn_3x3_kernelILj256ELj8Efll18rocsparse_bfloat16S1_fEEvT3_20rocsparse_direction_NS_24const_host_device_scalarIT1_EES2_PKS2_PKT2_SB_S8_PKT4_PKT5_S6_PT6_21rocsparse_index_base_b,"axG",@progbits,_ZN9rocsparseL18bsrxmvn_3x3_kernelILj256ELj8Efll18rocsparse_bfloat16S1_fEEvT3_20rocsparse_direction_NS_24const_host_device_scalarIT1_EES2_PKS2_PKT2_SB_S8_PKT4_PKT5_S6_PT6_21rocsparse_index_base_b,comdat
	.globl	_ZN9rocsparseL18bsrxmvn_3x3_kernelILj256ELj8Efll18rocsparse_bfloat16S1_fEEvT3_20rocsparse_direction_NS_24const_host_device_scalarIT1_EES2_PKS2_PKT2_SB_S8_PKT4_PKT5_S6_PT6_21rocsparse_index_base_b ; -- Begin function _ZN9rocsparseL18bsrxmvn_3x3_kernelILj256ELj8Efll18rocsparse_bfloat16S1_fEEvT3_20rocsparse_direction_NS_24const_host_device_scalarIT1_EES2_PKS2_PKT2_SB_S8_PKT4_PKT5_S6_PT6_21rocsparse_index_base_b
	.p2align	8
	.type	_ZN9rocsparseL18bsrxmvn_3x3_kernelILj256ELj8Efll18rocsparse_bfloat16S1_fEEvT3_20rocsparse_direction_NS_24const_host_device_scalarIT1_EES2_PKS2_PKT2_SB_S8_PKT4_PKT5_S6_PT6_21rocsparse_index_base_b,@function
_ZN9rocsparseL18bsrxmvn_3x3_kernelILj256ELj8Efll18rocsparse_bfloat16S1_fEEvT3_20rocsparse_direction_NS_24const_host_device_scalarIT1_EES2_PKS2_PKT2_SB_S8_PKT4_PKT5_S6_PT6_21rocsparse_index_base_b: ; @_ZN9rocsparseL18bsrxmvn_3x3_kernelILj256ELj8Efll18rocsparse_bfloat16S1_fEEvT3_20rocsparse_direction_NS_24const_host_device_scalarIT1_EES2_PKS2_PKT2_SB_S8_PKT4_PKT5_S6_PT6_21rocsparse_index_base_b
; %bb.0:
	s_clause 0x2
	s_load_b64 s[2:3], s[0:1], 0x60
	s_load_b128 s[12:15], s[0:1], 0x10
	s_load_b64 s[16:17], s[0:1], 0x50
	s_wait_kmcnt 0x0
	s_bitcmp1_b32 s3, 0
	s_cselect_b32 s3, -1, 0
	s_delay_alu instid0(SALU_CYCLE_1)
	s_and_b32 vcc_lo, exec_lo, s3
	s_xor_b32 s3, s3, -1
	s_cbranch_vccnz .LBB116_2
; %bb.1:
	s_load_b32 s12, s[12:13], 0x0
.LBB116_2:
	s_and_not1_b32 vcc_lo, exec_lo, s3
	s_cbranch_vccnz .LBB116_4
; %bb.3:
	s_load_b32 s16, s[16:17], 0x0
.LBB116_4:
	s_wait_kmcnt 0x0
	s_cmp_neq_f32 s12, 0
	s_mov_b32 s6, 0
	s_cselect_b32 s3, -1, 0
	s_cmp_neq_f32 s16, 1.0
	s_cselect_b32 s4, -1, 0
	s_delay_alu instid0(SALU_CYCLE_1) | instskip(NEXT) | instid1(SALU_CYCLE_1)
	s_or_b32 s3, s3, s4
	s_and_not1_b32 vcc_lo, exec_lo, s3
	s_cbranch_vccnz .LBB116_10
; %bb.5:
	s_load_b64 s[4:5], s[0:1], 0x20
	v_lshrrev_b32_e32 v1, 3, v0
	v_mov_b32_e32 v6, 0
	s_delay_alu instid0(VALU_DEP_2)
	v_lshl_or_b32 v5, ttmp9, 5, v1
	s_wait_kmcnt 0x0
	s_cmp_lg_u64 s[4:5], 0
	s_cbranch_scc0 .LBB116_11
; %bb.6:
	s_mov_b32 s7, 0
                                        ; implicit-def: $vgpr3_vgpr4
                                        ; implicit-def: $vgpr1_vgpr2
	s_mov_b32 s3, exec_lo
	v_cmpx_gt_i64_e64 s[14:15], v[5:6]
	s_xor_b32 s8, exec_lo, s3
	s_cbranch_execz .LBB116_8
; %bb.7:
	v_lshlrev_b64_e32 v[1:2], 3, v[5:6]
	s_mov_b32 s3, 0
	s_mov_b32 s6, exec_lo
	s_delay_alu instid0(VALU_DEP_1) | instskip(NEXT) | instid1(VALU_DEP_1)
	v_add_co_u32 v1, vcc_lo, s4, v1
	v_add_co_ci_u32_e64 v2, null, s5, v2, vcc_lo
	global_load_b64 v[1:2], v[1:2], off
	s_wait_loadcnt 0x0
	v_sub_co_u32 v3, vcc_lo, v1, s2
	s_wait_alu 0xfffd
	v_subrev_co_ci_u32_e64 v4, null, 0, v2, vcc_lo
	v_dual_mov_b32 v1, s2 :: v_dual_mov_b32 v2, s3
.LBB116_8:
	s_or_b32 exec_lo, exec_lo, s8
	s_delay_alu instid0(SALU_CYCLE_1)
	s_and_b32 vcc_lo, exec_lo, s7
	s_wait_alu 0xfffe
	s_cbranch_vccnz .LBB116_12
.LBB116_9:
	s_and_saveexec_b32 s2, s6
	s_cbranch_execnz .LBB116_15
.LBB116_10:
	s_endpgm
.LBB116_11:
                                        ; implicit-def: $vgpr3_vgpr4
                                        ; implicit-def: $vgpr1_vgpr2
	s_cbranch_execz .LBB116_9
.LBB116_12:
	s_load_b64 s[4:5], s[0:1], 0x0
	s_wait_kmcnt 0x0
	v_cmp_gt_i64_e32 vcc_lo, s[4:5], v[5:6]
	s_and_saveexec_b32 s4, vcc_lo
; %bb.13:
	s_mov_b32 s3, 0
	s_or_b32 s6, s6, exec_lo
; %bb.14:
	s_wait_alu 0xfffe
	s_or_b32 exec_lo, exec_lo, s4
	v_dual_mov_b32 v1, s2 :: v_dual_mov_b32 v2, s3
	v_dual_mov_b32 v3, v5 :: v_dual_mov_b32 v4, v6
	s_and_saveexec_b32 s2, s6
	s_cbranch_execz .LBB116_10
.LBB116_15:
	s_load_b256 s[4:11], s[0:1], 0x28
	s_delay_alu instid0(VALU_DEP_1) | instskip(SKIP_2) | instid1(VALU_DEP_2)
	v_lshlrev_b64_e32 v[5:6], 3, v[3:4]
	v_dual_mov_b32 v17, 0 :: v_dual_and_b32 v0, 7, v0
	s_wait_kmcnt 0x0
	v_add_co_u32 v7, vcc_lo, s4, v5
	s_wait_alu 0xfffd
	s_delay_alu instid0(VALU_DEP_3)
	v_add_co_ci_u32_e64 v8, null, s5, v6, vcc_lo
	v_add_co_u32 v5, vcc_lo, s6, v5
	s_wait_alu 0xfffd
	v_add_co_ci_u32_e64 v6, null, s7, v6, vcc_lo
	global_load_b64 v[9:10], v[7:8], off
	v_add_co_u32 v7, vcc_lo, v7, 8
	s_wait_alu 0xfffd
	v_add_co_ci_u32_e64 v8, null, 0, v8, vcc_lo
	s_cmp_eq_u64 s[6:7], 0
	s_cselect_b32 vcc_lo, -1, 0
	s_wait_alu 0xfffe
	v_dual_cndmask_b32 v6, v6, v8 :: v_dual_cndmask_b32 v5, v5, v7
	global_load_b64 v[11:12], v[5:6], off
	s_clause 0x1
	s_load_b32 s3, s[0:1], 0x8
	s_load_b64 s[4:5], s[0:1], 0x48
	s_wait_kmcnt 0x0
	s_cmp_eq_u32 s3, 1
	s_wait_loadcnt 0x1
	v_sub_co_u32 v5, vcc_lo, v9, v1
	s_wait_alu 0xfffd
	v_sub_co_ci_u32_e64 v6, null, v10, v2, vcc_lo
	s_delay_alu instid0(VALU_DEP_2) | instskip(SKIP_1) | instid1(VALU_DEP_2)
	v_add_co_u32 v5, vcc_lo, v5, v0
	s_wait_alu 0xfffd
	v_add_co_ci_u32_e64 v6, null, 0, v6, vcc_lo
	s_delay_alu instid0(VALU_DEP_2) | instskip(NEXT) | instid1(VALU_DEP_1)
	v_mad_co_u64_u32 v[7:8], null, v5, 18, s[10:11]
	v_mad_co_u64_u32 v[8:9], null, v6, 18, v[8:9]
	s_wait_loadcnt 0x0
	v_sub_co_u32 v9, vcc_lo, v11, v1
	s_wait_alu 0xfffd
	v_sub_co_ci_u32_e64 v10, null, v12, v2, vcc_lo
	s_delay_alu instid0(VALU_DEP_1)
	v_cmp_lt_i64_e64 s2, v[5:6], v[9:10]
	s_cbranch_scc1 .LBB116_21
; %bb.16:
	v_dual_mov_b32 v18, 0 :: v_dual_mov_b32 v19, 0
	s_and_saveexec_b32 s6, s2
	s_cbranch_execz .LBB116_20
; %bb.17:
	v_lshlrev_b64_e32 v[13:14], 3, v[5:6]
	v_dual_mov_b32 v17, 0 :: v_dual_mov_b32 v12, v8
	v_dual_mov_b32 v11, v7 :: v_dual_mov_b32 v16, v6
	;; [unrolled: 1-line block ×3, first 2 shown]
	s_delay_alu instid0(VALU_DEP_4)
	v_add_co_u32 v13, vcc_lo, s8, v13
	s_wait_alu 0xfffd
	v_add_co_ci_u32_e64 v14, null, s9, v14, vcc_lo
	v_mov_b32_e32 v19, 0
	s_mov_b32 s7, 0
.LBB116_18:                             ; =>This Inner Loop Header: Depth=1
	global_load_b64 v[20:21], v[13:14], off
	s_wait_loadcnt 0x0
	v_sub_co_u32 v20, vcc_lo, v20, v1
	s_wait_alu 0xfffd
	v_sub_co_ci_u32_e64 v21, null, v21, v2, vcc_lo
	v_add_co_u32 v15, vcc_lo, v15, 8
	s_delay_alu instid0(VALU_DEP_3) | instskip(SKIP_2) | instid1(VALU_DEP_1)
	v_mad_co_u64_u32 v[24:25], null, v20, 6, s[4:5]
	s_wait_alu 0xfffd
	v_add_co_ci_u32_e64 v16, null, 0, v16, vcc_lo
	v_cmp_ge_i64_e64 s3, v[15:16], v[9:10]
	s_delay_alu instid0(VALU_DEP_3) | instskip(SKIP_2) | instid1(VALU_DEP_1)
	v_mov_b32_e32 v20, v25
	s_wait_alu 0xfffe
	s_or_b32 s7, s3, s7
	v_mad_co_u64_u32 v[20:21], null, v21, 6, v[20:21]
	s_delay_alu instid0(VALU_DEP_1)
	v_mov_b32_e32 v25, v20
	global_load_b128 v[20:23], v[11:12], off
	global_load_b32 v26, v[24:25], off
	global_load_u16 v27, v[11:12], off offset:16
	global_load_u16 v24, v[24:25], off offset:4
	v_add_co_u32 v11, vcc_lo, 0x90, v11
	s_wait_alu 0xfffd
	v_add_co_ci_u32_e64 v12, null, 0, v12, vcc_lo
	v_add_co_u32 v13, vcc_lo, v13, 64
	s_wait_alu 0xfffd
	v_add_co_ci_u32_e64 v14, null, 0, v14, vcc_lo
	s_wait_loadcnt 0x2
	v_lshlrev_b32_e32 v31, 16, v26
	v_lshlrev_b32_e32 v28, 16, v21
	v_and_b32_e32 v21, 0xffff0000, v21
	v_lshlrev_b32_e32 v25, 16, v20
	v_and_b32_e32 v20, 0xffff0000, v20
	s_wait_loadcnt 0x0
	v_lshlrev_b32_e32 v24, 16, v24
	v_dual_fmac_f32 v18, v21, v31 :: v_dual_lshlrev_b32 v29, 16, v22
	v_dual_fmac_f32 v19, v25, v31 :: v_dual_and_b32 v26, 0xffff0000, v26
	v_lshlrev_b32_e32 v30, 16, v23
	v_lshlrev_b32_e32 v21, 16, v27
	s_delay_alu instid0(VALU_DEP_3) | instskip(NEXT) | instid1(VALU_DEP_3)
	v_fmac_f32_e32 v19, v20, v26
	v_dual_fmac_f32 v17, v30, v31 :: v_dual_and_b32 v22, 0xffff0000, v22
	s_delay_alu instid0(VALU_DEP_2) | instskip(SKIP_1) | instid1(VALU_DEP_1)
	v_fmac_f32_e32 v19, v28, v24
	v_dual_fmac_f32 v18, v29, v26 :: v_dual_and_b32 v23, 0xffff0000, v23
	v_dual_fmac_f32 v17, v23, v26 :: v_dual_fmac_f32 v18, v22, v24
	s_delay_alu instid0(VALU_DEP_1)
	v_fmac_f32_e32 v17, v21, v24
	s_wait_alu 0xfffe
	s_and_not1_b32 exec_lo, exec_lo, s7
	s_cbranch_execnz .LBB116_18
; %bb.19:
	s_or_b32 exec_lo, exec_lo, s7
.LBB116_20:
	s_wait_alu 0xfffe
	s_or_b32 exec_lo, exec_lo, s6
	s_cbranch_execz .LBB116_22
	s_branch .LBB116_27
.LBB116_21:
                                        ; implicit-def: $vgpr17
                                        ; implicit-def: $vgpr18
                                        ; implicit-def: $vgpr19
.LBB116_22:
	v_dual_mov_b32 v17, 0 :: v_dual_mov_b32 v18, 0
	v_mov_b32_e32 v19, 0
	s_and_saveexec_b32 s3, s2
	s_cbranch_execz .LBB116_26
; %bb.23:
	v_lshlrev_b64_e32 v[11:12], 3, v[5:6]
	v_dual_mov_b32 v17, 0 :: v_dual_mov_b32 v18, 0
	v_mov_b32_e32 v19, 0
	s_mov_b32 s6, 0
	s_delay_alu instid0(VALU_DEP_3)
	v_add_co_u32 v11, vcc_lo, s8, v11
	s_wait_alu 0xfffd
	v_add_co_ci_u32_e64 v12, null, s9, v12, vcc_lo
.LBB116_24:                             ; =>This Inner Loop Header: Depth=1
	global_load_b64 v[13:14], v[11:12], off
	s_wait_loadcnt 0x0
	v_sub_co_u32 v13, vcc_lo, v13, v1
	s_wait_alu 0xfffd
	v_sub_co_ci_u32_e64 v14, null, v14, v2, vcc_lo
	v_add_co_u32 v5, vcc_lo, v5, 8
	s_delay_alu instid0(VALU_DEP_3) | instskip(SKIP_2) | instid1(VALU_DEP_1)
	v_mad_co_u64_u32 v[20:21], null, v13, 6, s[4:5]
	s_wait_alu 0xfffd
	v_add_co_ci_u32_e64 v6, null, 0, v6, vcc_lo
	v_cmp_ge_i64_e64 s2, v[5:6], v[9:10]
	s_delay_alu instid0(VALU_DEP_3) | instskip(SKIP_2) | instid1(VALU_DEP_1)
	v_mov_b32_e32 v13, v21
	s_wait_alu 0xfffe
	s_or_b32 s6, s2, s6
	v_mad_co_u64_u32 v[13:14], null, v14, 6, v[13:14]
	s_delay_alu instid0(VALU_DEP_1)
	v_mov_b32_e32 v21, v13
	global_load_b128 v[13:16], v[7:8], off
	global_load_b32 v22, v[20:21], off
	global_load_u16 v23, v[7:8], off offset:16
	global_load_u16 v20, v[20:21], off offset:4
	v_add_co_u32 v7, vcc_lo, 0x90, v7
	s_wait_alu 0xfffd
	v_add_co_ci_u32_e64 v8, null, 0, v8, vcc_lo
	v_add_co_u32 v11, vcc_lo, v11, 64
	s_wait_alu 0xfffd
	v_add_co_ci_u32_e64 v12, null, 0, v12, vcc_lo
	s_wait_loadcnt 0x3
	v_lshlrev_b32_e32 v24, 16, v14
	s_wait_loadcnt 0x2
	v_lshlrev_b32_e32 v27, 16, v22
	v_lshlrev_b32_e32 v21, 16, v13
	v_and_b32_e32 v14, 0xffff0000, v14
	v_lshlrev_b32_e32 v26, 16, v16
	s_delay_alu instid0(VALU_DEP_4)
	v_dual_fmac_f32 v17, v24, v27 :: v_dual_and_b32 v16, 0xffff0000, v16
	s_wait_loadcnt 0x0
	v_lshlrev_b32_e32 v20, 16, v20
	v_lshlrev_b32_e32 v25, 16, v15
	v_and_b32_e32 v22, 0xffff0000, v22
	v_and_b32_e32 v13, 0xffff0000, v13
	;; [unrolled: 1-line block ×3, first 2 shown]
	s_delay_alu instid0(VALU_DEP_2) | instskip(SKIP_2) | instid1(VALU_DEP_2)
	v_fmac_f32_e32 v18, v13, v27
	v_fmac_f32_e32 v19, v21, v27
	v_lshlrev_b32_e32 v13, 16, v23
	v_fmac_f32_e32 v19, v14, v22
	s_delay_alu instid0(VALU_DEP_1) | instskip(NEXT) | instid1(VALU_DEP_1)
	v_dual_fmac_f32 v19, v26, v20 :: v_dual_fmac_f32 v18, v25, v22
	v_dual_fmac_f32 v17, v15, v22 :: v_dual_fmac_f32 v18, v16, v20
	s_delay_alu instid0(VALU_DEP_1)
	v_fmac_f32_e32 v17, v13, v20
	s_wait_alu 0xfffe
	s_and_not1_b32 exec_lo, exec_lo, s6
	s_cbranch_execnz .LBB116_24
; %bb.25:
	s_or_b32 exec_lo, exec_lo, s6
.LBB116_26:
	s_wait_alu 0xfffe
	s_or_b32 exec_lo, exec_lo, s3
.LBB116_27:
	v_mbcnt_lo_u32_b32 v1, -1, 0
	s_mov_b32 s2, -1
	s_delay_alu instid0(VALU_DEP_1) | instskip(SKIP_2) | instid1(VALU_DEP_3)
	v_xor_b32_e32 v2, 4, v1
	v_xor_b32_e32 v7, 2, v1
	;; [unrolled: 1-line block ×3, first 2 shown]
	v_cmp_gt_i32_e32 vcc_lo, 32, v2
	s_wait_alu 0xfffd
	v_cndmask_b32_e32 v2, v1, v2, vcc_lo
	v_cmp_gt_i32_e32 vcc_lo, 32, v7
	s_wait_alu 0xfffd
	v_cndmask_b32_e32 v7, v1, v7, vcc_lo
	v_cmp_gt_i32_e32 vcc_lo, 32, v10
	s_delay_alu instid0(VALU_DEP_2)
	v_lshlrev_b32_e32 v7, 2, v7
	v_lshlrev_b32_e32 v2, 2, v2
	ds_bpermute_b32 v5, v2, v19
	s_wait_dscnt 0x0
	v_add_f32_e32 v5, v19, v5
	ds_bpermute_b32 v6, v2, v18
	ds_bpermute_b32 v2, v2, v17
	s_wait_dscnt 0x1
	v_add_f32_e32 v6, v18, v6
	s_wait_dscnt 0x0
	v_add_f32_e32 v8, v17, v2
	ds_bpermute_b32 v2, v7, v5
	ds_bpermute_b32 v9, v7, v6
	;; [unrolled: 1-line block ×3, first 2 shown]
	s_wait_alu 0xfffd
	v_cndmask_b32_e32 v1, v1, v10, vcc_lo
	v_cmp_eq_u32_e32 vcc_lo, 7, v0
	s_wait_dscnt 0x2
	s_delay_alu instid0(VALU_DEP_2)
	v_dual_add_f32 v1, v5, v2 :: v_dual_lshlrev_b32 v10, 2, v1
	s_wait_dscnt 0x0
	v_dual_add_f32 v2, v6, v9 :: v_dual_add_f32 v5, v8, v7
	ds_bpermute_b32 v6, v10, v1
	ds_bpermute_b32 v7, v10, v2
	ds_bpermute_b32 v8, v10, v5
	s_and_b32 exec_lo, exec_lo, vcc_lo
	s_cbranch_execz .LBB116_10
; %bb.28:
	s_load_b64 s[0:1], s[0:1], 0x58
	s_wait_dscnt 0x1
	v_dual_add_f32 v0, v1, v6 :: v_dual_add_f32 v1, v2, v7
	s_wait_dscnt 0x0
	v_add_f32_e32 v2, v5, v8
	s_cmp_eq_f32 s16, 0
	s_delay_alu instid0(VALU_DEP_2) | instskip(NEXT) | instid1(VALU_DEP_2)
	v_dual_mul_f32 v0, s12, v0 :: v_dual_mul_f32 v1, s12, v1
	v_mul_f32_e32 v2, s12, v2
	s_cbranch_scc0 .LBB116_30
; %bb.29:
	s_wait_kmcnt 0x0
	v_mad_co_u64_u32 v[5:6], null, v3, 12, s[0:1]
	s_mov_b32 s2, 0
	v_mad_co_u64_u32 v[6:7], null, v4, 12, v[6:7]
	global_store_b96 v[5:6], v[0:2], off
.LBB116_30:
	s_wait_alu 0xfffe
	s_and_not1_b32 vcc_lo, exec_lo, s2
	s_wait_alu 0xfffe
	s_cbranch_vccnz .LBB116_10
; %bb.31:
	s_wait_kmcnt 0x0
	v_mad_co_u64_u32 v[6:7], null, v3, 12, s[0:1]
	s_delay_alu instid0(VALU_DEP_1) | instskip(NEXT) | instid1(VALU_DEP_1)
	v_mov_b32_e32 v3, v7
	v_mad_co_u64_u32 v[3:4], null, v4, 12, v[3:4]
	s_delay_alu instid0(VALU_DEP_1)
	v_mov_b32_e32 v7, v3
	global_load_b96 v[3:5], v[6:7], off
	s_wait_loadcnt 0x0
	v_dual_fmac_f32 v0, s16, v3 :: v_dual_fmac_f32 v1, s16, v4
	v_fmac_f32_e32 v2, s16, v5
	global_store_b96 v[6:7], v[0:2], off
	s_endpgm
	.section	.rodata,"a",@progbits
	.p2align	6, 0x0
	.amdhsa_kernel _ZN9rocsparseL18bsrxmvn_3x3_kernelILj256ELj8Efll18rocsparse_bfloat16S1_fEEvT3_20rocsparse_direction_NS_24const_host_device_scalarIT1_EES2_PKS2_PKT2_SB_S8_PKT4_PKT5_S6_PT6_21rocsparse_index_base_b
		.amdhsa_group_segment_fixed_size 0
		.amdhsa_private_segment_fixed_size 0
		.amdhsa_kernarg_size 104
		.amdhsa_user_sgpr_count 2
		.amdhsa_user_sgpr_dispatch_ptr 0
		.amdhsa_user_sgpr_queue_ptr 0
		.amdhsa_user_sgpr_kernarg_segment_ptr 1
		.amdhsa_user_sgpr_dispatch_id 0
		.amdhsa_user_sgpr_private_segment_size 0
		.amdhsa_wavefront_size32 1
		.amdhsa_uses_dynamic_stack 0
		.amdhsa_enable_private_segment 0
		.amdhsa_system_sgpr_workgroup_id_x 1
		.amdhsa_system_sgpr_workgroup_id_y 0
		.amdhsa_system_sgpr_workgroup_id_z 0
		.amdhsa_system_sgpr_workgroup_info 0
		.amdhsa_system_vgpr_workitem_id 0
		.amdhsa_next_free_vgpr 32
		.amdhsa_next_free_sgpr 18
		.amdhsa_reserve_vcc 1
		.amdhsa_float_round_mode_32 0
		.amdhsa_float_round_mode_16_64 0
		.amdhsa_float_denorm_mode_32 3
		.amdhsa_float_denorm_mode_16_64 3
		.amdhsa_fp16_overflow 0
		.amdhsa_workgroup_processor_mode 1
		.amdhsa_memory_ordered 1
		.amdhsa_forward_progress 1
		.amdhsa_inst_pref_size 15
		.amdhsa_round_robin_scheduling 0
		.amdhsa_exception_fp_ieee_invalid_op 0
		.amdhsa_exception_fp_denorm_src 0
		.amdhsa_exception_fp_ieee_div_zero 0
		.amdhsa_exception_fp_ieee_overflow 0
		.amdhsa_exception_fp_ieee_underflow 0
		.amdhsa_exception_fp_ieee_inexact 0
		.amdhsa_exception_int_div_zero 0
	.end_amdhsa_kernel
	.section	.text._ZN9rocsparseL18bsrxmvn_3x3_kernelILj256ELj8Efll18rocsparse_bfloat16S1_fEEvT3_20rocsparse_direction_NS_24const_host_device_scalarIT1_EES2_PKS2_PKT2_SB_S8_PKT4_PKT5_S6_PT6_21rocsparse_index_base_b,"axG",@progbits,_ZN9rocsparseL18bsrxmvn_3x3_kernelILj256ELj8Efll18rocsparse_bfloat16S1_fEEvT3_20rocsparse_direction_NS_24const_host_device_scalarIT1_EES2_PKS2_PKT2_SB_S8_PKT4_PKT5_S6_PT6_21rocsparse_index_base_b,comdat
.Lfunc_end116:
	.size	_ZN9rocsparseL18bsrxmvn_3x3_kernelILj256ELj8Efll18rocsparse_bfloat16S1_fEEvT3_20rocsparse_direction_NS_24const_host_device_scalarIT1_EES2_PKS2_PKT2_SB_S8_PKT4_PKT5_S6_PT6_21rocsparse_index_base_b, .Lfunc_end116-_ZN9rocsparseL18bsrxmvn_3x3_kernelILj256ELj8Efll18rocsparse_bfloat16S1_fEEvT3_20rocsparse_direction_NS_24const_host_device_scalarIT1_EES2_PKS2_PKT2_SB_S8_PKT4_PKT5_S6_PT6_21rocsparse_index_base_b
                                        ; -- End function
	.set _ZN9rocsparseL18bsrxmvn_3x3_kernelILj256ELj8Efll18rocsparse_bfloat16S1_fEEvT3_20rocsparse_direction_NS_24const_host_device_scalarIT1_EES2_PKS2_PKT2_SB_S8_PKT4_PKT5_S6_PT6_21rocsparse_index_base_b.num_vgpr, 32
	.set _ZN9rocsparseL18bsrxmvn_3x3_kernelILj256ELj8Efll18rocsparse_bfloat16S1_fEEvT3_20rocsparse_direction_NS_24const_host_device_scalarIT1_EES2_PKS2_PKT2_SB_S8_PKT4_PKT5_S6_PT6_21rocsparse_index_base_b.num_agpr, 0
	.set _ZN9rocsparseL18bsrxmvn_3x3_kernelILj256ELj8Efll18rocsparse_bfloat16S1_fEEvT3_20rocsparse_direction_NS_24const_host_device_scalarIT1_EES2_PKS2_PKT2_SB_S8_PKT4_PKT5_S6_PT6_21rocsparse_index_base_b.numbered_sgpr, 18
	.set _ZN9rocsparseL18bsrxmvn_3x3_kernelILj256ELj8Efll18rocsparse_bfloat16S1_fEEvT3_20rocsparse_direction_NS_24const_host_device_scalarIT1_EES2_PKS2_PKT2_SB_S8_PKT4_PKT5_S6_PT6_21rocsparse_index_base_b.num_named_barrier, 0
	.set _ZN9rocsparseL18bsrxmvn_3x3_kernelILj256ELj8Efll18rocsparse_bfloat16S1_fEEvT3_20rocsparse_direction_NS_24const_host_device_scalarIT1_EES2_PKS2_PKT2_SB_S8_PKT4_PKT5_S6_PT6_21rocsparse_index_base_b.private_seg_size, 0
	.set _ZN9rocsparseL18bsrxmvn_3x3_kernelILj256ELj8Efll18rocsparse_bfloat16S1_fEEvT3_20rocsparse_direction_NS_24const_host_device_scalarIT1_EES2_PKS2_PKT2_SB_S8_PKT4_PKT5_S6_PT6_21rocsparse_index_base_b.uses_vcc, 1
	.set _ZN9rocsparseL18bsrxmvn_3x3_kernelILj256ELj8Efll18rocsparse_bfloat16S1_fEEvT3_20rocsparse_direction_NS_24const_host_device_scalarIT1_EES2_PKS2_PKT2_SB_S8_PKT4_PKT5_S6_PT6_21rocsparse_index_base_b.uses_flat_scratch, 0
	.set _ZN9rocsparseL18bsrxmvn_3x3_kernelILj256ELj8Efll18rocsparse_bfloat16S1_fEEvT3_20rocsparse_direction_NS_24const_host_device_scalarIT1_EES2_PKS2_PKT2_SB_S8_PKT4_PKT5_S6_PT6_21rocsparse_index_base_b.has_dyn_sized_stack, 0
	.set _ZN9rocsparseL18bsrxmvn_3x3_kernelILj256ELj8Efll18rocsparse_bfloat16S1_fEEvT3_20rocsparse_direction_NS_24const_host_device_scalarIT1_EES2_PKS2_PKT2_SB_S8_PKT4_PKT5_S6_PT6_21rocsparse_index_base_b.has_recursion, 0
	.set _ZN9rocsparseL18bsrxmvn_3x3_kernelILj256ELj8Efll18rocsparse_bfloat16S1_fEEvT3_20rocsparse_direction_NS_24const_host_device_scalarIT1_EES2_PKS2_PKT2_SB_S8_PKT4_PKT5_S6_PT6_21rocsparse_index_base_b.has_indirect_call, 0
	.section	.AMDGPU.csdata,"",@progbits
; Kernel info:
; codeLenInByte = 1876
; TotalNumSgprs: 20
; NumVgprs: 32
; ScratchSize: 0
; MemoryBound: 0
; FloatMode: 240
; IeeeMode: 1
; LDSByteSize: 0 bytes/workgroup (compile time only)
; SGPRBlocks: 0
; VGPRBlocks: 3
; NumSGPRsForWavesPerEU: 20
; NumVGPRsForWavesPerEU: 32
; Occupancy: 16
; WaveLimiterHint : 1
; COMPUTE_PGM_RSRC2:SCRATCH_EN: 0
; COMPUTE_PGM_RSRC2:USER_SGPR: 2
; COMPUTE_PGM_RSRC2:TRAP_HANDLER: 0
; COMPUTE_PGM_RSRC2:TGID_X_EN: 1
; COMPUTE_PGM_RSRC2:TGID_Y_EN: 0
; COMPUTE_PGM_RSRC2:TGID_Z_EN: 0
; COMPUTE_PGM_RSRC2:TIDIG_COMP_CNT: 0
	.section	.text._ZN9rocsparseL18bsrxmvn_3x3_kernelILj256ELj16Efll18rocsparse_bfloat16S1_fEEvT3_20rocsparse_direction_NS_24const_host_device_scalarIT1_EES2_PKS2_PKT2_SB_S8_PKT4_PKT5_S6_PT6_21rocsparse_index_base_b,"axG",@progbits,_ZN9rocsparseL18bsrxmvn_3x3_kernelILj256ELj16Efll18rocsparse_bfloat16S1_fEEvT3_20rocsparse_direction_NS_24const_host_device_scalarIT1_EES2_PKS2_PKT2_SB_S8_PKT4_PKT5_S6_PT6_21rocsparse_index_base_b,comdat
	.globl	_ZN9rocsparseL18bsrxmvn_3x3_kernelILj256ELj16Efll18rocsparse_bfloat16S1_fEEvT3_20rocsparse_direction_NS_24const_host_device_scalarIT1_EES2_PKS2_PKT2_SB_S8_PKT4_PKT5_S6_PT6_21rocsparse_index_base_b ; -- Begin function _ZN9rocsparseL18bsrxmvn_3x3_kernelILj256ELj16Efll18rocsparse_bfloat16S1_fEEvT3_20rocsparse_direction_NS_24const_host_device_scalarIT1_EES2_PKS2_PKT2_SB_S8_PKT4_PKT5_S6_PT6_21rocsparse_index_base_b
	.p2align	8
	.type	_ZN9rocsparseL18bsrxmvn_3x3_kernelILj256ELj16Efll18rocsparse_bfloat16S1_fEEvT3_20rocsparse_direction_NS_24const_host_device_scalarIT1_EES2_PKS2_PKT2_SB_S8_PKT4_PKT5_S6_PT6_21rocsparse_index_base_b,@function
_ZN9rocsparseL18bsrxmvn_3x3_kernelILj256ELj16Efll18rocsparse_bfloat16S1_fEEvT3_20rocsparse_direction_NS_24const_host_device_scalarIT1_EES2_PKS2_PKT2_SB_S8_PKT4_PKT5_S6_PT6_21rocsparse_index_base_b: ; @_ZN9rocsparseL18bsrxmvn_3x3_kernelILj256ELj16Efll18rocsparse_bfloat16S1_fEEvT3_20rocsparse_direction_NS_24const_host_device_scalarIT1_EES2_PKS2_PKT2_SB_S8_PKT4_PKT5_S6_PT6_21rocsparse_index_base_b
; %bb.0:
	s_clause 0x2
	s_load_b64 s[2:3], s[0:1], 0x60
	s_load_b128 s[12:15], s[0:1], 0x10
	s_load_b64 s[16:17], s[0:1], 0x50
	s_wait_kmcnt 0x0
	s_bitcmp1_b32 s3, 0
	s_cselect_b32 s3, -1, 0
	s_delay_alu instid0(SALU_CYCLE_1)
	s_and_b32 vcc_lo, exec_lo, s3
	s_xor_b32 s3, s3, -1
	s_cbranch_vccnz .LBB117_2
; %bb.1:
	s_load_b32 s12, s[12:13], 0x0
.LBB117_2:
	s_and_not1_b32 vcc_lo, exec_lo, s3
	s_cbranch_vccnz .LBB117_4
; %bb.3:
	s_load_b32 s16, s[16:17], 0x0
.LBB117_4:
	s_wait_kmcnt 0x0
	s_cmp_neq_f32 s12, 0
	s_mov_b32 s6, 0
	s_cselect_b32 s3, -1, 0
	s_cmp_neq_f32 s16, 1.0
	s_cselect_b32 s4, -1, 0
	s_delay_alu instid0(SALU_CYCLE_1) | instskip(NEXT) | instid1(SALU_CYCLE_1)
	s_or_b32 s3, s3, s4
	s_and_not1_b32 vcc_lo, exec_lo, s3
	s_cbranch_vccnz .LBB117_10
; %bb.5:
	s_load_b64 s[4:5], s[0:1], 0x20
	v_lshrrev_b32_e32 v1, 4, v0
	v_mov_b32_e32 v6, 0
	s_delay_alu instid0(VALU_DEP_2)
	v_lshl_or_b32 v5, ttmp9, 4, v1
	s_wait_kmcnt 0x0
	s_cmp_lg_u64 s[4:5], 0
	s_cbranch_scc0 .LBB117_11
; %bb.6:
	s_mov_b32 s7, 0
                                        ; implicit-def: $vgpr3_vgpr4
                                        ; implicit-def: $vgpr1_vgpr2
	s_mov_b32 s3, exec_lo
	v_cmpx_gt_i64_e64 s[14:15], v[5:6]
	s_xor_b32 s8, exec_lo, s3
	s_cbranch_execz .LBB117_8
; %bb.7:
	v_lshlrev_b64_e32 v[1:2], 3, v[5:6]
	s_mov_b32 s3, 0
	s_mov_b32 s6, exec_lo
	s_delay_alu instid0(VALU_DEP_1) | instskip(NEXT) | instid1(VALU_DEP_1)
	v_add_co_u32 v1, vcc_lo, s4, v1
	v_add_co_ci_u32_e64 v2, null, s5, v2, vcc_lo
	global_load_b64 v[1:2], v[1:2], off
	s_wait_loadcnt 0x0
	v_sub_co_u32 v3, vcc_lo, v1, s2
	s_wait_alu 0xfffd
	v_subrev_co_ci_u32_e64 v4, null, 0, v2, vcc_lo
	v_dual_mov_b32 v1, s2 :: v_dual_mov_b32 v2, s3
.LBB117_8:
	s_or_b32 exec_lo, exec_lo, s8
	s_delay_alu instid0(SALU_CYCLE_1)
	s_and_b32 vcc_lo, exec_lo, s7
	s_wait_alu 0xfffe
	s_cbranch_vccnz .LBB117_12
.LBB117_9:
	s_and_saveexec_b32 s2, s6
	s_cbranch_execnz .LBB117_15
.LBB117_10:
	s_endpgm
.LBB117_11:
                                        ; implicit-def: $vgpr3_vgpr4
                                        ; implicit-def: $vgpr1_vgpr2
	s_cbranch_execz .LBB117_9
.LBB117_12:
	s_load_b64 s[4:5], s[0:1], 0x0
	s_wait_kmcnt 0x0
	v_cmp_gt_i64_e32 vcc_lo, s[4:5], v[5:6]
	s_and_saveexec_b32 s4, vcc_lo
; %bb.13:
	s_mov_b32 s3, 0
	s_or_b32 s6, s6, exec_lo
; %bb.14:
	s_wait_alu 0xfffe
	s_or_b32 exec_lo, exec_lo, s4
	v_dual_mov_b32 v1, s2 :: v_dual_mov_b32 v2, s3
	v_dual_mov_b32 v3, v5 :: v_dual_mov_b32 v4, v6
	s_and_saveexec_b32 s2, s6
	s_cbranch_execz .LBB117_10
.LBB117_15:
	s_load_b256 s[4:11], s[0:1], 0x28
	s_delay_alu instid0(VALU_DEP_1) | instskip(SKIP_2) | instid1(VALU_DEP_2)
	v_lshlrev_b64_e32 v[5:6], 3, v[3:4]
	v_dual_mov_b32 v17, 0 :: v_dual_and_b32 v0, 15, v0
	s_wait_kmcnt 0x0
	v_add_co_u32 v7, vcc_lo, s4, v5
	s_wait_alu 0xfffd
	s_delay_alu instid0(VALU_DEP_3)
	v_add_co_ci_u32_e64 v8, null, s5, v6, vcc_lo
	v_add_co_u32 v5, vcc_lo, s6, v5
	s_wait_alu 0xfffd
	v_add_co_ci_u32_e64 v6, null, s7, v6, vcc_lo
	global_load_b64 v[9:10], v[7:8], off
	v_add_co_u32 v7, vcc_lo, v7, 8
	s_wait_alu 0xfffd
	v_add_co_ci_u32_e64 v8, null, 0, v8, vcc_lo
	s_cmp_eq_u64 s[6:7], 0
	s_cselect_b32 vcc_lo, -1, 0
	s_wait_alu 0xfffe
	v_dual_cndmask_b32 v6, v6, v8 :: v_dual_cndmask_b32 v5, v5, v7
	global_load_b64 v[11:12], v[5:6], off
	s_clause 0x1
	s_load_b32 s3, s[0:1], 0x8
	s_load_b64 s[4:5], s[0:1], 0x48
	s_wait_kmcnt 0x0
	s_cmp_eq_u32 s3, 1
	s_wait_loadcnt 0x1
	v_sub_co_u32 v5, vcc_lo, v9, v1
	s_wait_alu 0xfffd
	v_sub_co_ci_u32_e64 v6, null, v10, v2, vcc_lo
	s_delay_alu instid0(VALU_DEP_2) | instskip(SKIP_1) | instid1(VALU_DEP_2)
	v_add_co_u32 v5, vcc_lo, v5, v0
	s_wait_alu 0xfffd
	v_add_co_ci_u32_e64 v6, null, 0, v6, vcc_lo
	s_delay_alu instid0(VALU_DEP_2) | instskip(NEXT) | instid1(VALU_DEP_1)
	v_mad_co_u64_u32 v[7:8], null, v5, 18, s[10:11]
	v_mad_co_u64_u32 v[8:9], null, v6, 18, v[8:9]
	s_wait_loadcnt 0x0
	v_sub_co_u32 v9, vcc_lo, v11, v1
	s_wait_alu 0xfffd
	v_sub_co_ci_u32_e64 v10, null, v12, v2, vcc_lo
	s_delay_alu instid0(VALU_DEP_1)
	v_cmp_lt_i64_e64 s2, v[5:6], v[9:10]
	s_cbranch_scc1 .LBB117_21
; %bb.16:
	v_dual_mov_b32 v18, 0 :: v_dual_mov_b32 v19, 0
	s_and_saveexec_b32 s6, s2
	s_cbranch_execz .LBB117_20
; %bb.17:
	v_lshlrev_b64_e32 v[13:14], 3, v[5:6]
	v_dual_mov_b32 v17, 0 :: v_dual_mov_b32 v12, v8
	v_dual_mov_b32 v11, v7 :: v_dual_mov_b32 v16, v6
	;; [unrolled: 1-line block ×3, first 2 shown]
	s_delay_alu instid0(VALU_DEP_4)
	v_add_co_u32 v13, vcc_lo, s8, v13
	s_wait_alu 0xfffd
	v_add_co_ci_u32_e64 v14, null, s9, v14, vcc_lo
	v_mov_b32_e32 v19, 0
	s_mov_b32 s7, 0
.LBB117_18:                             ; =>This Inner Loop Header: Depth=1
	global_load_b64 v[20:21], v[13:14], off
	s_wait_loadcnt 0x0
	v_sub_co_u32 v20, vcc_lo, v20, v1
	s_wait_alu 0xfffd
	v_sub_co_ci_u32_e64 v21, null, v21, v2, vcc_lo
	v_add_co_u32 v15, vcc_lo, v15, 16
	s_delay_alu instid0(VALU_DEP_3) | instskip(SKIP_2) | instid1(VALU_DEP_1)
	v_mad_co_u64_u32 v[24:25], null, v20, 6, s[4:5]
	s_wait_alu 0xfffd
	v_add_co_ci_u32_e64 v16, null, 0, v16, vcc_lo
	v_cmp_ge_i64_e64 s3, v[15:16], v[9:10]
	s_delay_alu instid0(VALU_DEP_3) | instskip(SKIP_2) | instid1(VALU_DEP_1)
	v_mov_b32_e32 v20, v25
	s_wait_alu 0xfffe
	s_or_b32 s7, s3, s7
	v_mad_co_u64_u32 v[20:21], null, v21, 6, v[20:21]
	s_delay_alu instid0(VALU_DEP_1)
	v_mov_b32_e32 v25, v20
	global_load_b128 v[20:23], v[11:12], off
	global_load_b32 v26, v[24:25], off
	global_load_u16 v27, v[11:12], off offset:16
	global_load_u16 v24, v[24:25], off offset:4
	v_add_co_u32 v11, vcc_lo, 0x120, v11
	s_wait_alu 0xfffd
	v_add_co_ci_u32_e64 v12, null, 0, v12, vcc_lo
	v_add_co_u32 v13, vcc_lo, 0x80, v13
	s_wait_alu 0xfffd
	v_add_co_ci_u32_e64 v14, null, 0, v14, vcc_lo
	s_wait_loadcnt 0x2
	v_lshlrev_b32_e32 v31, 16, v26
	v_lshlrev_b32_e32 v28, 16, v21
	v_and_b32_e32 v21, 0xffff0000, v21
	v_lshlrev_b32_e32 v25, 16, v20
	v_and_b32_e32 v20, 0xffff0000, v20
	s_wait_loadcnt 0x0
	v_lshlrev_b32_e32 v24, 16, v24
	v_dual_fmac_f32 v18, v21, v31 :: v_dual_lshlrev_b32 v29, 16, v22
	v_dual_fmac_f32 v19, v25, v31 :: v_dual_and_b32 v26, 0xffff0000, v26
	v_lshlrev_b32_e32 v30, 16, v23
	v_lshlrev_b32_e32 v21, 16, v27
	s_delay_alu instid0(VALU_DEP_3) | instskip(NEXT) | instid1(VALU_DEP_3)
	v_fmac_f32_e32 v19, v20, v26
	v_dual_fmac_f32 v17, v30, v31 :: v_dual_and_b32 v22, 0xffff0000, v22
	s_delay_alu instid0(VALU_DEP_2) | instskip(SKIP_1) | instid1(VALU_DEP_1)
	v_fmac_f32_e32 v19, v28, v24
	v_dual_fmac_f32 v18, v29, v26 :: v_dual_and_b32 v23, 0xffff0000, v23
	v_dual_fmac_f32 v17, v23, v26 :: v_dual_fmac_f32 v18, v22, v24
	s_delay_alu instid0(VALU_DEP_1)
	v_fmac_f32_e32 v17, v21, v24
	s_wait_alu 0xfffe
	s_and_not1_b32 exec_lo, exec_lo, s7
	s_cbranch_execnz .LBB117_18
; %bb.19:
	s_or_b32 exec_lo, exec_lo, s7
.LBB117_20:
	s_wait_alu 0xfffe
	s_or_b32 exec_lo, exec_lo, s6
	s_cbranch_execz .LBB117_22
	s_branch .LBB117_27
.LBB117_21:
                                        ; implicit-def: $vgpr17
                                        ; implicit-def: $vgpr18
                                        ; implicit-def: $vgpr19
.LBB117_22:
	v_dual_mov_b32 v17, 0 :: v_dual_mov_b32 v18, 0
	v_mov_b32_e32 v19, 0
	s_and_saveexec_b32 s3, s2
	s_cbranch_execz .LBB117_26
; %bb.23:
	v_lshlrev_b64_e32 v[11:12], 3, v[5:6]
	v_dual_mov_b32 v17, 0 :: v_dual_mov_b32 v18, 0
	v_mov_b32_e32 v19, 0
	s_mov_b32 s6, 0
	s_delay_alu instid0(VALU_DEP_3)
	v_add_co_u32 v11, vcc_lo, s8, v11
	s_wait_alu 0xfffd
	v_add_co_ci_u32_e64 v12, null, s9, v12, vcc_lo
.LBB117_24:                             ; =>This Inner Loop Header: Depth=1
	global_load_b64 v[13:14], v[11:12], off
	s_wait_loadcnt 0x0
	v_sub_co_u32 v13, vcc_lo, v13, v1
	s_wait_alu 0xfffd
	v_sub_co_ci_u32_e64 v14, null, v14, v2, vcc_lo
	v_add_co_u32 v5, vcc_lo, v5, 16
	s_delay_alu instid0(VALU_DEP_3) | instskip(SKIP_2) | instid1(VALU_DEP_1)
	v_mad_co_u64_u32 v[20:21], null, v13, 6, s[4:5]
	s_wait_alu 0xfffd
	v_add_co_ci_u32_e64 v6, null, 0, v6, vcc_lo
	v_cmp_ge_i64_e64 s2, v[5:6], v[9:10]
	s_delay_alu instid0(VALU_DEP_3) | instskip(SKIP_2) | instid1(VALU_DEP_1)
	v_mov_b32_e32 v13, v21
	s_wait_alu 0xfffe
	s_or_b32 s6, s2, s6
	v_mad_co_u64_u32 v[13:14], null, v14, 6, v[13:14]
	s_delay_alu instid0(VALU_DEP_1)
	v_mov_b32_e32 v21, v13
	global_load_b128 v[13:16], v[7:8], off
	global_load_b32 v22, v[20:21], off
	global_load_u16 v23, v[7:8], off offset:16
	global_load_u16 v20, v[20:21], off offset:4
	v_add_co_u32 v7, vcc_lo, 0x120, v7
	s_wait_alu 0xfffd
	v_add_co_ci_u32_e64 v8, null, 0, v8, vcc_lo
	v_add_co_u32 v11, vcc_lo, 0x80, v11
	s_wait_alu 0xfffd
	v_add_co_ci_u32_e64 v12, null, 0, v12, vcc_lo
	s_wait_loadcnt 0x3
	v_lshlrev_b32_e32 v24, 16, v14
	s_wait_loadcnt 0x2
	v_lshlrev_b32_e32 v27, 16, v22
	v_lshlrev_b32_e32 v21, 16, v13
	v_and_b32_e32 v14, 0xffff0000, v14
	v_lshlrev_b32_e32 v26, 16, v16
	s_delay_alu instid0(VALU_DEP_4)
	v_dual_fmac_f32 v17, v24, v27 :: v_dual_and_b32 v16, 0xffff0000, v16
	s_wait_loadcnt 0x0
	v_lshlrev_b32_e32 v20, 16, v20
	v_lshlrev_b32_e32 v25, 16, v15
	v_and_b32_e32 v22, 0xffff0000, v22
	v_and_b32_e32 v13, 0xffff0000, v13
	;; [unrolled: 1-line block ×3, first 2 shown]
	s_delay_alu instid0(VALU_DEP_2) | instskip(SKIP_2) | instid1(VALU_DEP_2)
	v_fmac_f32_e32 v18, v13, v27
	v_fmac_f32_e32 v19, v21, v27
	v_lshlrev_b32_e32 v13, 16, v23
	v_fmac_f32_e32 v19, v14, v22
	s_delay_alu instid0(VALU_DEP_1) | instskip(NEXT) | instid1(VALU_DEP_1)
	v_dual_fmac_f32 v19, v26, v20 :: v_dual_fmac_f32 v18, v25, v22
	v_dual_fmac_f32 v17, v15, v22 :: v_dual_fmac_f32 v18, v16, v20
	s_delay_alu instid0(VALU_DEP_1)
	v_fmac_f32_e32 v17, v13, v20
	s_wait_alu 0xfffe
	s_and_not1_b32 exec_lo, exec_lo, s6
	s_cbranch_execnz .LBB117_24
; %bb.25:
	s_or_b32 exec_lo, exec_lo, s6
.LBB117_26:
	s_wait_alu 0xfffe
	s_or_b32 exec_lo, exec_lo, s3
.LBB117_27:
	v_mbcnt_lo_u32_b32 v1, -1, 0
	s_mov_b32 s2, -1
	s_delay_alu instid0(VALU_DEP_1) | instskip(SKIP_2) | instid1(VALU_DEP_3)
	v_xor_b32_e32 v2, 8, v1
	v_xor_b32_e32 v7, 4, v1
	;; [unrolled: 1-line block ×3, first 2 shown]
	v_cmp_gt_i32_e32 vcc_lo, 32, v2
	s_wait_alu 0xfffd
	v_cndmask_b32_e32 v2, v1, v2, vcc_lo
	v_cmp_gt_i32_e32 vcc_lo, 32, v7
	s_wait_alu 0xfffd
	v_cndmask_b32_e32 v7, v1, v7, vcc_lo
	v_cmp_gt_i32_e32 vcc_lo, 32, v10
	s_delay_alu instid0(VALU_DEP_2)
	v_lshlrev_b32_e32 v7, 2, v7
	v_lshlrev_b32_e32 v2, 2, v2
	ds_bpermute_b32 v5, v2, v19
	s_wait_dscnt 0x0
	v_add_f32_e32 v5, v19, v5
	ds_bpermute_b32 v6, v2, v18
	ds_bpermute_b32 v2, v2, v17
	;; [unrolled: 1-line block ×3, first 2 shown]
	s_wait_dscnt 0x2
	v_add_f32_e32 v6, v18, v6
	s_wait_dscnt 0x1
	v_add_f32_e32 v2, v17, v2
	;; [unrolled: 2-line block ×3, first 2 shown]
	ds_bpermute_b32 v9, v7, v6
	ds_bpermute_b32 v7, v7, v2
	s_wait_alu 0xfffd
	v_cndmask_b32_e32 v10, v1, v10, vcc_lo
	s_wait_dscnt 0x1
	v_add_f32_e32 v6, v6, v9
	s_wait_dscnt 0x0
	s_delay_alu instid0(VALU_DEP_2) | instskip(SKIP_4) | instid1(VALU_DEP_1)
	v_dual_add_f32 v7, v2, v7 :: v_dual_lshlrev_b32 v10, 2, v10
	ds_bpermute_b32 v2, v10, v5
	ds_bpermute_b32 v8, v10, v6
	;; [unrolled: 1-line block ×3, first 2 shown]
	v_xor_b32_e32 v10, 1, v1
	v_cmp_gt_i32_e32 vcc_lo, 32, v10
	s_wait_alu 0xfffd
	v_cndmask_b32_e32 v1, v1, v10, vcc_lo
	v_cmp_eq_u32_e32 vcc_lo, 15, v0
	s_wait_dscnt 0x2
	s_delay_alu instid0(VALU_DEP_2)
	v_dual_add_f32 v1, v5, v2 :: v_dual_lshlrev_b32 v10, 2, v1
	s_wait_dscnt 0x0
	v_dual_add_f32 v2, v6, v8 :: v_dual_add_f32 v5, v7, v9
	ds_bpermute_b32 v6, v10, v1
	ds_bpermute_b32 v7, v10, v2
	;; [unrolled: 1-line block ×3, first 2 shown]
	s_and_b32 exec_lo, exec_lo, vcc_lo
	s_cbranch_execz .LBB117_10
; %bb.28:
	s_load_b64 s[0:1], s[0:1], 0x58
	s_wait_dscnt 0x1
	v_dual_add_f32 v0, v1, v6 :: v_dual_add_f32 v1, v2, v7
	s_wait_dscnt 0x0
	v_add_f32_e32 v2, v5, v8
	s_cmp_eq_f32 s16, 0
	s_delay_alu instid0(VALU_DEP_2) | instskip(NEXT) | instid1(VALU_DEP_2)
	v_dual_mul_f32 v0, s12, v0 :: v_dual_mul_f32 v1, s12, v1
	v_mul_f32_e32 v2, s12, v2
	s_cbranch_scc0 .LBB117_30
; %bb.29:
	s_wait_kmcnt 0x0
	v_mad_co_u64_u32 v[5:6], null, v3, 12, s[0:1]
	s_mov_b32 s2, 0
	v_mad_co_u64_u32 v[6:7], null, v4, 12, v[6:7]
	global_store_b96 v[5:6], v[0:2], off
.LBB117_30:
	s_wait_alu 0xfffe
	s_and_not1_b32 vcc_lo, exec_lo, s2
	s_wait_alu 0xfffe
	s_cbranch_vccnz .LBB117_10
; %bb.31:
	s_wait_kmcnt 0x0
	v_mad_co_u64_u32 v[6:7], null, v3, 12, s[0:1]
	s_delay_alu instid0(VALU_DEP_1) | instskip(NEXT) | instid1(VALU_DEP_1)
	v_mov_b32_e32 v3, v7
	v_mad_co_u64_u32 v[3:4], null, v4, 12, v[3:4]
	s_delay_alu instid0(VALU_DEP_1)
	v_mov_b32_e32 v7, v3
	global_load_b96 v[3:5], v[6:7], off
	s_wait_loadcnt 0x0
	v_dual_fmac_f32 v0, s16, v3 :: v_dual_fmac_f32 v1, s16, v4
	v_fmac_f32_e32 v2, s16, v5
	global_store_b96 v[6:7], v[0:2], off
	s_endpgm
	.section	.rodata,"a",@progbits
	.p2align	6, 0x0
	.amdhsa_kernel _ZN9rocsparseL18bsrxmvn_3x3_kernelILj256ELj16Efll18rocsparse_bfloat16S1_fEEvT3_20rocsparse_direction_NS_24const_host_device_scalarIT1_EES2_PKS2_PKT2_SB_S8_PKT4_PKT5_S6_PT6_21rocsparse_index_base_b
		.amdhsa_group_segment_fixed_size 0
		.amdhsa_private_segment_fixed_size 0
		.amdhsa_kernarg_size 104
		.amdhsa_user_sgpr_count 2
		.amdhsa_user_sgpr_dispatch_ptr 0
		.amdhsa_user_sgpr_queue_ptr 0
		.amdhsa_user_sgpr_kernarg_segment_ptr 1
		.amdhsa_user_sgpr_dispatch_id 0
		.amdhsa_user_sgpr_private_segment_size 0
		.amdhsa_wavefront_size32 1
		.amdhsa_uses_dynamic_stack 0
		.amdhsa_enable_private_segment 0
		.amdhsa_system_sgpr_workgroup_id_x 1
		.amdhsa_system_sgpr_workgroup_id_y 0
		.amdhsa_system_sgpr_workgroup_id_z 0
		.amdhsa_system_sgpr_workgroup_info 0
		.amdhsa_system_vgpr_workitem_id 0
		.amdhsa_next_free_vgpr 32
		.amdhsa_next_free_sgpr 18
		.amdhsa_reserve_vcc 1
		.amdhsa_float_round_mode_32 0
		.amdhsa_float_round_mode_16_64 0
		.amdhsa_float_denorm_mode_32 3
		.amdhsa_float_denorm_mode_16_64 3
		.amdhsa_fp16_overflow 0
		.amdhsa_workgroup_processor_mode 1
		.amdhsa_memory_ordered 1
		.amdhsa_forward_progress 1
		.amdhsa_inst_pref_size 16
		.amdhsa_round_robin_scheduling 0
		.amdhsa_exception_fp_ieee_invalid_op 0
		.amdhsa_exception_fp_denorm_src 0
		.amdhsa_exception_fp_ieee_div_zero 0
		.amdhsa_exception_fp_ieee_overflow 0
		.amdhsa_exception_fp_ieee_underflow 0
		.amdhsa_exception_fp_ieee_inexact 0
		.amdhsa_exception_int_div_zero 0
	.end_amdhsa_kernel
	.section	.text._ZN9rocsparseL18bsrxmvn_3x3_kernelILj256ELj16Efll18rocsparse_bfloat16S1_fEEvT3_20rocsparse_direction_NS_24const_host_device_scalarIT1_EES2_PKS2_PKT2_SB_S8_PKT4_PKT5_S6_PT6_21rocsparse_index_base_b,"axG",@progbits,_ZN9rocsparseL18bsrxmvn_3x3_kernelILj256ELj16Efll18rocsparse_bfloat16S1_fEEvT3_20rocsparse_direction_NS_24const_host_device_scalarIT1_EES2_PKS2_PKT2_SB_S8_PKT4_PKT5_S6_PT6_21rocsparse_index_base_b,comdat
.Lfunc_end117:
	.size	_ZN9rocsparseL18bsrxmvn_3x3_kernelILj256ELj16Efll18rocsparse_bfloat16S1_fEEvT3_20rocsparse_direction_NS_24const_host_device_scalarIT1_EES2_PKS2_PKT2_SB_S8_PKT4_PKT5_S6_PT6_21rocsparse_index_base_b, .Lfunc_end117-_ZN9rocsparseL18bsrxmvn_3x3_kernelILj256ELj16Efll18rocsparse_bfloat16S1_fEEvT3_20rocsparse_direction_NS_24const_host_device_scalarIT1_EES2_PKS2_PKT2_SB_S8_PKT4_PKT5_S6_PT6_21rocsparse_index_base_b
                                        ; -- End function
	.set _ZN9rocsparseL18bsrxmvn_3x3_kernelILj256ELj16Efll18rocsparse_bfloat16S1_fEEvT3_20rocsparse_direction_NS_24const_host_device_scalarIT1_EES2_PKS2_PKT2_SB_S8_PKT4_PKT5_S6_PT6_21rocsparse_index_base_b.num_vgpr, 32
	.set _ZN9rocsparseL18bsrxmvn_3x3_kernelILj256ELj16Efll18rocsparse_bfloat16S1_fEEvT3_20rocsparse_direction_NS_24const_host_device_scalarIT1_EES2_PKS2_PKT2_SB_S8_PKT4_PKT5_S6_PT6_21rocsparse_index_base_b.num_agpr, 0
	.set _ZN9rocsparseL18bsrxmvn_3x3_kernelILj256ELj16Efll18rocsparse_bfloat16S1_fEEvT3_20rocsparse_direction_NS_24const_host_device_scalarIT1_EES2_PKS2_PKT2_SB_S8_PKT4_PKT5_S6_PT6_21rocsparse_index_base_b.numbered_sgpr, 18
	.set _ZN9rocsparseL18bsrxmvn_3x3_kernelILj256ELj16Efll18rocsparse_bfloat16S1_fEEvT3_20rocsparse_direction_NS_24const_host_device_scalarIT1_EES2_PKS2_PKT2_SB_S8_PKT4_PKT5_S6_PT6_21rocsparse_index_base_b.num_named_barrier, 0
	.set _ZN9rocsparseL18bsrxmvn_3x3_kernelILj256ELj16Efll18rocsparse_bfloat16S1_fEEvT3_20rocsparse_direction_NS_24const_host_device_scalarIT1_EES2_PKS2_PKT2_SB_S8_PKT4_PKT5_S6_PT6_21rocsparse_index_base_b.private_seg_size, 0
	.set _ZN9rocsparseL18bsrxmvn_3x3_kernelILj256ELj16Efll18rocsparse_bfloat16S1_fEEvT3_20rocsparse_direction_NS_24const_host_device_scalarIT1_EES2_PKS2_PKT2_SB_S8_PKT4_PKT5_S6_PT6_21rocsparse_index_base_b.uses_vcc, 1
	.set _ZN9rocsparseL18bsrxmvn_3x3_kernelILj256ELj16Efll18rocsparse_bfloat16S1_fEEvT3_20rocsparse_direction_NS_24const_host_device_scalarIT1_EES2_PKS2_PKT2_SB_S8_PKT4_PKT5_S6_PT6_21rocsparse_index_base_b.uses_flat_scratch, 0
	.set _ZN9rocsparseL18bsrxmvn_3x3_kernelILj256ELj16Efll18rocsparse_bfloat16S1_fEEvT3_20rocsparse_direction_NS_24const_host_device_scalarIT1_EES2_PKS2_PKT2_SB_S8_PKT4_PKT5_S6_PT6_21rocsparse_index_base_b.has_dyn_sized_stack, 0
	.set _ZN9rocsparseL18bsrxmvn_3x3_kernelILj256ELj16Efll18rocsparse_bfloat16S1_fEEvT3_20rocsparse_direction_NS_24const_host_device_scalarIT1_EES2_PKS2_PKT2_SB_S8_PKT4_PKT5_S6_PT6_21rocsparse_index_base_b.has_recursion, 0
	.set _ZN9rocsparseL18bsrxmvn_3x3_kernelILj256ELj16Efll18rocsparse_bfloat16S1_fEEvT3_20rocsparse_direction_NS_24const_host_device_scalarIT1_EES2_PKS2_PKT2_SB_S8_PKT4_PKT5_S6_PT6_21rocsparse_index_base_b.has_indirect_call, 0
	.section	.AMDGPU.csdata,"",@progbits
; Kernel info:
; codeLenInByte = 1956
; TotalNumSgprs: 20
; NumVgprs: 32
; ScratchSize: 0
; MemoryBound: 0
; FloatMode: 240
; IeeeMode: 1
; LDSByteSize: 0 bytes/workgroup (compile time only)
; SGPRBlocks: 0
; VGPRBlocks: 3
; NumSGPRsForWavesPerEU: 20
; NumVGPRsForWavesPerEU: 32
; Occupancy: 16
; WaveLimiterHint : 1
; COMPUTE_PGM_RSRC2:SCRATCH_EN: 0
; COMPUTE_PGM_RSRC2:USER_SGPR: 2
; COMPUTE_PGM_RSRC2:TRAP_HANDLER: 0
; COMPUTE_PGM_RSRC2:TGID_X_EN: 1
; COMPUTE_PGM_RSRC2:TGID_Y_EN: 0
; COMPUTE_PGM_RSRC2:TGID_Z_EN: 0
; COMPUTE_PGM_RSRC2:TIDIG_COMP_CNT: 0
	.section	.text._ZN9rocsparseL18bsrxmvn_3x3_kernelILj256ELj32Efll18rocsparse_bfloat16S1_fEEvT3_20rocsparse_direction_NS_24const_host_device_scalarIT1_EES2_PKS2_PKT2_SB_S8_PKT4_PKT5_S6_PT6_21rocsparse_index_base_b,"axG",@progbits,_ZN9rocsparseL18bsrxmvn_3x3_kernelILj256ELj32Efll18rocsparse_bfloat16S1_fEEvT3_20rocsparse_direction_NS_24const_host_device_scalarIT1_EES2_PKS2_PKT2_SB_S8_PKT4_PKT5_S6_PT6_21rocsparse_index_base_b,comdat
	.globl	_ZN9rocsparseL18bsrxmvn_3x3_kernelILj256ELj32Efll18rocsparse_bfloat16S1_fEEvT3_20rocsparse_direction_NS_24const_host_device_scalarIT1_EES2_PKS2_PKT2_SB_S8_PKT4_PKT5_S6_PT6_21rocsparse_index_base_b ; -- Begin function _ZN9rocsparseL18bsrxmvn_3x3_kernelILj256ELj32Efll18rocsparse_bfloat16S1_fEEvT3_20rocsparse_direction_NS_24const_host_device_scalarIT1_EES2_PKS2_PKT2_SB_S8_PKT4_PKT5_S6_PT6_21rocsparse_index_base_b
	.p2align	8
	.type	_ZN9rocsparseL18bsrxmvn_3x3_kernelILj256ELj32Efll18rocsparse_bfloat16S1_fEEvT3_20rocsparse_direction_NS_24const_host_device_scalarIT1_EES2_PKS2_PKT2_SB_S8_PKT4_PKT5_S6_PT6_21rocsparse_index_base_b,@function
_ZN9rocsparseL18bsrxmvn_3x3_kernelILj256ELj32Efll18rocsparse_bfloat16S1_fEEvT3_20rocsparse_direction_NS_24const_host_device_scalarIT1_EES2_PKS2_PKT2_SB_S8_PKT4_PKT5_S6_PT6_21rocsparse_index_base_b: ; @_ZN9rocsparseL18bsrxmvn_3x3_kernelILj256ELj32Efll18rocsparse_bfloat16S1_fEEvT3_20rocsparse_direction_NS_24const_host_device_scalarIT1_EES2_PKS2_PKT2_SB_S8_PKT4_PKT5_S6_PT6_21rocsparse_index_base_b
; %bb.0:
	s_clause 0x2
	s_load_b64 s[2:3], s[0:1], 0x60
	s_load_b128 s[12:15], s[0:1], 0x10
	s_load_b64 s[16:17], s[0:1], 0x50
	s_wait_kmcnt 0x0
	s_bitcmp1_b32 s3, 0
	s_cselect_b32 s3, -1, 0
	s_delay_alu instid0(SALU_CYCLE_1)
	s_and_b32 vcc_lo, exec_lo, s3
	s_xor_b32 s3, s3, -1
	s_cbranch_vccnz .LBB118_2
; %bb.1:
	s_load_b32 s12, s[12:13], 0x0
.LBB118_2:
	s_and_not1_b32 vcc_lo, exec_lo, s3
	s_cbranch_vccnz .LBB118_4
; %bb.3:
	s_load_b32 s16, s[16:17], 0x0
.LBB118_4:
	s_wait_kmcnt 0x0
	s_cmp_neq_f32 s12, 0
	s_mov_b32 s6, 0
	s_cselect_b32 s3, -1, 0
	s_cmp_neq_f32 s16, 1.0
	s_cselect_b32 s4, -1, 0
	s_delay_alu instid0(SALU_CYCLE_1) | instskip(NEXT) | instid1(SALU_CYCLE_1)
	s_or_b32 s3, s3, s4
	s_and_not1_b32 vcc_lo, exec_lo, s3
	s_cbranch_vccnz .LBB118_10
; %bb.5:
	s_load_b64 s[4:5], s[0:1], 0x20
	v_lshrrev_b32_e32 v1, 5, v0
	v_mov_b32_e32 v6, 0
	s_delay_alu instid0(VALU_DEP_2)
	v_lshl_or_b32 v5, ttmp9, 3, v1
	s_wait_kmcnt 0x0
	s_cmp_lg_u64 s[4:5], 0
	s_cbranch_scc0 .LBB118_11
; %bb.6:
	s_mov_b32 s7, 0
                                        ; implicit-def: $vgpr3_vgpr4
                                        ; implicit-def: $vgpr1_vgpr2
	s_mov_b32 s3, exec_lo
	v_cmpx_gt_i64_e64 s[14:15], v[5:6]
	s_xor_b32 s8, exec_lo, s3
	s_cbranch_execz .LBB118_8
; %bb.7:
	v_lshlrev_b64_e32 v[1:2], 3, v[5:6]
	s_mov_b32 s3, 0
	s_mov_b32 s6, exec_lo
	s_delay_alu instid0(VALU_DEP_1) | instskip(NEXT) | instid1(VALU_DEP_1)
	v_add_co_u32 v1, vcc_lo, s4, v1
	v_add_co_ci_u32_e64 v2, null, s5, v2, vcc_lo
	global_load_b64 v[1:2], v[1:2], off
	s_wait_loadcnt 0x0
	v_sub_co_u32 v3, vcc_lo, v1, s2
	s_wait_alu 0xfffd
	v_subrev_co_ci_u32_e64 v4, null, 0, v2, vcc_lo
	v_dual_mov_b32 v1, s2 :: v_dual_mov_b32 v2, s3
.LBB118_8:
	s_or_b32 exec_lo, exec_lo, s8
	s_delay_alu instid0(SALU_CYCLE_1)
	s_and_b32 vcc_lo, exec_lo, s7
	s_wait_alu 0xfffe
	s_cbranch_vccnz .LBB118_12
.LBB118_9:
	s_and_saveexec_b32 s2, s6
	s_cbranch_execnz .LBB118_15
.LBB118_10:
	s_endpgm
.LBB118_11:
                                        ; implicit-def: $vgpr3_vgpr4
                                        ; implicit-def: $vgpr1_vgpr2
	s_cbranch_execz .LBB118_9
.LBB118_12:
	s_load_b64 s[4:5], s[0:1], 0x0
	s_wait_kmcnt 0x0
	v_cmp_gt_i64_e32 vcc_lo, s[4:5], v[5:6]
	s_and_saveexec_b32 s4, vcc_lo
; %bb.13:
	s_mov_b32 s3, 0
	s_or_b32 s6, s6, exec_lo
; %bb.14:
	s_wait_alu 0xfffe
	s_or_b32 exec_lo, exec_lo, s4
	v_dual_mov_b32 v1, s2 :: v_dual_mov_b32 v2, s3
	v_dual_mov_b32 v3, v5 :: v_dual_mov_b32 v4, v6
	s_and_saveexec_b32 s2, s6
	s_cbranch_execz .LBB118_10
.LBB118_15:
	s_load_b256 s[4:11], s[0:1], 0x28
	s_delay_alu instid0(VALU_DEP_1) | instskip(SKIP_2) | instid1(VALU_DEP_2)
	v_lshlrev_b64_e32 v[5:6], 3, v[3:4]
	v_dual_mov_b32 v17, 0 :: v_dual_and_b32 v0, 31, v0
	s_wait_kmcnt 0x0
	v_add_co_u32 v7, vcc_lo, s4, v5
	s_wait_alu 0xfffd
	s_delay_alu instid0(VALU_DEP_3)
	v_add_co_ci_u32_e64 v8, null, s5, v6, vcc_lo
	v_add_co_u32 v5, vcc_lo, s6, v5
	s_wait_alu 0xfffd
	v_add_co_ci_u32_e64 v6, null, s7, v6, vcc_lo
	global_load_b64 v[9:10], v[7:8], off
	v_add_co_u32 v7, vcc_lo, v7, 8
	s_wait_alu 0xfffd
	v_add_co_ci_u32_e64 v8, null, 0, v8, vcc_lo
	s_cmp_eq_u64 s[6:7], 0
	s_cselect_b32 vcc_lo, -1, 0
	s_wait_alu 0xfffe
	v_dual_cndmask_b32 v6, v6, v8 :: v_dual_cndmask_b32 v5, v5, v7
	global_load_b64 v[11:12], v[5:6], off
	s_clause 0x1
	s_load_b32 s3, s[0:1], 0x8
	s_load_b64 s[4:5], s[0:1], 0x48
	s_wait_kmcnt 0x0
	s_cmp_eq_u32 s3, 1
	s_wait_loadcnt 0x1
	v_sub_co_u32 v5, vcc_lo, v9, v1
	s_wait_alu 0xfffd
	v_sub_co_ci_u32_e64 v6, null, v10, v2, vcc_lo
	s_delay_alu instid0(VALU_DEP_2) | instskip(SKIP_1) | instid1(VALU_DEP_2)
	v_add_co_u32 v5, vcc_lo, v5, v0
	s_wait_alu 0xfffd
	v_add_co_ci_u32_e64 v6, null, 0, v6, vcc_lo
	s_delay_alu instid0(VALU_DEP_2) | instskip(NEXT) | instid1(VALU_DEP_1)
	v_mad_co_u64_u32 v[7:8], null, v5, 18, s[10:11]
	v_mad_co_u64_u32 v[8:9], null, v6, 18, v[8:9]
	s_wait_loadcnt 0x0
	v_sub_co_u32 v9, vcc_lo, v11, v1
	s_wait_alu 0xfffd
	v_sub_co_ci_u32_e64 v10, null, v12, v2, vcc_lo
	s_delay_alu instid0(VALU_DEP_1)
	v_cmp_lt_i64_e64 s2, v[5:6], v[9:10]
	s_cbranch_scc1 .LBB118_21
; %bb.16:
	v_dual_mov_b32 v18, 0 :: v_dual_mov_b32 v19, 0
	s_and_saveexec_b32 s6, s2
	s_cbranch_execz .LBB118_20
; %bb.17:
	v_lshlrev_b64_e32 v[13:14], 3, v[5:6]
	v_dual_mov_b32 v17, 0 :: v_dual_mov_b32 v12, v8
	v_dual_mov_b32 v11, v7 :: v_dual_mov_b32 v16, v6
	;; [unrolled: 1-line block ×3, first 2 shown]
	s_delay_alu instid0(VALU_DEP_4)
	v_add_co_u32 v13, vcc_lo, s8, v13
	s_wait_alu 0xfffd
	v_add_co_ci_u32_e64 v14, null, s9, v14, vcc_lo
	v_mov_b32_e32 v19, 0
	s_mov_b32 s7, 0
.LBB118_18:                             ; =>This Inner Loop Header: Depth=1
	global_load_b64 v[20:21], v[13:14], off
	s_wait_loadcnt 0x0
	v_sub_co_u32 v20, vcc_lo, v20, v1
	s_wait_alu 0xfffd
	v_sub_co_ci_u32_e64 v21, null, v21, v2, vcc_lo
	v_add_co_u32 v15, vcc_lo, v15, 32
	s_delay_alu instid0(VALU_DEP_3) | instskip(SKIP_2) | instid1(VALU_DEP_1)
	v_mad_co_u64_u32 v[24:25], null, v20, 6, s[4:5]
	s_wait_alu 0xfffd
	v_add_co_ci_u32_e64 v16, null, 0, v16, vcc_lo
	v_cmp_ge_i64_e64 s3, v[15:16], v[9:10]
	s_delay_alu instid0(VALU_DEP_3) | instskip(SKIP_2) | instid1(VALU_DEP_1)
	v_mov_b32_e32 v20, v25
	s_wait_alu 0xfffe
	s_or_b32 s7, s3, s7
	v_mad_co_u64_u32 v[20:21], null, v21, 6, v[20:21]
	s_delay_alu instid0(VALU_DEP_1)
	v_mov_b32_e32 v25, v20
	global_load_b128 v[20:23], v[11:12], off
	global_load_b32 v26, v[24:25], off
	global_load_u16 v27, v[11:12], off offset:16
	global_load_u16 v24, v[24:25], off offset:4
	v_add_co_u32 v11, vcc_lo, 0x240, v11
	s_wait_alu 0xfffd
	v_add_co_ci_u32_e64 v12, null, 0, v12, vcc_lo
	v_add_co_u32 v13, vcc_lo, 0x100, v13
	s_wait_alu 0xfffd
	v_add_co_ci_u32_e64 v14, null, 0, v14, vcc_lo
	s_wait_loadcnt 0x2
	v_lshlrev_b32_e32 v31, 16, v26
	v_lshlrev_b32_e32 v28, 16, v21
	v_and_b32_e32 v21, 0xffff0000, v21
	v_lshlrev_b32_e32 v25, 16, v20
	v_and_b32_e32 v20, 0xffff0000, v20
	s_wait_loadcnt 0x0
	v_lshlrev_b32_e32 v24, 16, v24
	v_dual_fmac_f32 v18, v21, v31 :: v_dual_lshlrev_b32 v29, 16, v22
	v_dual_fmac_f32 v19, v25, v31 :: v_dual_and_b32 v26, 0xffff0000, v26
	v_lshlrev_b32_e32 v30, 16, v23
	v_lshlrev_b32_e32 v21, 16, v27
	s_delay_alu instid0(VALU_DEP_3) | instskip(NEXT) | instid1(VALU_DEP_3)
	v_fmac_f32_e32 v19, v20, v26
	v_dual_fmac_f32 v17, v30, v31 :: v_dual_and_b32 v22, 0xffff0000, v22
	s_delay_alu instid0(VALU_DEP_2) | instskip(SKIP_1) | instid1(VALU_DEP_1)
	v_fmac_f32_e32 v19, v28, v24
	v_dual_fmac_f32 v18, v29, v26 :: v_dual_and_b32 v23, 0xffff0000, v23
	v_dual_fmac_f32 v17, v23, v26 :: v_dual_fmac_f32 v18, v22, v24
	s_delay_alu instid0(VALU_DEP_1)
	v_fmac_f32_e32 v17, v21, v24
	s_wait_alu 0xfffe
	s_and_not1_b32 exec_lo, exec_lo, s7
	s_cbranch_execnz .LBB118_18
; %bb.19:
	s_or_b32 exec_lo, exec_lo, s7
.LBB118_20:
	s_wait_alu 0xfffe
	s_or_b32 exec_lo, exec_lo, s6
	s_cbranch_execz .LBB118_22
	s_branch .LBB118_27
.LBB118_21:
                                        ; implicit-def: $vgpr17
                                        ; implicit-def: $vgpr18
                                        ; implicit-def: $vgpr19
.LBB118_22:
	v_dual_mov_b32 v17, 0 :: v_dual_mov_b32 v18, 0
	v_mov_b32_e32 v19, 0
	s_and_saveexec_b32 s3, s2
	s_cbranch_execz .LBB118_26
; %bb.23:
	v_lshlrev_b64_e32 v[11:12], 3, v[5:6]
	v_dual_mov_b32 v17, 0 :: v_dual_mov_b32 v18, 0
	v_mov_b32_e32 v19, 0
	s_mov_b32 s6, 0
	s_delay_alu instid0(VALU_DEP_3)
	v_add_co_u32 v11, vcc_lo, s8, v11
	s_wait_alu 0xfffd
	v_add_co_ci_u32_e64 v12, null, s9, v12, vcc_lo
.LBB118_24:                             ; =>This Inner Loop Header: Depth=1
	global_load_b64 v[13:14], v[11:12], off
	s_wait_loadcnt 0x0
	v_sub_co_u32 v13, vcc_lo, v13, v1
	s_wait_alu 0xfffd
	v_sub_co_ci_u32_e64 v14, null, v14, v2, vcc_lo
	v_add_co_u32 v5, vcc_lo, v5, 32
	s_delay_alu instid0(VALU_DEP_3) | instskip(SKIP_2) | instid1(VALU_DEP_1)
	v_mad_co_u64_u32 v[20:21], null, v13, 6, s[4:5]
	s_wait_alu 0xfffd
	v_add_co_ci_u32_e64 v6, null, 0, v6, vcc_lo
	v_cmp_ge_i64_e64 s2, v[5:6], v[9:10]
	s_delay_alu instid0(VALU_DEP_3) | instskip(SKIP_2) | instid1(VALU_DEP_1)
	v_mov_b32_e32 v13, v21
	s_wait_alu 0xfffe
	s_or_b32 s6, s2, s6
	v_mad_co_u64_u32 v[13:14], null, v14, 6, v[13:14]
	s_delay_alu instid0(VALU_DEP_1)
	v_mov_b32_e32 v21, v13
	global_load_b128 v[13:16], v[7:8], off
	global_load_b32 v22, v[20:21], off
	global_load_u16 v23, v[7:8], off offset:16
	global_load_u16 v20, v[20:21], off offset:4
	v_add_co_u32 v7, vcc_lo, 0x240, v7
	s_wait_alu 0xfffd
	v_add_co_ci_u32_e64 v8, null, 0, v8, vcc_lo
	v_add_co_u32 v11, vcc_lo, 0x100, v11
	s_wait_alu 0xfffd
	v_add_co_ci_u32_e64 v12, null, 0, v12, vcc_lo
	s_wait_loadcnt 0x3
	v_lshlrev_b32_e32 v24, 16, v14
	s_wait_loadcnt 0x2
	v_lshlrev_b32_e32 v27, 16, v22
	v_lshlrev_b32_e32 v21, 16, v13
	v_and_b32_e32 v14, 0xffff0000, v14
	v_lshlrev_b32_e32 v26, 16, v16
	s_delay_alu instid0(VALU_DEP_4)
	v_dual_fmac_f32 v17, v24, v27 :: v_dual_and_b32 v16, 0xffff0000, v16
	s_wait_loadcnt 0x0
	v_lshlrev_b32_e32 v20, 16, v20
	v_lshlrev_b32_e32 v25, 16, v15
	v_and_b32_e32 v22, 0xffff0000, v22
	v_and_b32_e32 v13, 0xffff0000, v13
	;; [unrolled: 1-line block ×3, first 2 shown]
	s_delay_alu instid0(VALU_DEP_2) | instskip(SKIP_2) | instid1(VALU_DEP_2)
	v_fmac_f32_e32 v18, v13, v27
	v_fmac_f32_e32 v19, v21, v27
	v_lshlrev_b32_e32 v13, 16, v23
	v_fmac_f32_e32 v19, v14, v22
	s_delay_alu instid0(VALU_DEP_1) | instskip(NEXT) | instid1(VALU_DEP_1)
	v_dual_fmac_f32 v19, v26, v20 :: v_dual_fmac_f32 v18, v25, v22
	v_dual_fmac_f32 v17, v15, v22 :: v_dual_fmac_f32 v18, v16, v20
	s_delay_alu instid0(VALU_DEP_1)
	v_fmac_f32_e32 v17, v13, v20
	s_wait_alu 0xfffe
	s_and_not1_b32 exec_lo, exec_lo, s6
	s_cbranch_execnz .LBB118_24
; %bb.25:
	s_or_b32 exec_lo, exec_lo, s6
.LBB118_26:
	s_wait_alu 0xfffe
	s_or_b32 exec_lo, exec_lo, s3
.LBB118_27:
	v_mbcnt_lo_u32_b32 v1, -1, 0
	s_mov_b32 s2, -1
	s_delay_alu instid0(VALU_DEP_1) | instskip(SKIP_2) | instid1(VALU_DEP_3)
	v_xor_b32_e32 v2, 16, v1
	v_xor_b32_e32 v7, 8, v1
	;; [unrolled: 1-line block ×3, first 2 shown]
	v_cmp_gt_i32_e32 vcc_lo, 32, v2
	s_wait_alu 0xfffd
	v_cndmask_b32_e32 v2, v1, v2, vcc_lo
	v_cmp_gt_i32_e32 vcc_lo, 32, v7
	s_wait_alu 0xfffd
	v_cndmask_b32_e32 v7, v1, v7, vcc_lo
	v_cmp_gt_i32_e32 vcc_lo, 32, v10
	s_delay_alu instid0(VALU_DEP_2)
	v_lshlrev_b32_e32 v7, 2, v7
	v_lshlrev_b32_e32 v2, 2, v2
	ds_bpermute_b32 v5, v2, v19
	s_wait_dscnt 0x0
	v_add_f32_e32 v5, v19, v5
	ds_bpermute_b32 v6, v2, v18
	ds_bpermute_b32 v2, v2, v17
	;; [unrolled: 1-line block ×3, first 2 shown]
	s_wait_dscnt 0x2
	v_add_f32_e32 v6, v18, v6
	s_wait_dscnt 0x1
	v_add_f32_e32 v2, v17, v2
	;; [unrolled: 2-line block ×3, first 2 shown]
	ds_bpermute_b32 v9, v7, v6
	ds_bpermute_b32 v7, v7, v2
	s_wait_dscnt 0x0
	v_add_f32_e32 v2, v2, v7
	s_wait_alu 0xfffd
	v_cndmask_b32_e32 v10, v1, v10, vcc_lo
	s_delay_alu instid0(VALU_DEP_1)
	v_lshlrev_b32_e32 v10, 2, v10
	ds_bpermute_b32 v7, v10, v5
	v_add_f32_e32 v6, v6, v9
	ds_bpermute_b32 v9, v10, v2
	s_wait_dscnt 0x1
	v_add_f32_e32 v5, v5, v7
	ds_bpermute_b32 v8, v10, v6
	v_xor_b32_e32 v10, 2, v1
	s_wait_dscnt 0x1
	v_add_f32_e32 v7, v2, v9
	s_delay_alu instid0(VALU_DEP_2) | instskip(SKIP_2) | instid1(VALU_DEP_1)
	v_cmp_gt_i32_e32 vcc_lo, 32, v10
	s_wait_alu 0xfffd
	v_cndmask_b32_e32 v10, v1, v10, vcc_lo
	v_lshlrev_b32_e32 v10, 2, v10
	ds_bpermute_b32 v2, v10, v5
	s_wait_dscnt 0x1
	v_add_f32_e32 v6, v6, v8
	ds_bpermute_b32 v9, v10, v7
	ds_bpermute_b32 v8, v10, v6
	v_xor_b32_e32 v10, 1, v1
	s_delay_alu instid0(VALU_DEP_1) | instskip(SKIP_4) | instid1(VALU_DEP_2)
	v_cmp_gt_i32_e32 vcc_lo, 32, v10
	s_wait_alu 0xfffd
	v_cndmask_b32_e32 v1, v1, v10, vcc_lo
	v_cmp_eq_u32_e32 vcc_lo, 31, v0
	s_wait_dscnt 0x2
	v_dual_add_f32 v1, v5, v2 :: v_dual_lshlrev_b32 v10, 2, v1
	s_wait_dscnt 0x0
	v_dual_add_f32 v5, v7, v9 :: v_dual_add_f32 v2, v6, v8
	ds_bpermute_b32 v6, v10, v1
	ds_bpermute_b32 v8, v10, v5
	;; [unrolled: 1-line block ×3, first 2 shown]
	s_and_b32 exec_lo, exec_lo, vcc_lo
	s_cbranch_execz .LBB118_10
; %bb.28:
	s_load_b64 s[0:1], s[0:1], 0x58
	s_wait_dscnt 0x0
	v_dual_add_f32 v0, v1, v6 :: v_dual_add_f32 v1, v2, v7
	v_add_f32_e32 v2, v5, v8
	s_cmp_eq_f32 s16, 0
	s_delay_alu instid0(VALU_DEP_2) | instskip(NEXT) | instid1(VALU_DEP_2)
	v_dual_mul_f32 v0, s12, v0 :: v_dual_mul_f32 v1, s12, v1
	v_mul_f32_e32 v2, s12, v2
	s_cbranch_scc0 .LBB118_30
; %bb.29:
	s_wait_kmcnt 0x0
	v_mad_co_u64_u32 v[5:6], null, v3, 12, s[0:1]
	s_mov_b32 s2, 0
	v_mad_co_u64_u32 v[6:7], null, v4, 12, v[6:7]
	global_store_b96 v[5:6], v[0:2], off
.LBB118_30:
	s_wait_alu 0xfffe
	s_and_not1_b32 vcc_lo, exec_lo, s2
	s_wait_alu 0xfffe
	s_cbranch_vccnz .LBB118_10
; %bb.31:
	s_wait_kmcnt 0x0
	v_mad_co_u64_u32 v[6:7], null, v3, 12, s[0:1]
	s_delay_alu instid0(VALU_DEP_1) | instskip(NEXT) | instid1(VALU_DEP_1)
	v_mov_b32_e32 v3, v7
	v_mad_co_u64_u32 v[3:4], null, v4, 12, v[3:4]
	s_delay_alu instid0(VALU_DEP_1)
	v_mov_b32_e32 v7, v3
	global_load_b96 v[3:5], v[6:7], off
	s_wait_loadcnt 0x0
	v_dual_fmac_f32 v0, s16, v3 :: v_dual_fmac_f32 v1, s16, v4
	v_fmac_f32_e32 v2, s16, v5
	global_store_b96 v[6:7], v[0:2], off
	s_endpgm
	.section	.rodata,"a",@progbits
	.p2align	6, 0x0
	.amdhsa_kernel _ZN9rocsparseL18bsrxmvn_3x3_kernelILj256ELj32Efll18rocsparse_bfloat16S1_fEEvT3_20rocsparse_direction_NS_24const_host_device_scalarIT1_EES2_PKS2_PKT2_SB_S8_PKT4_PKT5_S6_PT6_21rocsparse_index_base_b
		.amdhsa_group_segment_fixed_size 0
		.amdhsa_private_segment_fixed_size 0
		.amdhsa_kernarg_size 104
		.amdhsa_user_sgpr_count 2
		.amdhsa_user_sgpr_dispatch_ptr 0
		.amdhsa_user_sgpr_queue_ptr 0
		.amdhsa_user_sgpr_kernarg_segment_ptr 1
		.amdhsa_user_sgpr_dispatch_id 0
		.amdhsa_user_sgpr_private_segment_size 0
		.amdhsa_wavefront_size32 1
		.amdhsa_uses_dynamic_stack 0
		.amdhsa_enable_private_segment 0
		.amdhsa_system_sgpr_workgroup_id_x 1
		.amdhsa_system_sgpr_workgroup_id_y 0
		.amdhsa_system_sgpr_workgroup_id_z 0
		.amdhsa_system_sgpr_workgroup_info 0
		.amdhsa_system_vgpr_workitem_id 0
		.amdhsa_next_free_vgpr 32
		.amdhsa_next_free_sgpr 18
		.amdhsa_reserve_vcc 1
		.amdhsa_float_round_mode_32 0
		.amdhsa_float_round_mode_16_64 0
		.amdhsa_float_denorm_mode_32 3
		.amdhsa_float_denorm_mode_16_64 3
		.amdhsa_fp16_overflow 0
		.amdhsa_workgroup_processor_mode 1
		.amdhsa_memory_ordered 1
		.amdhsa_forward_progress 1
		.amdhsa_inst_pref_size 16
		.amdhsa_round_robin_scheduling 0
		.amdhsa_exception_fp_ieee_invalid_op 0
		.amdhsa_exception_fp_denorm_src 0
		.amdhsa_exception_fp_ieee_div_zero 0
		.amdhsa_exception_fp_ieee_overflow 0
		.amdhsa_exception_fp_ieee_underflow 0
		.amdhsa_exception_fp_ieee_inexact 0
		.amdhsa_exception_int_div_zero 0
	.end_amdhsa_kernel
	.section	.text._ZN9rocsparseL18bsrxmvn_3x3_kernelILj256ELj32Efll18rocsparse_bfloat16S1_fEEvT3_20rocsparse_direction_NS_24const_host_device_scalarIT1_EES2_PKS2_PKT2_SB_S8_PKT4_PKT5_S6_PT6_21rocsparse_index_base_b,"axG",@progbits,_ZN9rocsparseL18bsrxmvn_3x3_kernelILj256ELj32Efll18rocsparse_bfloat16S1_fEEvT3_20rocsparse_direction_NS_24const_host_device_scalarIT1_EES2_PKS2_PKT2_SB_S8_PKT4_PKT5_S6_PT6_21rocsparse_index_base_b,comdat
.Lfunc_end118:
	.size	_ZN9rocsparseL18bsrxmvn_3x3_kernelILj256ELj32Efll18rocsparse_bfloat16S1_fEEvT3_20rocsparse_direction_NS_24const_host_device_scalarIT1_EES2_PKS2_PKT2_SB_S8_PKT4_PKT5_S6_PT6_21rocsparse_index_base_b, .Lfunc_end118-_ZN9rocsparseL18bsrxmvn_3x3_kernelILj256ELj32Efll18rocsparse_bfloat16S1_fEEvT3_20rocsparse_direction_NS_24const_host_device_scalarIT1_EES2_PKS2_PKT2_SB_S8_PKT4_PKT5_S6_PT6_21rocsparse_index_base_b
                                        ; -- End function
	.set _ZN9rocsparseL18bsrxmvn_3x3_kernelILj256ELj32Efll18rocsparse_bfloat16S1_fEEvT3_20rocsparse_direction_NS_24const_host_device_scalarIT1_EES2_PKS2_PKT2_SB_S8_PKT4_PKT5_S6_PT6_21rocsparse_index_base_b.num_vgpr, 32
	.set _ZN9rocsparseL18bsrxmvn_3x3_kernelILj256ELj32Efll18rocsparse_bfloat16S1_fEEvT3_20rocsparse_direction_NS_24const_host_device_scalarIT1_EES2_PKS2_PKT2_SB_S8_PKT4_PKT5_S6_PT6_21rocsparse_index_base_b.num_agpr, 0
	.set _ZN9rocsparseL18bsrxmvn_3x3_kernelILj256ELj32Efll18rocsparse_bfloat16S1_fEEvT3_20rocsparse_direction_NS_24const_host_device_scalarIT1_EES2_PKS2_PKT2_SB_S8_PKT4_PKT5_S6_PT6_21rocsparse_index_base_b.numbered_sgpr, 18
	.set _ZN9rocsparseL18bsrxmvn_3x3_kernelILj256ELj32Efll18rocsparse_bfloat16S1_fEEvT3_20rocsparse_direction_NS_24const_host_device_scalarIT1_EES2_PKS2_PKT2_SB_S8_PKT4_PKT5_S6_PT6_21rocsparse_index_base_b.num_named_barrier, 0
	.set _ZN9rocsparseL18bsrxmvn_3x3_kernelILj256ELj32Efll18rocsparse_bfloat16S1_fEEvT3_20rocsparse_direction_NS_24const_host_device_scalarIT1_EES2_PKS2_PKT2_SB_S8_PKT4_PKT5_S6_PT6_21rocsparse_index_base_b.private_seg_size, 0
	.set _ZN9rocsparseL18bsrxmvn_3x3_kernelILj256ELj32Efll18rocsparse_bfloat16S1_fEEvT3_20rocsparse_direction_NS_24const_host_device_scalarIT1_EES2_PKS2_PKT2_SB_S8_PKT4_PKT5_S6_PT6_21rocsparse_index_base_b.uses_vcc, 1
	.set _ZN9rocsparseL18bsrxmvn_3x3_kernelILj256ELj32Efll18rocsparse_bfloat16S1_fEEvT3_20rocsparse_direction_NS_24const_host_device_scalarIT1_EES2_PKS2_PKT2_SB_S8_PKT4_PKT5_S6_PT6_21rocsparse_index_base_b.uses_flat_scratch, 0
	.set _ZN9rocsparseL18bsrxmvn_3x3_kernelILj256ELj32Efll18rocsparse_bfloat16S1_fEEvT3_20rocsparse_direction_NS_24const_host_device_scalarIT1_EES2_PKS2_PKT2_SB_S8_PKT4_PKT5_S6_PT6_21rocsparse_index_base_b.has_dyn_sized_stack, 0
	.set _ZN9rocsparseL18bsrxmvn_3x3_kernelILj256ELj32Efll18rocsparse_bfloat16S1_fEEvT3_20rocsparse_direction_NS_24const_host_device_scalarIT1_EES2_PKS2_PKT2_SB_S8_PKT4_PKT5_S6_PT6_21rocsparse_index_base_b.has_recursion, 0
	.set _ZN9rocsparseL18bsrxmvn_3x3_kernelILj256ELj32Efll18rocsparse_bfloat16S1_fEEvT3_20rocsparse_direction_NS_24const_host_device_scalarIT1_EES2_PKS2_PKT2_SB_S8_PKT4_PKT5_S6_PT6_21rocsparse_index_base_b.has_indirect_call, 0
	.section	.AMDGPU.csdata,"",@progbits
; Kernel info:
; codeLenInByte = 2020
; TotalNumSgprs: 20
; NumVgprs: 32
; ScratchSize: 0
; MemoryBound: 0
; FloatMode: 240
; IeeeMode: 1
; LDSByteSize: 0 bytes/workgroup (compile time only)
; SGPRBlocks: 0
; VGPRBlocks: 3
; NumSGPRsForWavesPerEU: 20
; NumVGPRsForWavesPerEU: 32
; Occupancy: 16
; WaveLimiterHint : 1
; COMPUTE_PGM_RSRC2:SCRATCH_EN: 0
; COMPUTE_PGM_RSRC2:USER_SGPR: 2
; COMPUTE_PGM_RSRC2:TRAP_HANDLER: 0
; COMPUTE_PGM_RSRC2:TGID_X_EN: 1
; COMPUTE_PGM_RSRC2:TGID_Y_EN: 0
; COMPUTE_PGM_RSRC2:TGID_Z_EN: 0
; COMPUTE_PGM_RSRC2:TIDIG_COMP_CNT: 0
	.section	.text._ZN9rocsparseL18bsrxmvn_3x3_kernelILj256ELj64Efll18rocsparse_bfloat16S1_fEEvT3_20rocsparse_direction_NS_24const_host_device_scalarIT1_EES2_PKS2_PKT2_SB_S8_PKT4_PKT5_S6_PT6_21rocsparse_index_base_b,"axG",@progbits,_ZN9rocsparseL18bsrxmvn_3x3_kernelILj256ELj64Efll18rocsparse_bfloat16S1_fEEvT3_20rocsparse_direction_NS_24const_host_device_scalarIT1_EES2_PKS2_PKT2_SB_S8_PKT4_PKT5_S6_PT6_21rocsparse_index_base_b,comdat
	.globl	_ZN9rocsparseL18bsrxmvn_3x3_kernelILj256ELj64Efll18rocsparse_bfloat16S1_fEEvT3_20rocsparse_direction_NS_24const_host_device_scalarIT1_EES2_PKS2_PKT2_SB_S8_PKT4_PKT5_S6_PT6_21rocsparse_index_base_b ; -- Begin function _ZN9rocsparseL18bsrxmvn_3x3_kernelILj256ELj64Efll18rocsparse_bfloat16S1_fEEvT3_20rocsparse_direction_NS_24const_host_device_scalarIT1_EES2_PKS2_PKT2_SB_S8_PKT4_PKT5_S6_PT6_21rocsparse_index_base_b
	.p2align	8
	.type	_ZN9rocsparseL18bsrxmvn_3x3_kernelILj256ELj64Efll18rocsparse_bfloat16S1_fEEvT3_20rocsparse_direction_NS_24const_host_device_scalarIT1_EES2_PKS2_PKT2_SB_S8_PKT4_PKT5_S6_PT6_21rocsparse_index_base_b,@function
_ZN9rocsparseL18bsrxmvn_3x3_kernelILj256ELj64Efll18rocsparse_bfloat16S1_fEEvT3_20rocsparse_direction_NS_24const_host_device_scalarIT1_EES2_PKS2_PKT2_SB_S8_PKT4_PKT5_S6_PT6_21rocsparse_index_base_b: ; @_ZN9rocsparseL18bsrxmvn_3x3_kernelILj256ELj64Efll18rocsparse_bfloat16S1_fEEvT3_20rocsparse_direction_NS_24const_host_device_scalarIT1_EES2_PKS2_PKT2_SB_S8_PKT4_PKT5_S6_PT6_21rocsparse_index_base_b
; %bb.0:
	s_clause 0x2
	s_load_b64 s[2:3], s[0:1], 0x60
	s_load_b128 s[12:15], s[0:1], 0x10
	s_load_b64 s[16:17], s[0:1], 0x50
	s_wait_kmcnt 0x0
	s_bitcmp1_b32 s3, 0
	s_cselect_b32 s3, -1, 0
	s_delay_alu instid0(SALU_CYCLE_1)
	s_and_b32 vcc_lo, exec_lo, s3
	s_xor_b32 s3, s3, -1
	s_cbranch_vccnz .LBB119_2
; %bb.1:
	s_load_b32 s12, s[12:13], 0x0
.LBB119_2:
	s_and_not1_b32 vcc_lo, exec_lo, s3
	s_cbranch_vccnz .LBB119_4
; %bb.3:
	s_load_b32 s16, s[16:17], 0x0
.LBB119_4:
	s_wait_kmcnt 0x0
	s_cmp_neq_f32 s12, 0
	s_mov_b32 s6, 0
	s_cselect_b32 s3, -1, 0
	s_cmp_neq_f32 s16, 1.0
	s_cselect_b32 s4, -1, 0
	s_delay_alu instid0(SALU_CYCLE_1) | instskip(NEXT) | instid1(SALU_CYCLE_1)
	s_or_b32 s3, s3, s4
	s_and_not1_b32 vcc_lo, exec_lo, s3
	s_cbranch_vccnz .LBB119_10
; %bb.5:
	s_load_b64 s[4:5], s[0:1], 0x20
	v_lshrrev_b32_e32 v1, 6, v0
	v_mov_b32_e32 v6, 0
	s_delay_alu instid0(VALU_DEP_2)
	v_lshl_or_b32 v5, ttmp9, 2, v1
	s_wait_kmcnt 0x0
	s_cmp_lg_u64 s[4:5], 0
	s_cbranch_scc0 .LBB119_11
; %bb.6:
	s_mov_b32 s7, 0
                                        ; implicit-def: $vgpr3_vgpr4
                                        ; implicit-def: $vgpr1_vgpr2
	s_mov_b32 s3, exec_lo
	v_cmpx_gt_i64_e64 s[14:15], v[5:6]
	s_xor_b32 s8, exec_lo, s3
	s_cbranch_execz .LBB119_8
; %bb.7:
	v_lshlrev_b64_e32 v[1:2], 3, v[5:6]
	s_mov_b32 s3, 0
	s_mov_b32 s6, exec_lo
	s_delay_alu instid0(VALU_DEP_1) | instskip(NEXT) | instid1(VALU_DEP_1)
	v_add_co_u32 v1, vcc_lo, s4, v1
	v_add_co_ci_u32_e64 v2, null, s5, v2, vcc_lo
	global_load_b64 v[1:2], v[1:2], off
	s_wait_loadcnt 0x0
	v_sub_co_u32 v3, vcc_lo, v1, s2
	s_wait_alu 0xfffd
	v_subrev_co_ci_u32_e64 v4, null, 0, v2, vcc_lo
	v_dual_mov_b32 v1, s2 :: v_dual_mov_b32 v2, s3
.LBB119_8:
	s_or_b32 exec_lo, exec_lo, s8
	s_delay_alu instid0(SALU_CYCLE_1)
	s_and_b32 vcc_lo, exec_lo, s7
	s_wait_alu 0xfffe
	s_cbranch_vccnz .LBB119_12
.LBB119_9:
	s_and_saveexec_b32 s2, s6
	s_cbranch_execnz .LBB119_15
.LBB119_10:
	s_endpgm
.LBB119_11:
                                        ; implicit-def: $vgpr3_vgpr4
                                        ; implicit-def: $vgpr1_vgpr2
	s_cbranch_execz .LBB119_9
.LBB119_12:
	s_load_b64 s[4:5], s[0:1], 0x0
	s_wait_kmcnt 0x0
	v_cmp_gt_i64_e32 vcc_lo, s[4:5], v[5:6]
	s_and_saveexec_b32 s4, vcc_lo
; %bb.13:
	s_mov_b32 s3, 0
	s_or_b32 s6, s6, exec_lo
; %bb.14:
	s_wait_alu 0xfffe
	s_or_b32 exec_lo, exec_lo, s4
	v_dual_mov_b32 v1, s2 :: v_dual_mov_b32 v2, s3
	v_dual_mov_b32 v3, v5 :: v_dual_mov_b32 v4, v6
	s_and_saveexec_b32 s2, s6
	s_cbranch_execz .LBB119_10
.LBB119_15:
	s_load_b256 s[4:11], s[0:1], 0x28
	s_delay_alu instid0(VALU_DEP_1) | instskip(SKIP_2) | instid1(VALU_DEP_2)
	v_lshlrev_b64_e32 v[5:6], 3, v[3:4]
	v_dual_mov_b32 v17, 0 :: v_dual_and_b32 v0, 63, v0
	s_wait_kmcnt 0x0
	v_add_co_u32 v7, vcc_lo, s4, v5
	s_wait_alu 0xfffd
	s_delay_alu instid0(VALU_DEP_3)
	v_add_co_ci_u32_e64 v8, null, s5, v6, vcc_lo
	v_add_co_u32 v5, vcc_lo, s6, v5
	s_wait_alu 0xfffd
	v_add_co_ci_u32_e64 v6, null, s7, v6, vcc_lo
	global_load_b64 v[9:10], v[7:8], off
	v_add_co_u32 v7, vcc_lo, v7, 8
	s_wait_alu 0xfffd
	v_add_co_ci_u32_e64 v8, null, 0, v8, vcc_lo
	s_cmp_eq_u64 s[6:7], 0
	s_cselect_b32 vcc_lo, -1, 0
	s_wait_alu 0xfffe
	v_dual_cndmask_b32 v6, v6, v8 :: v_dual_cndmask_b32 v5, v5, v7
	global_load_b64 v[11:12], v[5:6], off
	s_clause 0x1
	s_load_b32 s3, s[0:1], 0x8
	s_load_b64 s[4:5], s[0:1], 0x48
	s_wait_kmcnt 0x0
	s_cmp_eq_u32 s3, 1
	s_wait_loadcnt 0x1
	v_sub_co_u32 v5, vcc_lo, v9, v1
	s_wait_alu 0xfffd
	v_sub_co_ci_u32_e64 v6, null, v10, v2, vcc_lo
	s_delay_alu instid0(VALU_DEP_2) | instskip(SKIP_1) | instid1(VALU_DEP_2)
	v_add_co_u32 v5, vcc_lo, v5, v0
	s_wait_alu 0xfffd
	v_add_co_ci_u32_e64 v6, null, 0, v6, vcc_lo
	s_delay_alu instid0(VALU_DEP_2) | instskip(NEXT) | instid1(VALU_DEP_1)
	v_mad_co_u64_u32 v[7:8], null, v5, 18, s[10:11]
	v_mad_co_u64_u32 v[8:9], null, v6, 18, v[8:9]
	s_wait_loadcnt 0x0
	v_sub_co_u32 v9, vcc_lo, v11, v1
	s_wait_alu 0xfffd
	v_sub_co_ci_u32_e64 v10, null, v12, v2, vcc_lo
	s_delay_alu instid0(VALU_DEP_1)
	v_cmp_lt_i64_e64 s2, v[5:6], v[9:10]
	s_cbranch_scc1 .LBB119_21
; %bb.16:
	v_dual_mov_b32 v18, 0 :: v_dual_mov_b32 v19, 0
	s_and_saveexec_b32 s6, s2
	s_cbranch_execz .LBB119_20
; %bb.17:
	v_lshlrev_b64_e32 v[13:14], 3, v[5:6]
	v_dual_mov_b32 v17, 0 :: v_dual_mov_b32 v12, v8
	v_dual_mov_b32 v11, v7 :: v_dual_mov_b32 v16, v6
	;; [unrolled: 1-line block ×3, first 2 shown]
	s_delay_alu instid0(VALU_DEP_4)
	v_add_co_u32 v13, vcc_lo, s8, v13
	s_wait_alu 0xfffd
	v_add_co_ci_u32_e64 v14, null, s9, v14, vcc_lo
	v_mov_b32_e32 v19, 0
	s_mov_b32 s7, 0
.LBB119_18:                             ; =>This Inner Loop Header: Depth=1
	global_load_b64 v[20:21], v[13:14], off
	s_wait_loadcnt 0x0
	v_sub_co_u32 v20, vcc_lo, v20, v1
	s_wait_alu 0xfffd
	v_sub_co_ci_u32_e64 v21, null, v21, v2, vcc_lo
	v_add_co_u32 v15, vcc_lo, v15, 64
	s_delay_alu instid0(VALU_DEP_3) | instskip(SKIP_2) | instid1(VALU_DEP_1)
	v_mad_co_u64_u32 v[24:25], null, v20, 6, s[4:5]
	s_wait_alu 0xfffd
	v_add_co_ci_u32_e64 v16, null, 0, v16, vcc_lo
	v_cmp_ge_i64_e64 s3, v[15:16], v[9:10]
	s_delay_alu instid0(VALU_DEP_3) | instskip(SKIP_2) | instid1(VALU_DEP_1)
	v_mov_b32_e32 v20, v25
	s_wait_alu 0xfffe
	s_or_b32 s7, s3, s7
	v_mad_co_u64_u32 v[20:21], null, v21, 6, v[20:21]
	s_delay_alu instid0(VALU_DEP_1)
	v_mov_b32_e32 v25, v20
	global_load_b128 v[20:23], v[11:12], off
	global_load_b32 v26, v[24:25], off
	global_load_u16 v27, v[11:12], off offset:16
	global_load_u16 v24, v[24:25], off offset:4
	v_add_co_u32 v11, vcc_lo, 0x480, v11
	s_wait_alu 0xfffd
	v_add_co_ci_u32_e64 v12, null, 0, v12, vcc_lo
	v_add_co_u32 v13, vcc_lo, 0x200, v13
	s_wait_alu 0xfffd
	v_add_co_ci_u32_e64 v14, null, 0, v14, vcc_lo
	s_wait_loadcnt 0x2
	v_lshlrev_b32_e32 v31, 16, v26
	v_lshlrev_b32_e32 v28, 16, v21
	v_and_b32_e32 v21, 0xffff0000, v21
	v_lshlrev_b32_e32 v25, 16, v20
	v_and_b32_e32 v20, 0xffff0000, v20
	s_wait_loadcnt 0x0
	v_lshlrev_b32_e32 v24, 16, v24
	v_dual_fmac_f32 v18, v21, v31 :: v_dual_lshlrev_b32 v29, 16, v22
	v_dual_fmac_f32 v19, v25, v31 :: v_dual_and_b32 v26, 0xffff0000, v26
	v_lshlrev_b32_e32 v30, 16, v23
	v_lshlrev_b32_e32 v21, 16, v27
	s_delay_alu instid0(VALU_DEP_3) | instskip(NEXT) | instid1(VALU_DEP_3)
	v_fmac_f32_e32 v19, v20, v26
	v_dual_fmac_f32 v17, v30, v31 :: v_dual_and_b32 v22, 0xffff0000, v22
	s_delay_alu instid0(VALU_DEP_2) | instskip(SKIP_1) | instid1(VALU_DEP_1)
	v_fmac_f32_e32 v19, v28, v24
	v_dual_fmac_f32 v18, v29, v26 :: v_dual_and_b32 v23, 0xffff0000, v23
	v_dual_fmac_f32 v17, v23, v26 :: v_dual_fmac_f32 v18, v22, v24
	s_delay_alu instid0(VALU_DEP_1)
	v_fmac_f32_e32 v17, v21, v24
	s_wait_alu 0xfffe
	s_and_not1_b32 exec_lo, exec_lo, s7
	s_cbranch_execnz .LBB119_18
; %bb.19:
	s_or_b32 exec_lo, exec_lo, s7
.LBB119_20:
	s_wait_alu 0xfffe
	s_or_b32 exec_lo, exec_lo, s6
	s_cbranch_execz .LBB119_22
	s_branch .LBB119_27
.LBB119_21:
                                        ; implicit-def: $vgpr17
                                        ; implicit-def: $vgpr18
                                        ; implicit-def: $vgpr19
.LBB119_22:
	v_dual_mov_b32 v17, 0 :: v_dual_mov_b32 v18, 0
	v_mov_b32_e32 v19, 0
	s_and_saveexec_b32 s3, s2
	s_cbranch_execz .LBB119_26
; %bb.23:
	v_lshlrev_b64_e32 v[11:12], 3, v[5:6]
	v_dual_mov_b32 v17, 0 :: v_dual_mov_b32 v18, 0
	v_mov_b32_e32 v19, 0
	s_mov_b32 s6, 0
	s_delay_alu instid0(VALU_DEP_3)
	v_add_co_u32 v11, vcc_lo, s8, v11
	s_wait_alu 0xfffd
	v_add_co_ci_u32_e64 v12, null, s9, v12, vcc_lo
.LBB119_24:                             ; =>This Inner Loop Header: Depth=1
	global_load_b64 v[13:14], v[11:12], off
	s_wait_loadcnt 0x0
	v_sub_co_u32 v13, vcc_lo, v13, v1
	s_wait_alu 0xfffd
	v_sub_co_ci_u32_e64 v14, null, v14, v2, vcc_lo
	v_add_co_u32 v5, vcc_lo, v5, 64
	s_delay_alu instid0(VALU_DEP_3) | instskip(SKIP_2) | instid1(VALU_DEP_1)
	v_mad_co_u64_u32 v[20:21], null, v13, 6, s[4:5]
	s_wait_alu 0xfffd
	v_add_co_ci_u32_e64 v6, null, 0, v6, vcc_lo
	v_cmp_ge_i64_e64 s2, v[5:6], v[9:10]
	s_delay_alu instid0(VALU_DEP_3) | instskip(SKIP_2) | instid1(VALU_DEP_1)
	v_mov_b32_e32 v13, v21
	s_wait_alu 0xfffe
	s_or_b32 s6, s2, s6
	v_mad_co_u64_u32 v[13:14], null, v14, 6, v[13:14]
	s_delay_alu instid0(VALU_DEP_1)
	v_mov_b32_e32 v21, v13
	global_load_b128 v[13:16], v[7:8], off
	global_load_b32 v22, v[20:21], off
	global_load_u16 v23, v[7:8], off offset:16
	global_load_u16 v20, v[20:21], off offset:4
	v_add_co_u32 v7, vcc_lo, 0x480, v7
	s_wait_alu 0xfffd
	v_add_co_ci_u32_e64 v8, null, 0, v8, vcc_lo
	v_add_co_u32 v11, vcc_lo, 0x200, v11
	s_wait_alu 0xfffd
	v_add_co_ci_u32_e64 v12, null, 0, v12, vcc_lo
	s_wait_loadcnt 0x3
	v_lshlrev_b32_e32 v24, 16, v14
	s_wait_loadcnt 0x2
	v_lshlrev_b32_e32 v27, 16, v22
	v_lshlrev_b32_e32 v21, 16, v13
	v_and_b32_e32 v14, 0xffff0000, v14
	v_lshlrev_b32_e32 v26, 16, v16
	s_delay_alu instid0(VALU_DEP_4)
	v_dual_fmac_f32 v17, v24, v27 :: v_dual_and_b32 v16, 0xffff0000, v16
	s_wait_loadcnt 0x0
	v_lshlrev_b32_e32 v20, 16, v20
	v_lshlrev_b32_e32 v25, 16, v15
	v_and_b32_e32 v22, 0xffff0000, v22
	v_and_b32_e32 v13, 0xffff0000, v13
	;; [unrolled: 1-line block ×3, first 2 shown]
	s_delay_alu instid0(VALU_DEP_2) | instskip(SKIP_2) | instid1(VALU_DEP_2)
	v_fmac_f32_e32 v18, v13, v27
	v_fmac_f32_e32 v19, v21, v27
	v_lshlrev_b32_e32 v13, 16, v23
	v_fmac_f32_e32 v19, v14, v22
	s_delay_alu instid0(VALU_DEP_1) | instskip(NEXT) | instid1(VALU_DEP_1)
	v_dual_fmac_f32 v19, v26, v20 :: v_dual_fmac_f32 v18, v25, v22
	v_dual_fmac_f32 v17, v15, v22 :: v_dual_fmac_f32 v18, v16, v20
	s_delay_alu instid0(VALU_DEP_1)
	v_fmac_f32_e32 v17, v13, v20
	s_wait_alu 0xfffe
	s_and_not1_b32 exec_lo, exec_lo, s6
	s_cbranch_execnz .LBB119_24
; %bb.25:
	s_or_b32 exec_lo, exec_lo, s6
.LBB119_26:
	s_wait_alu 0xfffe
	s_or_b32 exec_lo, exec_lo, s3
.LBB119_27:
	v_mbcnt_lo_u32_b32 v1, -1, 0
	s_mov_b32 s2, -1
	s_delay_alu instid0(VALU_DEP_1) | instskip(SKIP_2) | instid1(VALU_DEP_3)
	v_or_b32_e32 v2, 32, v1
	v_xor_b32_e32 v7, 16, v1
	v_xor_b32_e32 v10, 8, v1
	v_cmp_gt_i32_e32 vcc_lo, 32, v2
	s_wait_alu 0xfffd
	v_cndmask_b32_e32 v2, v1, v2, vcc_lo
	v_cmp_gt_i32_e32 vcc_lo, 32, v7
	s_wait_alu 0xfffd
	v_cndmask_b32_e32 v7, v1, v7, vcc_lo
	v_cmp_gt_i32_e32 vcc_lo, 32, v10
	s_delay_alu instid0(VALU_DEP_2)
	v_lshlrev_b32_e32 v7, 2, v7
	v_lshlrev_b32_e32 v2, 2, v2
	s_wait_alu 0xfffd
	v_cndmask_b32_e32 v10, v1, v10, vcc_lo
	ds_bpermute_b32 v5, v2, v19
	s_wait_dscnt 0x0
	v_add_f32_e32 v5, v19, v5
	ds_bpermute_b32 v6, v2, v18
	ds_bpermute_b32 v2, v2, v17
	ds_bpermute_b32 v8, v7, v5
	v_lshlrev_b32_e32 v10, 2, v10
	s_wait_dscnt 0x2
	v_add_f32_e32 v6, v18, v6
	s_wait_dscnt 0x1
	v_add_f32_e32 v2, v17, v2
	;; [unrolled: 2-line block ×3, first 2 shown]
	ds_bpermute_b32 v9, v7, v6
	ds_bpermute_b32 v7, v7, v2
	s_wait_dscnt 0x0
	v_add_f32_e32 v2, v2, v7
	ds_bpermute_b32 v7, v10, v5
	v_add_f32_e32 v6, v6, v9
	ds_bpermute_b32 v9, v10, v2
	s_wait_dscnt 0x1
	v_add_f32_e32 v5, v5, v7
	ds_bpermute_b32 v8, v10, v6
	v_xor_b32_e32 v10, 4, v1
	s_wait_dscnt 0x1
	v_add_f32_e32 v2, v2, v9
	s_delay_alu instid0(VALU_DEP_2) | instskip(SKIP_2) | instid1(VALU_DEP_1)
	v_cmp_gt_i32_e32 vcc_lo, 32, v10
	s_wait_alu 0xfffd
	v_cndmask_b32_e32 v10, v1, v10, vcc_lo
	v_lshlrev_b32_e32 v10, 2, v10
	ds_bpermute_b32 v7, v10, v5
	s_wait_dscnt 0x0
	v_dual_add_f32 v5, v5, v7 :: v_dual_add_f32 v6, v6, v8
	ds_bpermute_b32 v9, v10, v2
	ds_bpermute_b32 v8, v10, v6
	v_xor_b32_e32 v10, 2, v1
	s_delay_alu instid0(VALU_DEP_1) | instskip(SKIP_3) | instid1(VALU_DEP_1)
	v_cmp_gt_i32_e32 vcc_lo, 32, v10
	s_wait_alu 0xfffd
	v_cndmask_b32_e32 v10, v1, v10, vcc_lo
	s_wait_dscnt 0x1
	v_dual_add_f32 v7, v2, v9 :: v_dual_lshlrev_b32 v10, 2, v10
	s_wait_dscnt 0x0
	v_add_f32_e32 v6, v6, v8
	ds_bpermute_b32 v2, v10, v5
	ds_bpermute_b32 v9, v10, v7
	;; [unrolled: 1-line block ×3, first 2 shown]
	v_xor_b32_e32 v10, 1, v1
	s_delay_alu instid0(VALU_DEP_1) | instskip(SKIP_4) | instid1(VALU_DEP_2)
	v_cmp_gt_i32_e32 vcc_lo, 32, v10
	s_wait_alu 0xfffd
	v_cndmask_b32_e32 v1, v1, v10, vcc_lo
	v_cmp_eq_u32_e32 vcc_lo, 63, v0
	s_wait_dscnt 0x2
	v_dual_add_f32 v1, v5, v2 :: v_dual_lshlrev_b32 v10, 2, v1
	s_wait_dscnt 0x0
	v_dual_add_f32 v5, v7, v9 :: v_dual_add_f32 v2, v6, v8
	ds_bpermute_b32 v6, v10, v1
	ds_bpermute_b32 v8, v10, v5
	;; [unrolled: 1-line block ×3, first 2 shown]
	s_and_b32 exec_lo, exec_lo, vcc_lo
	s_cbranch_execz .LBB119_10
; %bb.28:
	s_load_b64 s[0:1], s[0:1], 0x58
	s_wait_dscnt 0x0
	v_dual_add_f32 v0, v1, v6 :: v_dual_add_f32 v1, v2, v7
	v_add_f32_e32 v2, v5, v8
	s_cmp_eq_f32 s16, 0
	s_delay_alu instid0(VALU_DEP_2) | instskip(NEXT) | instid1(VALU_DEP_2)
	v_dual_mul_f32 v0, s12, v0 :: v_dual_mul_f32 v1, s12, v1
	v_mul_f32_e32 v2, s12, v2
	s_cbranch_scc0 .LBB119_30
; %bb.29:
	s_wait_kmcnt 0x0
	v_mad_co_u64_u32 v[5:6], null, v3, 12, s[0:1]
	s_mov_b32 s2, 0
	v_mad_co_u64_u32 v[6:7], null, v4, 12, v[6:7]
	global_store_b96 v[5:6], v[0:2], off
.LBB119_30:
	s_wait_alu 0xfffe
	s_and_not1_b32 vcc_lo, exec_lo, s2
	s_wait_alu 0xfffe
	s_cbranch_vccnz .LBB119_10
; %bb.31:
	s_wait_kmcnt 0x0
	v_mad_co_u64_u32 v[6:7], null, v3, 12, s[0:1]
	s_delay_alu instid0(VALU_DEP_1) | instskip(NEXT) | instid1(VALU_DEP_1)
	v_mov_b32_e32 v3, v7
	v_mad_co_u64_u32 v[3:4], null, v4, 12, v[3:4]
	s_delay_alu instid0(VALU_DEP_1)
	v_mov_b32_e32 v7, v3
	global_load_b96 v[3:5], v[6:7], off
	s_wait_loadcnt 0x0
	v_dual_fmac_f32 v0, s16, v3 :: v_dual_fmac_f32 v1, s16, v4
	v_fmac_f32_e32 v2, s16, v5
	global_store_b96 v[6:7], v[0:2], off
	s_endpgm
	.section	.rodata,"a",@progbits
	.p2align	6, 0x0
	.amdhsa_kernel _ZN9rocsparseL18bsrxmvn_3x3_kernelILj256ELj64Efll18rocsparse_bfloat16S1_fEEvT3_20rocsparse_direction_NS_24const_host_device_scalarIT1_EES2_PKS2_PKT2_SB_S8_PKT4_PKT5_S6_PT6_21rocsparse_index_base_b
		.amdhsa_group_segment_fixed_size 0
		.amdhsa_private_segment_fixed_size 0
		.amdhsa_kernarg_size 104
		.amdhsa_user_sgpr_count 2
		.amdhsa_user_sgpr_dispatch_ptr 0
		.amdhsa_user_sgpr_queue_ptr 0
		.amdhsa_user_sgpr_kernarg_segment_ptr 1
		.amdhsa_user_sgpr_dispatch_id 0
		.amdhsa_user_sgpr_private_segment_size 0
		.amdhsa_wavefront_size32 1
		.amdhsa_uses_dynamic_stack 0
		.amdhsa_enable_private_segment 0
		.amdhsa_system_sgpr_workgroup_id_x 1
		.amdhsa_system_sgpr_workgroup_id_y 0
		.amdhsa_system_sgpr_workgroup_id_z 0
		.amdhsa_system_sgpr_workgroup_info 0
		.amdhsa_system_vgpr_workitem_id 0
		.amdhsa_next_free_vgpr 32
		.amdhsa_next_free_sgpr 18
		.amdhsa_reserve_vcc 1
		.amdhsa_float_round_mode_32 0
		.amdhsa_float_round_mode_16_64 0
		.amdhsa_float_denorm_mode_32 3
		.amdhsa_float_denorm_mode_16_64 3
		.amdhsa_fp16_overflow 0
		.amdhsa_workgroup_processor_mode 1
		.amdhsa_memory_ordered 1
		.amdhsa_forward_progress 1
		.amdhsa_inst_pref_size 17
		.amdhsa_round_robin_scheduling 0
		.amdhsa_exception_fp_ieee_invalid_op 0
		.amdhsa_exception_fp_denorm_src 0
		.amdhsa_exception_fp_ieee_div_zero 0
		.amdhsa_exception_fp_ieee_overflow 0
		.amdhsa_exception_fp_ieee_underflow 0
		.amdhsa_exception_fp_ieee_inexact 0
		.amdhsa_exception_int_div_zero 0
	.end_amdhsa_kernel
	.section	.text._ZN9rocsparseL18bsrxmvn_3x3_kernelILj256ELj64Efll18rocsparse_bfloat16S1_fEEvT3_20rocsparse_direction_NS_24const_host_device_scalarIT1_EES2_PKS2_PKT2_SB_S8_PKT4_PKT5_S6_PT6_21rocsparse_index_base_b,"axG",@progbits,_ZN9rocsparseL18bsrxmvn_3x3_kernelILj256ELj64Efll18rocsparse_bfloat16S1_fEEvT3_20rocsparse_direction_NS_24const_host_device_scalarIT1_EES2_PKS2_PKT2_SB_S8_PKT4_PKT5_S6_PT6_21rocsparse_index_base_b,comdat
.Lfunc_end119:
	.size	_ZN9rocsparseL18bsrxmvn_3x3_kernelILj256ELj64Efll18rocsparse_bfloat16S1_fEEvT3_20rocsparse_direction_NS_24const_host_device_scalarIT1_EES2_PKS2_PKT2_SB_S8_PKT4_PKT5_S6_PT6_21rocsparse_index_base_b, .Lfunc_end119-_ZN9rocsparseL18bsrxmvn_3x3_kernelILj256ELj64Efll18rocsparse_bfloat16S1_fEEvT3_20rocsparse_direction_NS_24const_host_device_scalarIT1_EES2_PKS2_PKT2_SB_S8_PKT4_PKT5_S6_PT6_21rocsparse_index_base_b
                                        ; -- End function
	.set _ZN9rocsparseL18bsrxmvn_3x3_kernelILj256ELj64Efll18rocsparse_bfloat16S1_fEEvT3_20rocsparse_direction_NS_24const_host_device_scalarIT1_EES2_PKS2_PKT2_SB_S8_PKT4_PKT5_S6_PT6_21rocsparse_index_base_b.num_vgpr, 32
	.set _ZN9rocsparseL18bsrxmvn_3x3_kernelILj256ELj64Efll18rocsparse_bfloat16S1_fEEvT3_20rocsparse_direction_NS_24const_host_device_scalarIT1_EES2_PKS2_PKT2_SB_S8_PKT4_PKT5_S6_PT6_21rocsparse_index_base_b.num_agpr, 0
	.set _ZN9rocsparseL18bsrxmvn_3x3_kernelILj256ELj64Efll18rocsparse_bfloat16S1_fEEvT3_20rocsparse_direction_NS_24const_host_device_scalarIT1_EES2_PKS2_PKT2_SB_S8_PKT4_PKT5_S6_PT6_21rocsparse_index_base_b.numbered_sgpr, 18
	.set _ZN9rocsparseL18bsrxmvn_3x3_kernelILj256ELj64Efll18rocsparse_bfloat16S1_fEEvT3_20rocsparse_direction_NS_24const_host_device_scalarIT1_EES2_PKS2_PKT2_SB_S8_PKT4_PKT5_S6_PT6_21rocsparse_index_base_b.num_named_barrier, 0
	.set _ZN9rocsparseL18bsrxmvn_3x3_kernelILj256ELj64Efll18rocsparse_bfloat16S1_fEEvT3_20rocsparse_direction_NS_24const_host_device_scalarIT1_EES2_PKS2_PKT2_SB_S8_PKT4_PKT5_S6_PT6_21rocsparse_index_base_b.private_seg_size, 0
	.set _ZN9rocsparseL18bsrxmvn_3x3_kernelILj256ELj64Efll18rocsparse_bfloat16S1_fEEvT3_20rocsparse_direction_NS_24const_host_device_scalarIT1_EES2_PKS2_PKT2_SB_S8_PKT4_PKT5_S6_PT6_21rocsparse_index_base_b.uses_vcc, 1
	.set _ZN9rocsparseL18bsrxmvn_3x3_kernelILj256ELj64Efll18rocsparse_bfloat16S1_fEEvT3_20rocsparse_direction_NS_24const_host_device_scalarIT1_EES2_PKS2_PKT2_SB_S8_PKT4_PKT5_S6_PT6_21rocsparse_index_base_b.uses_flat_scratch, 0
	.set _ZN9rocsparseL18bsrxmvn_3x3_kernelILj256ELj64Efll18rocsparse_bfloat16S1_fEEvT3_20rocsparse_direction_NS_24const_host_device_scalarIT1_EES2_PKS2_PKT2_SB_S8_PKT4_PKT5_S6_PT6_21rocsparse_index_base_b.has_dyn_sized_stack, 0
	.set _ZN9rocsparseL18bsrxmvn_3x3_kernelILj256ELj64Efll18rocsparse_bfloat16S1_fEEvT3_20rocsparse_direction_NS_24const_host_device_scalarIT1_EES2_PKS2_PKT2_SB_S8_PKT4_PKT5_S6_PT6_21rocsparse_index_base_b.has_recursion, 0
	.set _ZN9rocsparseL18bsrxmvn_3x3_kernelILj256ELj64Efll18rocsparse_bfloat16S1_fEEvT3_20rocsparse_direction_NS_24const_host_device_scalarIT1_EES2_PKS2_PKT2_SB_S8_PKT4_PKT5_S6_PT6_21rocsparse_index_base_b.has_indirect_call, 0
	.section	.AMDGPU.csdata,"",@progbits
; Kernel info:
; codeLenInByte = 2084
; TotalNumSgprs: 20
; NumVgprs: 32
; ScratchSize: 0
; MemoryBound: 0
; FloatMode: 240
; IeeeMode: 1
; LDSByteSize: 0 bytes/workgroup (compile time only)
; SGPRBlocks: 0
; VGPRBlocks: 3
; NumSGPRsForWavesPerEU: 20
; NumVGPRsForWavesPerEU: 32
; Occupancy: 16
; WaveLimiterHint : 1
; COMPUTE_PGM_RSRC2:SCRATCH_EN: 0
; COMPUTE_PGM_RSRC2:USER_SGPR: 2
; COMPUTE_PGM_RSRC2:TRAP_HANDLER: 0
; COMPUTE_PGM_RSRC2:TGID_X_EN: 1
; COMPUTE_PGM_RSRC2:TGID_Y_EN: 0
; COMPUTE_PGM_RSRC2:TGID_Z_EN: 0
; COMPUTE_PGM_RSRC2:TIDIG_COMP_CNT: 0
	.section	.text._ZN9rocsparseL18bsrxmvn_3x3_kernelILj256ELj4E21rocsparse_complex_numIfEiifS2_S2_EEvT3_20rocsparse_direction_NS_24const_host_device_scalarIT1_EES3_PKS3_PKT2_SC_S9_PKT4_PKT5_S7_PT6_21rocsparse_index_base_b,"axG",@progbits,_ZN9rocsparseL18bsrxmvn_3x3_kernelILj256ELj4E21rocsparse_complex_numIfEiifS2_S2_EEvT3_20rocsparse_direction_NS_24const_host_device_scalarIT1_EES3_PKS3_PKT2_SC_S9_PKT4_PKT5_S7_PT6_21rocsparse_index_base_b,comdat
	.globl	_ZN9rocsparseL18bsrxmvn_3x3_kernelILj256ELj4E21rocsparse_complex_numIfEiifS2_S2_EEvT3_20rocsparse_direction_NS_24const_host_device_scalarIT1_EES3_PKS3_PKT2_SC_S9_PKT4_PKT5_S7_PT6_21rocsparse_index_base_b ; -- Begin function _ZN9rocsparseL18bsrxmvn_3x3_kernelILj256ELj4E21rocsparse_complex_numIfEiifS2_S2_EEvT3_20rocsparse_direction_NS_24const_host_device_scalarIT1_EES3_PKS3_PKT2_SC_S9_PKT4_PKT5_S7_PT6_21rocsparse_index_base_b
	.p2align	8
	.type	_ZN9rocsparseL18bsrxmvn_3x3_kernelILj256ELj4E21rocsparse_complex_numIfEiifS2_S2_EEvT3_20rocsparse_direction_NS_24const_host_device_scalarIT1_EES3_PKS3_PKT2_SC_S9_PKT4_PKT5_S7_PT6_21rocsparse_index_base_b,@function
_ZN9rocsparseL18bsrxmvn_3x3_kernelILj256ELj4E21rocsparse_complex_numIfEiifS2_S2_EEvT3_20rocsparse_direction_NS_24const_host_device_scalarIT1_EES3_PKS3_PKT2_SC_S9_PKT4_PKT5_S7_PT6_21rocsparse_index_base_b: ; @_ZN9rocsparseL18bsrxmvn_3x3_kernelILj256ELj4E21rocsparse_complex_numIfEiifS2_S2_EEvT3_20rocsparse_direction_NS_24const_host_device_scalarIT1_EES3_PKS3_PKT2_SC_S9_PKT4_PKT5_S7_PT6_21rocsparse_index_base_b
; %bb.0:
	s_clause 0x2
	s_load_b64 s[12:13], s[0:1], 0x58
	s_load_b64 s[2:3], s[0:1], 0x8
	;; [unrolled: 1-line block ×3, first 2 shown]
	s_add_nc_u64 s[6:7], s[0:1], 8
	s_wait_kmcnt 0x0
	s_bitcmp1_b32 s13, 0
	s_cselect_b32 s2, s6, s2
	s_cselect_b32 s3, s7, s3
	s_delay_alu instid0(SALU_CYCLE_1)
	v_dual_mov_b32 v1, s2 :: v_dual_mov_b32 v2, s3
	s_add_nc_u64 s[2:3], s[0:1], 0x48
	s_wait_alu 0xfffe
	s_cselect_b32 s2, s2, s4
	s_cselect_b32 s3, s3, s5
	flat_load_b64 v[6:7], v[1:2]
	s_wait_alu 0xfffe
	v_dual_mov_b32 v1, s2 :: v_dual_mov_b32 v2, s3
	flat_load_b64 v[4:5], v[1:2]
	s_wait_loadcnt_dscnt 0x101
	v_cmp_eq_f32_e32 vcc_lo, 0, v6
	v_cmp_eq_f32_e64 s2, 0, v7
	s_and_b32 s4, vcc_lo, s2
	s_mov_b32 s2, -1
	s_and_saveexec_b32 s3, s4
	s_cbranch_execz .LBB120_2
; %bb.1:
	s_wait_loadcnt_dscnt 0x0
	v_cmp_neq_f32_e32 vcc_lo, 1.0, v4
	v_cmp_neq_f32_e64 s2, 0, v5
	s_wait_alu 0xfffe
	s_or_b32 s2, vcc_lo, s2
	s_wait_alu 0xfffe
	s_or_not1_b32 s2, s2, exec_lo
.LBB120_2:
	s_wait_alu 0xfffe
	s_or_b32 exec_lo, exec_lo, s3
	s_and_saveexec_b32 s3, s2
	s_cbranch_execz .LBB120_8
; %bb.3:
	s_clause 0x1
	s_load_b64 s[4:5], s[0:1], 0x18
	s_load_b64 s[2:3], s[0:1], 0x0
	v_lshrrev_b32_e32 v1, 2, v0
	s_delay_alu instid0(VALU_DEP_1)
	v_lshl_or_b32 v2, ttmp9, 6, v1
	s_wait_kmcnt 0x0
	s_cmp_lg_u64 s[4:5], 0
	s_cbranch_scc0 .LBB120_9
; %bb.4:
	s_load_b32 s6, s[0:1], 0x10
	s_mov_b32 s7, 0
                                        ; implicit-def: $vgpr1
	s_wait_kmcnt 0x0
	v_cmp_gt_i32_e32 vcc_lo, s6, v2
	s_mov_b32 s6, 0
	s_and_saveexec_b32 s8, vcc_lo
	s_delay_alu instid0(SALU_CYCLE_1)
	s_xor_b32 s8, exec_lo, s8
	s_cbranch_execz .LBB120_6
; %bb.5:
	v_ashrrev_i32_e32 v3, 31, v2
	s_mov_b32 s6, exec_lo
	s_delay_alu instid0(VALU_DEP_1) | instskip(NEXT) | instid1(VALU_DEP_1)
	v_lshlrev_b64_e32 v[8:9], 2, v[2:3]
	v_add_co_u32 v8, vcc_lo, s4, v8
	s_delay_alu instid0(VALU_DEP_1)
	v_add_co_ci_u32_e64 v9, null, s5, v9, vcc_lo
	global_load_b32 v1, v[8:9], off
	s_wait_loadcnt 0x0
	v_subrev_nc_u32_e32 v1, s12, v1
.LBB120_6:
	s_or_b32 exec_lo, exec_lo, s8
	s_delay_alu instid0(SALU_CYCLE_1)
	s_and_b32 vcc_lo, exec_lo, s7
	s_wait_alu 0xfffe
	s_cbranch_vccz .LBB120_10
.LBB120_7:
	v_cmp_gt_i32_e32 vcc_lo, s2, v2
	s_and_not1_b32 s2, s6, exec_lo
	s_and_b32 s4, vcc_lo, exec_lo
	s_wait_alu 0xfffe
	s_or_b32 s6, s2, s4
	s_wait_alu 0xfffe
	s_and_b32 exec_lo, exec_lo, s6
	s_cbranch_execnz .LBB120_11
.LBB120_8:
	s_endpgm
.LBB120_9:
	s_mov_b32 s6, 0
                                        ; implicit-def: $vgpr1
	s_cbranch_execnz .LBB120_7
.LBB120_10:
	v_mov_b32_e32 v2, v1
	s_and_b32 exec_lo, exec_lo, s6
	s_cbranch_execz .LBB120_8
.LBB120_11:
	s_load_b256 s[4:11], s[0:1], 0x20
	s_delay_alu instid0(VALU_DEP_1) | instskip(NEXT) | instid1(VALU_DEP_1)
	v_ashrrev_i32_e32 v3, 31, v2
	v_lshlrev_b64_e32 v[8:9], 2, v[2:3]
	s_wait_kmcnt 0x0
	s_delay_alu instid0(VALU_DEP_1) | instskip(SKIP_1) | instid1(VALU_DEP_2)
	v_add_co_u32 v10, vcc_lo, s4, v8
	s_wait_alu 0xfffd
	v_add_co_ci_u32_e64 v11, null, s5, v9, vcc_lo
	v_add_co_u32 v1, vcc_lo, s6, v8
	s_wait_alu 0xfffd
	v_add_co_ci_u32_e64 v3, null, s7, v9, vcc_lo
	;; [unrolled: 3-line block ×3, first 2 shown]
	s_cmp_eq_u64 s[6:7], 0
	global_load_b32 v10, v[10:11], off
	s_cselect_b32 vcc_lo, -1, 0
	s_load_b64 s[4:5], s[0:1], 0x40
	v_dual_cndmask_b32 v9, v3, v9 :: v_dual_cndmask_b32 v8, v1, v8
	v_and_b32_e32 v3, 3, v0
	s_cmp_eq_u32 s3, 1
	global_load_b32 v1, v[8:9], off
	s_wait_loadcnt 0x1
	v_subrev_nc_u32_e32 v0, s12, v10
	s_delay_alu instid0(VALU_DEP_1) | instskip(SKIP_2) | instid1(VALU_DEP_2)
	v_add_nc_u32_e32 v0, v0, v3
	s_wait_loadcnt 0x0
	v_subrev_nc_u32_e32 v20, s12, v1
	v_mad_co_i64_i32 v[8:9], null, v0, 36, s[10:11]
	s_delay_alu instid0(VALU_DEP_2)
	v_cmp_lt_i32_e64 s2, v0, v20
	s_cbranch_scc1 .LBB120_17
; %bb.12:
	v_dual_mov_b32 v14, 0 :: v_dual_mov_b32 v15, 0
	v_dual_mov_b32 v16, 0 :: v_dual_mov_b32 v17, 0
	;; [unrolled: 1-line block ×3, first 2 shown]
	s_and_saveexec_b32 s3, s2
	s_cbranch_execz .LBB120_16
; %bb.13:
	v_dual_mov_b32 v14, 0 :: v_dual_mov_b32 v13, v9
	v_dual_mov_b32 v10, v0 :: v_dual_mov_b32 v15, 0
	;; [unrolled: 1-line block ×4, first 2 shown]
	v_mov_b32_e32 v18, 0
	s_mov_b32 s6, 0
.LBB120_14:                             ; =>This Inner Loop Header: Depth=1
	v_ashrrev_i32_e32 v11, 31, v10
	s_delay_alu instid0(VALU_DEP_1) | instskip(NEXT) | instid1(VALU_DEP_1)
	v_lshlrev_b64_e32 v[21:22], 2, v[10:11]
	v_add_co_u32 v21, vcc_lo, s8, v21
	s_wait_alu 0xfffd
	s_delay_alu instid0(VALU_DEP_2)
	v_add_co_ci_u32_e64 v22, null, s9, v22, vcc_lo
	global_load_b32 v1, v[21:22], off
	s_clause 0x1
	global_load_b128 v[21:24], v[12:13], off offset:16
	global_load_b128 v[25:28], v[12:13], off
	s_wait_loadcnt 0x2
	v_subrev_nc_u32_e32 v1, s12, v1
	s_delay_alu instid0(VALU_DEP_1) | instskip(NEXT) | instid1(VALU_DEP_1)
	v_lshl_add_u32 v29, v1, 1, v1
	v_ashrrev_i32_e32 v30, 31, v29
	s_delay_alu instid0(VALU_DEP_1) | instskip(SKIP_1) | instid1(VALU_DEP_1)
	v_lshlrev_b64_e32 v[29:30], 3, v[29:30]
	s_wait_kmcnt 0x0
	v_add_co_u32 v33, vcc_lo, s4, v29
	s_wait_alu 0xfffd
	s_delay_alu instid0(VALU_DEP_2)
	v_add_co_ci_u32_e64 v34, null, s5, v30, vcc_lo
	s_clause 0x1
	global_load_b128 v[29:32], v[33:34], off
	global_load_b64 v[33:34], v[33:34], off offset:16
	global_load_b32 v1, v[12:13], off offset:32
	v_add_nc_u32_e32 v10, 4, v10
	v_add_co_u32 v12, vcc_lo, 0x90, v12
	s_wait_alu 0xfffd
	v_add_co_ci_u32_e64 v13, null, 0, v13, vcc_lo
	s_wait_loadcnt 0x2
	v_fmac_f32_e32 v15, v25, v29
	v_fmac_f32_e32 v14, 0, v29
	v_cmp_ge_i32_e32 vcc_lo, v10, v20
	s_delay_alu instid0(VALU_DEP_3) | instskip(NEXT) | instid1(VALU_DEP_3)
	v_fmac_f32_e32 v15, 0x80000000, v30
	v_dual_fmac_f32 v17, v28, v29 :: v_dual_fmac_f32 v14, v25, v30
	v_fmac_f32_e32 v16, 0, v29
	s_wait_alu 0xfffe
	s_or_b32 s6, vcc_lo, s6
	v_fmac_f32_e32 v15, v26, v31
	v_fmac_f32_e32 v17, 0x80000000, v30
	v_dual_fmac_f32 v19, v23, v29 :: v_dual_fmac_f32 v16, v28, v30
	v_fmac_f32_e32 v18, 0, v29
	s_delay_alu instid0(VALU_DEP_4) | instskip(NEXT) | instid1(VALU_DEP_3)
	v_dual_fmac_f32 v14, 0, v31 :: v_dual_fmac_f32 v15, 0x80000000, v32
	v_fmac_f32_e32 v19, 0x80000000, v30
	s_delay_alu instid0(VALU_DEP_3) | instskip(NEXT) | instid1(VALU_DEP_3)
	v_dual_fmac_f32 v17, v21, v31 :: v_dual_fmac_f32 v18, v23, v30
	v_fmac_f32_e32 v14, v26, v32
	s_wait_loadcnt 0x1
	v_dual_fmac_f32 v16, 0, v31 :: v_dual_fmac_f32 v15, v27, v33
	s_delay_alu instid0(VALU_DEP_3) | instskip(NEXT) | instid1(VALU_DEP_3)
	v_fmac_f32_e32 v17, 0x80000000, v32
	v_dual_fmac_f32 v19, v24, v31 :: v_dual_fmac_f32 v14, 0, v33
	s_delay_alu instid0(VALU_DEP_3) | instskip(NEXT) | instid1(VALU_DEP_4)
	v_fmac_f32_e32 v16, v21, v32
	v_dual_fmac_f32 v18, 0, v31 :: v_dual_fmac_f32 v15, 0x80000000, v34
	s_delay_alu instid0(VALU_DEP_3) | instskip(NEXT) | instid1(VALU_DEP_4)
	v_fmac_f32_e32 v19, 0x80000000, v32
	v_dual_fmac_f32 v17, v22, v33 :: v_dual_fmac_f32 v14, v27, v34
	s_delay_alu instid0(VALU_DEP_3) | instskip(NEXT) | instid1(VALU_DEP_2)
	v_fmac_f32_e32 v18, v24, v32
	v_dual_fmac_f32 v16, 0, v33 :: v_dual_fmac_f32 v17, 0x80000000, v34
	s_wait_loadcnt 0x0
	s_delay_alu instid0(VALU_DEP_1) | instskip(NEXT) | instid1(VALU_DEP_1)
	v_dual_fmac_f32 v19, v1, v33 :: v_dual_fmac_f32 v16, v22, v34
	v_dual_fmac_f32 v18, 0, v33 :: v_dual_fmac_f32 v19, 0x80000000, v34
	s_delay_alu instid0(VALU_DEP_1)
	v_fmac_f32_e32 v18, v1, v34
	s_wait_alu 0xfffe
	s_and_not1_b32 exec_lo, exec_lo, s6
	s_cbranch_execnz .LBB120_14
; %bb.15:
	s_or_b32 exec_lo, exec_lo, s6
.LBB120_16:
	s_wait_alu 0xfffe
	s_or_b32 exec_lo, exec_lo, s3
	s_cbranch_execz .LBB120_18
	s_branch .LBB120_23
.LBB120_17:
                                        ; implicit-def: $vgpr14
                                        ; implicit-def: $vgpr15
                                        ; implicit-def: $vgpr16
                                        ; implicit-def: $vgpr17
                                        ; implicit-def: $vgpr18
                                        ; implicit-def: $vgpr19
.LBB120_18:
	v_dual_mov_b32 v14, 0 :: v_dual_mov_b32 v15, 0
	v_dual_mov_b32 v16, 0 :: v_dual_mov_b32 v17, 0
	;; [unrolled: 1-line block ×3, first 2 shown]
	s_and_saveexec_b32 s3, s2
	s_cbranch_execz .LBB120_22
; %bb.19:
	v_dual_mov_b32 v14, 0 :: v_dual_mov_b32 v15, 0
	v_dual_mov_b32 v16, 0 :: v_dual_mov_b32 v17, 0
	;; [unrolled: 1-line block ×3, first 2 shown]
	s_mov_b32 s2, 0
.LBB120_20:                             ; =>This Inner Loop Header: Depth=1
	v_ashrrev_i32_e32 v1, 31, v0
	s_delay_alu instid0(VALU_DEP_1) | instskip(NEXT) | instid1(VALU_DEP_1)
	v_lshlrev_b64_e32 v[10:11], 2, v[0:1]
	v_add_co_u32 v10, vcc_lo, s8, v10
	s_wait_alu 0xfffd
	s_delay_alu instid0(VALU_DEP_2)
	v_add_co_ci_u32_e64 v11, null, s9, v11, vcc_lo
	global_load_b32 v1, v[10:11], off
	s_clause 0x1
	global_load_b128 v[10:13], v[8:9], off offset:16
	global_load_b128 v[21:24], v[8:9], off
	s_wait_loadcnt 0x2
	v_subrev_nc_u32_e32 v1, s12, v1
	s_delay_alu instid0(VALU_DEP_1) | instskip(NEXT) | instid1(VALU_DEP_1)
	v_lshl_add_u32 v25, v1, 1, v1
	v_ashrrev_i32_e32 v26, 31, v25
	s_delay_alu instid0(VALU_DEP_1) | instskip(SKIP_1) | instid1(VALU_DEP_1)
	v_lshlrev_b64_e32 v[25:26], 3, v[25:26]
	s_wait_kmcnt 0x0
	v_add_co_u32 v29, vcc_lo, s4, v25
	s_wait_alu 0xfffd
	s_delay_alu instid0(VALU_DEP_2)
	v_add_co_ci_u32_e64 v30, null, s5, v26, vcc_lo
	s_clause 0x1
	global_load_b128 v[25:28], v[29:30], off
	global_load_b64 v[29:30], v[29:30], off offset:16
	global_load_b32 v1, v[8:9], off offset:32
	v_add_nc_u32_e32 v0, 4, v0
	v_add_co_u32 v8, vcc_lo, 0x90, v8
	s_wait_alu 0xfffd
	v_add_co_ci_u32_e64 v9, null, 0, v9, vcc_lo
	s_wait_loadcnt 0x2
	v_fmac_f32_e32 v15, v21, v25
	v_fmac_f32_e32 v14, 0, v25
	v_cmp_ge_i32_e32 vcc_lo, v0, v20
	s_delay_alu instid0(VALU_DEP_3) | instskip(NEXT) | instid1(VALU_DEP_3)
	v_fmac_f32_e32 v15, 0x80000000, v26
	v_dual_fmac_f32 v17, v22, v25 :: v_dual_fmac_f32 v14, v21, v26
	v_fmac_f32_e32 v16, 0, v25
	s_wait_alu 0xfffe
	s_or_b32 s2, vcc_lo, s2
	v_fmac_f32_e32 v15, v24, v27
	v_fmac_f32_e32 v17, 0x80000000, v26
	v_dual_fmac_f32 v19, v23, v25 :: v_dual_fmac_f32 v16, v22, v26
	v_fmac_f32_e32 v18, 0, v25
	s_delay_alu instid0(VALU_DEP_4) | instskip(NEXT) | instid1(VALU_DEP_3)
	v_dual_fmac_f32 v14, 0, v27 :: v_dual_fmac_f32 v15, 0x80000000, v28
	v_fmac_f32_e32 v19, 0x80000000, v26
	s_delay_alu instid0(VALU_DEP_3) | instskip(NEXT) | instid1(VALU_DEP_3)
	v_dual_fmac_f32 v17, v10, v27 :: v_dual_fmac_f32 v18, v23, v26
	v_fmac_f32_e32 v14, v24, v28
	s_wait_loadcnt 0x1
	v_dual_fmac_f32 v16, 0, v27 :: v_dual_fmac_f32 v15, v12, v29
	s_delay_alu instid0(VALU_DEP_3) | instskip(NEXT) | instid1(VALU_DEP_3)
	v_fmac_f32_e32 v17, 0x80000000, v28
	v_dual_fmac_f32 v19, v11, v27 :: v_dual_fmac_f32 v14, 0, v29
	s_delay_alu instid0(VALU_DEP_3) | instskip(NEXT) | instid1(VALU_DEP_4)
	v_fmac_f32_e32 v16, v10, v28
	v_dual_fmac_f32 v18, 0, v27 :: v_dual_fmac_f32 v15, 0x80000000, v30
	s_delay_alu instid0(VALU_DEP_3) | instskip(NEXT) | instid1(VALU_DEP_4)
	v_fmac_f32_e32 v19, 0x80000000, v28
	v_dual_fmac_f32 v17, v13, v29 :: v_dual_fmac_f32 v14, v12, v30
	s_delay_alu instid0(VALU_DEP_3) | instskip(SKIP_3) | instid1(VALU_DEP_3)
	v_fmac_f32_e32 v18, v11, v28
	v_fmac_f32_e32 v16, 0, v29
	s_wait_loadcnt 0x0
	v_fmac_f32_e32 v19, v1, v29
	v_dual_fmac_f32 v17, 0x80000000, v30 :: v_dual_fmac_f32 v18, 0, v29
	s_delay_alu instid0(VALU_DEP_3) | instskip(NEXT) | instid1(VALU_DEP_3)
	v_fmac_f32_e32 v16, v13, v30
	v_fmac_f32_e32 v19, 0x80000000, v30
	s_delay_alu instid0(VALU_DEP_3)
	v_fmac_f32_e32 v18, v1, v30
	s_wait_alu 0xfffe
	s_and_not1_b32 exec_lo, exec_lo, s2
	s_cbranch_execnz .LBB120_20
; %bb.21:
	s_or_b32 exec_lo, exec_lo, s2
.LBB120_22:
	s_wait_alu 0xfffe
	s_or_b32 exec_lo, exec_lo, s3
.LBB120_23:
	v_mbcnt_lo_u32_b32 v0, -1, 0
	s_delay_alu instid0(VALU_DEP_1) | instskip(NEXT) | instid1(VALU_DEP_1)
	v_xor_b32_e32 v1, 2, v0
	v_cmp_gt_i32_e32 vcc_lo, 32, v1
	s_wait_alu 0xfffd
	v_cndmask_b32_e32 v1, v0, v1, vcc_lo
	s_delay_alu instid0(VALU_DEP_1)
	v_lshlrev_b32_e32 v1, 2, v1
	ds_bpermute_b32 v8, v1, v15
	ds_bpermute_b32 v9, v1, v14
	;; [unrolled: 1-line block ×6, first 2 shown]
	v_xor_b32_e32 v1, 1, v0
	s_delay_alu instid0(VALU_DEP_1) | instskip(SKIP_3) | instid1(VALU_DEP_2)
	v_cmp_gt_i32_e32 vcc_lo, 32, v1
	s_wait_alu 0xfffd
	v_cndmask_b32_e32 v0, v0, v1, vcc_lo
	v_cmp_eq_u32_e32 vcc_lo, 3, v3
	v_lshlrev_b32_e32 v20, 2, v0
	s_wait_dscnt 0x4
	v_dual_add_f32 v0, v15, v8 :: v_dual_add_f32 v1, v14, v9
	s_wait_dscnt 0x2
	v_dual_add_f32 v8, v17, v10 :: v_dual_add_f32 v9, v16, v11
	;; [unrolled: 2-line block ×3, first 2 shown]
	ds_bpermute_b32 v12, v20, v0
	ds_bpermute_b32 v13, v20, v1
	;; [unrolled: 1-line block ×6, first 2 shown]
	s_and_b32 exec_lo, exec_lo, vcc_lo
	s_cbranch_execz .LBB120_8
; %bb.24:
	s_wait_dscnt 0x4
	v_dual_add_f32 v12, v0, v12 :: v_dual_add_f32 v1, v1, v13
	s_load_b64 s[2:3], s[0:1], 0x50
	s_wait_dscnt 0x1
	v_dual_add_f32 v13, v8, v14 :: v_dual_add_f32 v14, v10, v16
	v_lshl_add_u32 v10, v2, 1, v2
	v_mul_f32_e64 v0, v1, -v7
	v_add_f32_e32 v3, v9, v15
	s_wait_dscnt 0x0
	v_add_f32_e32 v9, v11, v17
	v_mul_f32_e32 v1, v6, v1
	v_cmp_eq_f32_e32 vcc_lo, 0, v4
	v_fmac_f32_e32 v0, v6, v12
	v_mul_f32_e64 v2, v3, -v7
	v_mul_f32_e64 v8, v9, -v7
	v_mul_f32_e32 v3, v6, v3
	v_cmp_eq_f32_e64 s0, 0, v5
	s_delay_alu instid0(VALU_DEP_4) | instskip(NEXT) | instid1(VALU_DEP_4)
	v_dual_fmac_f32 v1, v7, v12 :: v_dual_fmac_f32 v2, v6, v13
	v_fmac_f32_e32 v8, v6, v14
	v_mul_f32_e32 v9, v6, v9
	v_ashrrev_i32_e32 v11, 31, v10
	v_fmac_f32_e32 v3, v7, v13
	s_and_b32 s0, vcc_lo, s0
	s_delay_alu instid0(VALU_DEP_3)
	v_fmac_f32_e32 v9, v7, v14
	s_wait_alu 0xfffe
	s_and_saveexec_b32 s1, s0
	s_wait_alu 0xfffe
	s_xor_b32 s0, exec_lo, s1
	s_cbranch_execz .LBB120_26
; %bb.25:
	v_lshlrev_b64_e32 v[4:5], 3, v[10:11]
                                        ; implicit-def: $vgpr10
	s_wait_kmcnt 0x0
	s_delay_alu instid0(VALU_DEP_1) | instskip(SKIP_1) | instid1(VALU_DEP_2)
	v_add_co_u32 v4, vcc_lo, s2, v4
	s_wait_alu 0xfffd
	v_add_co_ci_u32_e64 v5, null, s3, v5, vcc_lo
	s_clause 0x1
	global_store_b128 v[4:5], v[0:3], off
	global_store_b64 v[4:5], v[8:9], off offset:16
                                        ; implicit-def: $vgpr4_vgpr5
                                        ; implicit-def: $vgpr0
                                        ; implicit-def: $vgpr8
.LBB120_26:
	s_wait_alu 0xfffe
	s_and_not1_saveexec_b32 s0, s0
	s_cbranch_execz .LBB120_8
; %bb.27:
	v_lshlrev_b64_e32 v[6:7], 3, v[10:11]
	s_wait_kmcnt 0x0
	s_delay_alu instid0(VALU_DEP_1) | instskip(SKIP_1) | instid1(VALU_DEP_2)
	v_add_co_u32 v6, vcc_lo, s2, v6
	s_wait_alu 0xfffd
	v_add_co_ci_u32_e64 v7, null, s3, v7, vcc_lo
	s_clause 0x1
	global_load_b128 v[10:13], v[6:7], off
	global_load_b64 v[14:15], v[6:7], off offset:16
	s_wait_loadcnt 0x1
	v_dual_fmac_f32 v0, v4, v10 :: v_dual_fmac_f32 v3, v5, v12
	v_dual_fmac_f32 v1, v5, v10 :: v_dual_fmac_f32 v2, v4, v12
	s_wait_loadcnt 0x0
	v_fmac_f32_e32 v8, v4, v14
	v_fmac_f32_e32 v9, v5, v14
	v_fma_f32 v0, -v5, v11, v0
	v_fmac_f32_e32 v1, v4, v11
	v_fma_f32 v2, -v5, v13, v2
	v_fmac_f32_e32 v3, v4, v13
	v_fma_f32 v8, -v5, v15, v8
	v_fmac_f32_e32 v9, v4, v15
	s_clause 0x1
	global_store_b128 v[6:7], v[0:3], off
	global_store_b64 v[6:7], v[8:9], off offset:16
	s_endpgm
	.section	.rodata,"a",@progbits
	.p2align	6, 0x0
	.amdhsa_kernel _ZN9rocsparseL18bsrxmvn_3x3_kernelILj256ELj4E21rocsparse_complex_numIfEiifS2_S2_EEvT3_20rocsparse_direction_NS_24const_host_device_scalarIT1_EES3_PKS3_PKT2_SC_S9_PKT4_PKT5_S7_PT6_21rocsparse_index_base_b
		.amdhsa_group_segment_fixed_size 0
		.amdhsa_private_segment_fixed_size 0
		.amdhsa_kernarg_size 96
		.amdhsa_user_sgpr_count 2
		.amdhsa_user_sgpr_dispatch_ptr 0
		.amdhsa_user_sgpr_queue_ptr 0
		.amdhsa_user_sgpr_kernarg_segment_ptr 1
		.amdhsa_user_sgpr_dispatch_id 0
		.amdhsa_user_sgpr_private_segment_size 0
		.amdhsa_wavefront_size32 1
		.amdhsa_uses_dynamic_stack 0
		.amdhsa_enable_private_segment 0
		.amdhsa_system_sgpr_workgroup_id_x 1
		.amdhsa_system_sgpr_workgroup_id_y 0
		.amdhsa_system_sgpr_workgroup_id_z 0
		.amdhsa_system_sgpr_workgroup_info 0
		.amdhsa_system_vgpr_workitem_id 0
		.amdhsa_next_free_vgpr 35
		.amdhsa_next_free_sgpr 14
		.amdhsa_reserve_vcc 1
		.amdhsa_float_round_mode_32 0
		.amdhsa_float_round_mode_16_64 0
		.amdhsa_float_denorm_mode_32 3
		.amdhsa_float_denorm_mode_16_64 3
		.amdhsa_fp16_overflow 0
		.amdhsa_workgroup_processor_mode 1
		.amdhsa_memory_ordered 1
		.amdhsa_forward_progress 1
		.amdhsa_inst_pref_size 18
		.amdhsa_round_robin_scheduling 0
		.amdhsa_exception_fp_ieee_invalid_op 0
		.amdhsa_exception_fp_denorm_src 0
		.amdhsa_exception_fp_ieee_div_zero 0
		.amdhsa_exception_fp_ieee_overflow 0
		.amdhsa_exception_fp_ieee_underflow 0
		.amdhsa_exception_fp_ieee_inexact 0
		.amdhsa_exception_int_div_zero 0
	.end_amdhsa_kernel
	.section	.text._ZN9rocsparseL18bsrxmvn_3x3_kernelILj256ELj4E21rocsparse_complex_numIfEiifS2_S2_EEvT3_20rocsparse_direction_NS_24const_host_device_scalarIT1_EES3_PKS3_PKT2_SC_S9_PKT4_PKT5_S7_PT6_21rocsparse_index_base_b,"axG",@progbits,_ZN9rocsparseL18bsrxmvn_3x3_kernelILj256ELj4E21rocsparse_complex_numIfEiifS2_S2_EEvT3_20rocsparse_direction_NS_24const_host_device_scalarIT1_EES3_PKS3_PKT2_SC_S9_PKT4_PKT5_S7_PT6_21rocsparse_index_base_b,comdat
.Lfunc_end120:
	.size	_ZN9rocsparseL18bsrxmvn_3x3_kernelILj256ELj4E21rocsparse_complex_numIfEiifS2_S2_EEvT3_20rocsparse_direction_NS_24const_host_device_scalarIT1_EES3_PKS3_PKT2_SC_S9_PKT4_PKT5_S7_PT6_21rocsparse_index_base_b, .Lfunc_end120-_ZN9rocsparseL18bsrxmvn_3x3_kernelILj256ELj4E21rocsparse_complex_numIfEiifS2_S2_EEvT3_20rocsparse_direction_NS_24const_host_device_scalarIT1_EES3_PKS3_PKT2_SC_S9_PKT4_PKT5_S7_PT6_21rocsparse_index_base_b
                                        ; -- End function
	.set _ZN9rocsparseL18bsrxmvn_3x3_kernelILj256ELj4E21rocsparse_complex_numIfEiifS2_S2_EEvT3_20rocsparse_direction_NS_24const_host_device_scalarIT1_EES3_PKS3_PKT2_SC_S9_PKT4_PKT5_S7_PT6_21rocsparse_index_base_b.num_vgpr, 35
	.set _ZN9rocsparseL18bsrxmvn_3x3_kernelILj256ELj4E21rocsparse_complex_numIfEiifS2_S2_EEvT3_20rocsparse_direction_NS_24const_host_device_scalarIT1_EES3_PKS3_PKT2_SC_S9_PKT4_PKT5_S7_PT6_21rocsparse_index_base_b.num_agpr, 0
	.set _ZN9rocsparseL18bsrxmvn_3x3_kernelILj256ELj4E21rocsparse_complex_numIfEiifS2_S2_EEvT3_20rocsparse_direction_NS_24const_host_device_scalarIT1_EES3_PKS3_PKT2_SC_S9_PKT4_PKT5_S7_PT6_21rocsparse_index_base_b.numbered_sgpr, 14
	.set _ZN9rocsparseL18bsrxmvn_3x3_kernelILj256ELj4E21rocsparse_complex_numIfEiifS2_S2_EEvT3_20rocsparse_direction_NS_24const_host_device_scalarIT1_EES3_PKS3_PKT2_SC_S9_PKT4_PKT5_S7_PT6_21rocsparse_index_base_b.num_named_barrier, 0
	.set _ZN9rocsparseL18bsrxmvn_3x3_kernelILj256ELj4E21rocsparse_complex_numIfEiifS2_S2_EEvT3_20rocsparse_direction_NS_24const_host_device_scalarIT1_EES3_PKS3_PKT2_SC_S9_PKT4_PKT5_S7_PT6_21rocsparse_index_base_b.private_seg_size, 0
	.set _ZN9rocsparseL18bsrxmvn_3x3_kernelILj256ELj4E21rocsparse_complex_numIfEiifS2_S2_EEvT3_20rocsparse_direction_NS_24const_host_device_scalarIT1_EES3_PKS3_PKT2_SC_S9_PKT4_PKT5_S7_PT6_21rocsparse_index_base_b.uses_vcc, 1
	.set _ZN9rocsparseL18bsrxmvn_3x3_kernelILj256ELj4E21rocsparse_complex_numIfEiifS2_S2_EEvT3_20rocsparse_direction_NS_24const_host_device_scalarIT1_EES3_PKS3_PKT2_SC_S9_PKT4_PKT5_S7_PT6_21rocsparse_index_base_b.uses_flat_scratch, 0
	.set _ZN9rocsparseL18bsrxmvn_3x3_kernelILj256ELj4E21rocsparse_complex_numIfEiifS2_S2_EEvT3_20rocsparse_direction_NS_24const_host_device_scalarIT1_EES3_PKS3_PKT2_SC_S9_PKT4_PKT5_S7_PT6_21rocsparse_index_base_b.has_dyn_sized_stack, 0
	.set _ZN9rocsparseL18bsrxmvn_3x3_kernelILj256ELj4E21rocsparse_complex_numIfEiifS2_S2_EEvT3_20rocsparse_direction_NS_24const_host_device_scalarIT1_EES3_PKS3_PKT2_SC_S9_PKT4_PKT5_S7_PT6_21rocsparse_index_base_b.has_recursion, 0
	.set _ZN9rocsparseL18bsrxmvn_3x3_kernelILj256ELj4E21rocsparse_complex_numIfEiifS2_S2_EEvT3_20rocsparse_direction_NS_24const_host_device_scalarIT1_EES3_PKS3_PKT2_SC_S9_PKT4_PKT5_S7_PT6_21rocsparse_index_base_b.has_indirect_call, 0
	.section	.AMDGPU.csdata,"",@progbits
; Kernel info:
; codeLenInByte = 2280
; TotalNumSgprs: 16
; NumVgprs: 35
; ScratchSize: 0
; MemoryBound: 0
; FloatMode: 240
; IeeeMode: 1
; LDSByteSize: 0 bytes/workgroup (compile time only)
; SGPRBlocks: 0
; VGPRBlocks: 4
; NumSGPRsForWavesPerEU: 16
; NumVGPRsForWavesPerEU: 35
; Occupancy: 16
; WaveLimiterHint : 1
; COMPUTE_PGM_RSRC2:SCRATCH_EN: 0
; COMPUTE_PGM_RSRC2:USER_SGPR: 2
; COMPUTE_PGM_RSRC2:TRAP_HANDLER: 0
; COMPUTE_PGM_RSRC2:TGID_X_EN: 1
; COMPUTE_PGM_RSRC2:TGID_Y_EN: 0
; COMPUTE_PGM_RSRC2:TGID_Z_EN: 0
; COMPUTE_PGM_RSRC2:TIDIG_COMP_CNT: 0
	.section	.text._ZN9rocsparseL18bsrxmvn_3x3_kernelILj256ELj8E21rocsparse_complex_numIfEiifS2_S2_EEvT3_20rocsparse_direction_NS_24const_host_device_scalarIT1_EES3_PKS3_PKT2_SC_S9_PKT4_PKT5_S7_PT6_21rocsparse_index_base_b,"axG",@progbits,_ZN9rocsparseL18bsrxmvn_3x3_kernelILj256ELj8E21rocsparse_complex_numIfEiifS2_S2_EEvT3_20rocsparse_direction_NS_24const_host_device_scalarIT1_EES3_PKS3_PKT2_SC_S9_PKT4_PKT5_S7_PT6_21rocsparse_index_base_b,comdat
	.globl	_ZN9rocsparseL18bsrxmvn_3x3_kernelILj256ELj8E21rocsparse_complex_numIfEiifS2_S2_EEvT3_20rocsparse_direction_NS_24const_host_device_scalarIT1_EES3_PKS3_PKT2_SC_S9_PKT4_PKT5_S7_PT6_21rocsparse_index_base_b ; -- Begin function _ZN9rocsparseL18bsrxmvn_3x3_kernelILj256ELj8E21rocsparse_complex_numIfEiifS2_S2_EEvT3_20rocsparse_direction_NS_24const_host_device_scalarIT1_EES3_PKS3_PKT2_SC_S9_PKT4_PKT5_S7_PT6_21rocsparse_index_base_b
	.p2align	8
	.type	_ZN9rocsparseL18bsrxmvn_3x3_kernelILj256ELj8E21rocsparse_complex_numIfEiifS2_S2_EEvT3_20rocsparse_direction_NS_24const_host_device_scalarIT1_EES3_PKS3_PKT2_SC_S9_PKT4_PKT5_S7_PT6_21rocsparse_index_base_b,@function
_ZN9rocsparseL18bsrxmvn_3x3_kernelILj256ELj8E21rocsparse_complex_numIfEiifS2_S2_EEvT3_20rocsparse_direction_NS_24const_host_device_scalarIT1_EES3_PKS3_PKT2_SC_S9_PKT4_PKT5_S7_PT6_21rocsparse_index_base_b: ; @_ZN9rocsparseL18bsrxmvn_3x3_kernelILj256ELj8E21rocsparse_complex_numIfEiifS2_S2_EEvT3_20rocsparse_direction_NS_24const_host_device_scalarIT1_EES3_PKS3_PKT2_SC_S9_PKT4_PKT5_S7_PT6_21rocsparse_index_base_b
; %bb.0:
	s_clause 0x2
	s_load_b64 s[12:13], s[0:1], 0x58
	s_load_b64 s[2:3], s[0:1], 0x8
	;; [unrolled: 1-line block ×3, first 2 shown]
	s_add_nc_u64 s[6:7], s[0:1], 8
	s_wait_kmcnt 0x0
	s_bitcmp1_b32 s13, 0
	s_cselect_b32 s2, s6, s2
	s_cselect_b32 s3, s7, s3
	s_delay_alu instid0(SALU_CYCLE_1)
	v_dual_mov_b32 v1, s2 :: v_dual_mov_b32 v2, s3
	s_add_nc_u64 s[2:3], s[0:1], 0x48
	s_wait_alu 0xfffe
	s_cselect_b32 s2, s2, s4
	s_cselect_b32 s3, s3, s5
	flat_load_b64 v[6:7], v[1:2]
	s_wait_alu 0xfffe
	v_dual_mov_b32 v1, s2 :: v_dual_mov_b32 v2, s3
	flat_load_b64 v[4:5], v[1:2]
	s_wait_loadcnt_dscnt 0x101
	v_cmp_eq_f32_e32 vcc_lo, 0, v6
	v_cmp_eq_f32_e64 s2, 0, v7
	s_and_b32 s4, vcc_lo, s2
	s_mov_b32 s2, -1
	s_and_saveexec_b32 s3, s4
	s_cbranch_execz .LBB121_2
; %bb.1:
	s_wait_loadcnt_dscnt 0x0
	v_cmp_neq_f32_e32 vcc_lo, 1.0, v4
	v_cmp_neq_f32_e64 s2, 0, v5
	s_wait_alu 0xfffe
	s_or_b32 s2, vcc_lo, s2
	s_wait_alu 0xfffe
	s_or_not1_b32 s2, s2, exec_lo
.LBB121_2:
	s_wait_alu 0xfffe
	s_or_b32 exec_lo, exec_lo, s3
	s_and_saveexec_b32 s3, s2
	s_cbranch_execz .LBB121_8
; %bb.3:
	s_clause 0x1
	s_load_b64 s[4:5], s[0:1], 0x18
	s_load_b64 s[2:3], s[0:1], 0x0
	v_lshrrev_b32_e32 v1, 3, v0
	s_delay_alu instid0(VALU_DEP_1)
	v_lshl_or_b32 v2, ttmp9, 5, v1
	s_wait_kmcnt 0x0
	s_cmp_lg_u64 s[4:5], 0
	s_cbranch_scc0 .LBB121_9
; %bb.4:
	s_load_b32 s6, s[0:1], 0x10
	s_mov_b32 s7, 0
                                        ; implicit-def: $vgpr1
	s_wait_kmcnt 0x0
	v_cmp_gt_i32_e32 vcc_lo, s6, v2
	s_mov_b32 s6, 0
	s_and_saveexec_b32 s8, vcc_lo
	s_delay_alu instid0(SALU_CYCLE_1)
	s_xor_b32 s8, exec_lo, s8
	s_cbranch_execz .LBB121_6
; %bb.5:
	v_ashrrev_i32_e32 v3, 31, v2
	s_mov_b32 s6, exec_lo
	s_delay_alu instid0(VALU_DEP_1) | instskip(NEXT) | instid1(VALU_DEP_1)
	v_lshlrev_b64_e32 v[8:9], 2, v[2:3]
	v_add_co_u32 v8, vcc_lo, s4, v8
	s_delay_alu instid0(VALU_DEP_1)
	v_add_co_ci_u32_e64 v9, null, s5, v9, vcc_lo
	global_load_b32 v1, v[8:9], off
	s_wait_loadcnt 0x0
	v_subrev_nc_u32_e32 v1, s12, v1
.LBB121_6:
	s_or_b32 exec_lo, exec_lo, s8
	s_delay_alu instid0(SALU_CYCLE_1)
	s_and_b32 vcc_lo, exec_lo, s7
	s_wait_alu 0xfffe
	s_cbranch_vccz .LBB121_10
.LBB121_7:
	v_cmp_gt_i32_e32 vcc_lo, s2, v2
	s_and_not1_b32 s2, s6, exec_lo
	s_and_b32 s4, vcc_lo, exec_lo
	s_wait_alu 0xfffe
	s_or_b32 s6, s2, s4
	s_wait_alu 0xfffe
	s_and_b32 exec_lo, exec_lo, s6
	s_cbranch_execnz .LBB121_11
.LBB121_8:
	s_endpgm
.LBB121_9:
	s_mov_b32 s6, 0
                                        ; implicit-def: $vgpr1
	s_cbranch_execnz .LBB121_7
.LBB121_10:
	v_mov_b32_e32 v2, v1
	s_and_b32 exec_lo, exec_lo, s6
	s_cbranch_execz .LBB121_8
.LBB121_11:
	s_load_b256 s[4:11], s[0:1], 0x20
	s_delay_alu instid0(VALU_DEP_1) | instskip(NEXT) | instid1(VALU_DEP_1)
	v_ashrrev_i32_e32 v3, 31, v2
	v_lshlrev_b64_e32 v[8:9], 2, v[2:3]
	s_wait_kmcnt 0x0
	s_delay_alu instid0(VALU_DEP_1) | instskip(SKIP_1) | instid1(VALU_DEP_2)
	v_add_co_u32 v10, vcc_lo, s4, v8
	s_wait_alu 0xfffd
	v_add_co_ci_u32_e64 v11, null, s5, v9, vcc_lo
	v_add_co_u32 v1, vcc_lo, s6, v8
	s_wait_alu 0xfffd
	v_add_co_ci_u32_e64 v3, null, s7, v9, vcc_lo
	;; [unrolled: 3-line block ×3, first 2 shown]
	s_cmp_eq_u64 s[6:7], 0
	global_load_b32 v10, v[10:11], off
	s_cselect_b32 vcc_lo, -1, 0
	s_load_b64 s[4:5], s[0:1], 0x40
	v_dual_cndmask_b32 v9, v3, v9 :: v_dual_cndmask_b32 v8, v1, v8
	v_and_b32_e32 v3, 7, v0
	s_cmp_eq_u32 s3, 1
	global_load_b32 v1, v[8:9], off
	s_wait_loadcnt 0x1
	v_subrev_nc_u32_e32 v0, s12, v10
	s_delay_alu instid0(VALU_DEP_1) | instskip(SKIP_2) | instid1(VALU_DEP_2)
	v_add_nc_u32_e32 v0, v0, v3
	s_wait_loadcnt 0x0
	v_subrev_nc_u32_e32 v20, s12, v1
	v_mad_co_i64_i32 v[8:9], null, v0, 36, s[10:11]
	s_delay_alu instid0(VALU_DEP_2)
	v_cmp_lt_i32_e64 s2, v0, v20
	s_cbranch_scc1 .LBB121_17
; %bb.12:
	v_dual_mov_b32 v14, 0 :: v_dual_mov_b32 v15, 0
	v_dual_mov_b32 v16, 0 :: v_dual_mov_b32 v17, 0
	;; [unrolled: 1-line block ×3, first 2 shown]
	s_and_saveexec_b32 s3, s2
	s_cbranch_execz .LBB121_16
; %bb.13:
	v_dual_mov_b32 v14, 0 :: v_dual_mov_b32 v13, v9
	v_dual_mov_b32 v10, v0 :: v_dual_mov_b32 v15, 0
	;; [unrolled: 1-line block ×4, first 2 shown]
	v_mov_b32_e32 v18, 0
	s_mov_b32 s6, 0
.LBB121_14:                             ; =>This Inner Loop Header: Depth=1
	v_ashrrev_i32_e32 v11, 31, v10
	s_delay_alu instid0(VALU_DEP_1) | instskip(NEXT) | instid1(VALU_DEP_1)
	v_lshlrev_b64_e32 v[21:22], 2, v[10:11]
	v_add_co_u32 v21, vcc_lo, s8, v21
	s_wait_alu 0xfffd
	s_delay_alu instid0(VALU_DEP_2)
	v_add_co_ci_u32_e64 v22, null, s9, v22, vcc_lo
	global_load_b32 v1, v[21:22], off
	s_clause 0x1
	global_load_b128 v[21:24], v[12:13], off offset:16
	global_load_b128 v[25:28], v[12:13], off
	s_wait_loadcnt 0x2
	v_subrev_nc_u32_e32 v1, s12, v1
	s_delay_alu instid0(VALU_DEP_1) | instskip(NEXT) | instid1(VALU_DEP_1)
	v_lshl_add_u32 v29, v1, 1, v1
	v_ashrrev_i32_e32 v30, 31, v29
	s_delay_alu instid0(VALU_DEP_1) | instskip(SKIP_1) | instid1(VALU_DEP_1)
	v_lshlrev_b64_e32 v[29:30], 3, v[29:30]
	s_wait_kmcnt 0x0
	v_add_co_u32 v33, vcc_lo, s4, v29
	s_wait_alu 0xfffd
	s_delay_alu instid0(VALU_DEP_2)
	v_add_co_ci_u32_e64 v34, null, s5, v30, vcc_lo
	s_clause 0x1
	global_load_b128 v[29:32], v[33:34], off
	global_load_b64 v[33:34], v[33:34], off offset:16
	global_load_b32 v1, v[12:13], off offset:32
	v_add_nc_u32_e32 v10, 8, v10
	v_add_co_u32 v12, vcc_lo, 0x120, v12
	s_wait_alu 0xfffd
	v_add_co_ci_u32_e64 v13, null, 0, v13, vcc_lo
	s_wait_loadcnt 0x2
	v_fmac_f32_e32 v15, v25, v29
	v_fmac_f32_e32 v14, 0, v29
	v_cmp_ge_i32_e32 vcc_lo, v10, v20
	s_delay_alu instid0(VALU_DEP_3) | instskip(NEXT) | instid1(VALU_DEP_3)
	v_fmac_f32_e32 v15, 0x80000000, v30
	v_dual_fmac_f32 v17, v28, v29 :: v_dual_fmac_f32 v14, v25, v30
	v_fmac_f32_e32 v16, 0, v29
	s_wait_alu 0xfffe
	s_or_b32 s6, vcc_lo, s6
	v_fmac_f32_e32 v15, v26, v31
	v_fmac_f32_e32 v17, 0x80000000, v30
	v_dual_fmac_f32 v19, v23, v29 :: v_dual_fmac_f32 v16, v28, v30
	v_fmac_f32_e32 v18, 0, v29
	s_delay_alu instid0(VALU_DEP_4) | instskip(NEXT) | instid1(VALU_DEP_3)
	v_dual_fmac_f32 v14, 0, v31 :: v_dual_fmac_f32 v15, 0x80000000, v32
	v_fmac_f32_e32 v19, 0x80000000, v30
	s_delay_alu instid0(VALU_DEP_3) | instskip(NEXT) | instid1(VALU_DEP_3)
	v_dual_fmac_f32 v17, v21, v31 :: v_dual_fmac_f32 v18, v23, v30
	v_fmac_f32_e32 v14, v26, v32
	s_wait_loadcnt 0x1
	v_dual_fmac_f32 v16, 0, v31 :: v_dual_fmac_f32 v15, v27, v33
	s_delay_alu instid0(VALU_DEP_3) | instskip(NEXT) | instid1(VALU_DEP_3)
	v_fmac_f32_e32 v17, 0x80000000, v32
	v_dual_fmac_f32 v19, v24, v31 :: v_dual_fmac_f32 v14, 0, v33
	s_delay_alu instid0(VALU_DEP_3) | instskip(NEXT) | instid1(VALU_DEP_4)
	v_fmac_f32_e32 v16, v21, v32
	v_dual_fmac_f32 v18, 0, v31 :: v_dual_fmac_f32 v15, 0x80000000, v34
	s_delay_alu instid0(VALU_DEP_3) | instskip(NEXT) | instid1(VALU_DEP_4)
	v_fmac_f32_e32 v19, 0x80000000, v32
	v_dual_fmac_f32 v17, v22, v33 :: v_dual_fmac_f32 v14, v27, v34
	s_delay_alu instid0(VALU_DEP_3) | instskip(NEXT) | instid1(VALU_DEP_2)
	v_fmac_f32_e32 v18, v24, v32
	v_dual_fmac_f32 v16, 0, v33 :: v_dual_fmac_f32 v17, 0x80000000, v34
	s_wait_loadcnt 0x0
	s_delay_alu instid0(VALU_DEP_1) | instskip(NEXT) | instid1(VALU_DEP_1)
	v_dual_fmac_f32 v19, v1, v33 :: v_dual_fmac_f32 v16, v22, v34
	v_dual_fmac_f32 v18, 0, v33 :: v_dual_fmac_f32 v19, 0x80000000, v34
	s_delay_alu instid0(VALU_DEP_1)
	v_fmac_f32_e32 v18, v1, v34
	s_wait_alu 0xfffe
	s_and_not1_b32 exec_lo, exec_lo, s6
	s_cbranch_execnz .LBB121_14
; %bb.15:
	s_or_b32 exec_lo, exec_lo, s6
.LBB121_16:
	s_wait_alu 0xfffe
	s_or_b32 exec_lo, exec_lo, s3
	s_cbranch_execz .LBB121_18
	s_branch .LBB121_23
.LBB121_17:
                                        ; implicit-def: $vgpr14
                                        ; implicit-def: $vgpr15
                                        ; implicit-def: $vgpr16
                                        ; implicit-def: $vgpr17
                                        ; implicit-def: $vgpr18
                                        ; implicit-def: $vgpr19
.LBB121_18:
	v_dual_mov_b32 v14, 0 :: v_dual_mov_b32 v15, 0
	v_dual_mov_b32 v16, 0 :: v_dual_mov_b32 v17, 0
	;; [unrolled: 1-line block ×3, first 2 shown]
	s_and_saveexec_b32 s3, s2
	s_cbranch_execz .LBB121_22
; %bb.19:
	v_dual_mov_b32 v14, 0 :: v_dual_mov_b32 v15, 0
	v_dual_mov_b32 v16, 0 :: v_dual_mov_b32 v17, 0
	;; [unrolled: 1-line block ×3, first 2 shown]
	s_mov_b32 s2, 0
.LBB121_20:                             ; =>This Inner Loop Header: Depth=1
	v_ashrrev_i32_e32 v1, 31, v0
	s_delay_alu instid0(VALU_DEP_1) | instskip(NEXT) | instid1(VALU_DEP_1)
	v_lshlrev_b64_e32 v[10:11], 2, v[0:1]
	v_add_co_u32 v10, vcc_lo, s8, v10
	s_wait_alu 0xfffd
	s_delay_alu instid0(VALU_DEP_2)
	v_add_co_ci_u32_e64 v11, null, s9, v11, vcc_lo
	global_load_b32 v1, v[10:11], off
	s_clause 0x1
	global_load_b128 v[10:13], v[8:9], off offset:16
	global_load_b128 v[21:24], v[8:9], off
	s_wait_loadcnt 0x2
	v_subrev_nc_u32_e32 v1, s12, v1
	s_delay_alu instid0(VALU_DEP_1) | instskip(NEXT) | instid1(VALU_DEP_1)
	v_lshl_add_u32 v25, v1, 1, v1
	v_ashrrev_i32_e32 v26, 31, v25
	s_delay_alu instid0(VALU_DEP_1) | instskip(SKIP_1) | instid1(VALU_DEP_1)
	v_lshlrev_b64_e32 v[25:26], 3, v[25:26]
	s_wait_kmcnt 0x0
	v_add_co_u32 v29, vcc_lo, s4, v25
	s_wait_alu 0xfffd
	s_delay_alu instid0(VALU_DEP_2)
	v_add_co_ci_u32_e64 v30, null, s5, v26, vcc_lo
	s_clause 0x1
	global_load_b128 v[25:28], v[29:30], off
	global_load_b64 v[29:30], v[29:30], off offset:16
	global_load_b32 v1, v[8:9], off offset:32
	v_add_nc_u32_e32 v0, 8, v0
	v_add_co_u32 v8, vcc_lo, 0x120, v8
	s_wait_alu 0xfffd
	v_add_co_ci_u32_e64 v9, null, 0, v9, vcc_lo
	s_wait_loadcnt 0x2
	v_fmac_f32_e32 v15, v21, v25
	v_fmac_f32_e32 v14, 0, v25
	v_cmp_ge_i32_e32 vcc_lo, v0, v20
	s_delay_alu instid0(VALU_DEP_3) | instskip(NEXT) | instid1(VALU_DEP_3)
	v_fmac_f32_e32 v15, 0x80000000, v26
	v_dual_fmac_f32 v17, v22, v25 :: v_dual_fmac_f32 v14, v21, v26
	v_fmac_f32_e32 v16, 0, v25
	s_wait_alu 0xfffe
	s_or_b32 s2, vcc_lo, s2
	v_fmac_f32_e32 v15, v24, v27
	v_fmac_f32_e32 v17, 0x80000000, v26
	v_dual_fmac_f32 v19, v23, v25 :: v_dual_fmac_f32 v16, v22, v26
	v_fmac_f32_e32 v18, 0, v25
	s_delay_alu instid0(VALU_DEP_4) | instskip(NEXT) | instid1(VALU_DEP_3)
	v_dual_fmac_f32 v14, 0, v27 :: v_dual_fmac_f32 v15, 0x80000000, v28
	v_fmac_f32_e32 v19, 0x80000000, v26
	s_delay_alu instid0(VALU_DEP_3) | instskip(NEXT) | instid1(VALU_DEP_3)
	v_dual_fmac_f32 v17, v10, v27 :: v_dual_fmac_f32 v18, v23, v26
	v_fmac_f32_e32 v14, v24, v28
	s_wait_loadcnt 0x1
	v_dual_fmac_f32 v16, 0, v27 :: v_dual_fmac_f32 v15, v12, v29
	s_delay_alu instid0(VALU_DEP_3) | instskip(NEXT) | instid1(VALU_DEP_3)
	v_fmac_f32_e32 v17, 0x80000000, v28
	v_dual_fmac_f32 v19, v11, v27 :: v_dual_fmac_f32 v14, 0, v29
	s_delay_alu instid0(VALU_DEP_3) | instskip(NEXT) | instid1(VALU_DEP_4)
	v_fmac_f32_e32 v16, v10, v28
	v_dual_fmac_f32 v18, 0, v27 :: v_dual_fmac_f32 v15, 0x80000000, v30
	s_delay_alu instid0(VALU_DEP_3) | instskip(NEXT) | instid1(VALU_DEP_4)
	v_fmac_f32_e32 v19, 0x80000000, v28
	v_dual_fmac_f32 v17, v13, v29 :: v_dual_fmac_f32 v14, v12, v30
	s_delay_alu instid0(VALU_DEP_3) | instskip(SKIP_3) | instid1(VALU_DEP_3)
	v_fmac_f32_e32 v18, v11, v28
	v_fmac_f32_e32 v16, 0, v29
	s_wait_loadcnt 0x0
	v_fmac_f32_e32 v19, v1, v29
	v_dual_fmac_f32 v17, 0x80000000, v30 :: v_dual_fmac_f32 v18, 0, v29
	s_delay_alu instid0(VALU_DEP_3) | instskip(NEXT) | instid1(VALU_DEP_3)
	v_fmac_f32_e32 v16, v13, v30
	v_fmac_f32_e32 v19, 0x80000000, v30
	s_delay_alu instid0(VALU_DEP_3)
	v_fmac_f32_e32 v18, v1, v30
	s_wait_alu 0xfffe
	s_and_not1_b32 exec_lo, exec_lo, s2
	s_cbranch_execnz .LBB121_20
; %bb.21:
	s_or_b32 exec_lo, exec_lo, s2
.LBB121_22:
	s_wait_alu 0xfffe
	s_or_b32 exec_lo, exec_lo, s3
.LBB121_23:
	v_mbcnt_lo_u32_b32 v0, -1, 0
	s_delay_alu instid0(VALU_DEP_1) | instskip(SKIP_1) | instid1(VALU_DEP_2)
	v_xor_b32_e32 v1, 4, v0
	v_xor_b32_e32 v13, 2, v0
	v_cmp_gt_i32_e32 vcc_lo, 32, v1
	s_wait_alu 0xfffd
	v_cndmask_b32_e32 v1, v0, v1, vcc_lo
	s_delay_alu instid0(VALU_DEP_3) | instskip(NEXT) | instid1(VALU_DEP_2)
	v_cmp_gt_i32_e32 vcc_lo, 32, v13
	v_lshlrev_b32_e32 v1, 2, v1
	ds_bpermute_b32 v10, v1, v17
	s_wait_dscnt 0x0
	v_add_f32_e32 v10, v17, v10
	ds_bpermute_b32 v12, v1, v19
	ds_bpermute_b32 v8, v1, v15
	;; [unrolled: 1-line block ×5, first 2 shown]
	s_wait_dscnt 0x4
	s_wait_alu 0xfffd
	v_dual_cndmask_b32 v13, v0, v13 :: v_dual_add_f32 v12, v19, v12
	v_xor_b32_e32 v19, 1, v0
	s_wait_dscnt 0x2
	v_dual_add_f32 v8, v15, v8 :: v_dual_add_f32 v9, v14, v9
	s_wait_dscnt 0x0
	v_dual_add_f32 v11, v16, v11 :: v_dual_add_f32 v14, v18, v1
	v_cmp_gt_i32_e32 vcc_lo, 32, v19
	s_wait_alu 0xfffd
	v_dual_cndmask_b32 v0, v0, v19 :: v_dual_lshlrev_b32 v13, 2, v13
	ds_bpermute_b32 v1, v13, v8
	ds_bpermute_b32 v16, v13, v10
	;; [unrolled: 1-line block ×4, first 2 shown]
	v_lshlrev_b32_e32 v19, 2, v0
	v_cmp_eq_u32_e32 vcc_lo, 7, v3
	s_wait_dscnt 0x3
	v_add_f32_e32 v0, v8, v1
	s_wait_dscnt 0x2
	v_add_f32_e32 v8, v10, v16
	;; [unrolled: 2-line block ×3, first 2 shown]
	ds_bpermute_b32 v15, v13, v9
	ds_bpermute_b32 v13, v13, v14
	ds_bpermute_b32 v12, v19, v0
	ds_bpermute_b32 v16, v19, v10
	s_wait_dscnt 0x3
	v_add_f32_e32 v1, v9, v15
	v_add_f32_e32 v9, v11, v17
	s_wait_dscnt 0x2
	v_add_f32_e32 v11, v14, v13
	ds_bpermute_b32 v14, v19, v8
	ds_bpermute_b32 v13, v19, v1
	;; [unrolled: 1-line block ×4, first 2 shown]
	s_and_b32 exec_lo, exec_lo, vcc_lo
	s_cbranch_execz .LBB121_8
; %bb.24:
	s_wait_dscnt 0x2
	v_dual_add_f32 v12, v0, v12 :: v_dual_add_f32 v1, v1, v13
	s_load_b64 s[2:3], s[0:1], 0x50
	v_dual_add_f32 v13, v8, v14 :: v_dual_add_f32 v14, v10, v16
	v_lshl_add_u32 v10, v2, 1, v2
	s_delay_alu instid0(VALU_DEP_3)
	v_mul_f32_e64 v0, v1, -v7
	s_wait_dscnt 0x1
	v_add_f32_e32 v3, v9, v15
	s_wait_dscnt 0x0
	v_add_f32_e32 v9, v11, v17
	v_mul_f32_e32 v1, v6, v1
	v_cmp_eq_f32_e32 vcc_lo, 0, v4
	v_fmac_f32_e32 v0, v6, v12
	v_mul_f32_e64 v2, v3, -v7
	v_mul_f32_e64 v8, v9, -v7
	v_mul_f32_e32 v3, v6, v3
	v_cmp_eq_f32_e64 s0, 0, v5
	s_delay_alu instid0(VALU_DEP_4) | instskip(NEXT) | instid1(VALU_DEP_4)
	v_dual_fmac_f32 v1, v7, v12 :: v_dual_fmac_f32 v2, v6, v13
	v_fmac_f32_e32 v8, v6, v14
	v_mul_f32_e32 v9, v6, v9
	v_ashrrev_i32_e32 v11, 31, v10
	v_fmac_f32_e32 v3, v7, v13
	s_and_b32 s0, vcc_lo, s0
	s_delay_alu instid0(VALU_DEP_3)
	v_fmac_f32_e32 v9, v7, v14
	s_wait_alu 0xfffe
	s_and_saveexec_b32 s1, s0
	s_wait_alu 0xfffe
	s_xor_b32 s0, exec_lo, s1
	s_cbranch_execz .LBB121_26
; %bb.25:
	v_lshlrev_b64_e32 v[4:5], 3, v[10:11]
                                        ; implicit-def: $vgpr10
	s_wait_kmcnt 0x0
	s_delay_alu instid0(VALU_DEP_1) | instskip(SKIP_1) | instid1(VALU_DEP_2)
	v_add_co_u32 v4, vcc_lo, s2, v4
	s_wait_alu 0xfffd
	v_add_co_ci_u32_e64 v5, null, s3, v5, vcc_lo
	s_clause 0x1
	global_store_b128 v[4:5], v[0:3], off
	global_store_b64 v[4:5], v[8:9], off offset:16
                                        ; implicit-def: $vgpr4_vgpr5
                                        ; implicit-def: $vgpr0
                                        ; implicit-def: $vgpr8
.LBB121_26:
	s_wait_alu 0xfffe
	s_and_not1_saveexec_b32 s0, s0
	s_cbranch_execz .LBB121_8
; %bb.27:
	v_lshlrev_b64_e32 v[6:7], 3, v[10:11]
	s_wait_kmcnt 0x0
	s_delay_alu instid0(VALU_DEP_1) | instskip(SKIP_1) | instid1(VALU_DEP_2)
	v_add_co_u32 v6, vcc_lo, s2, v6
	s_wait_alu 0xfffd
	v_add_co_ci_u32_e64 v7, null, s3, v7, vcc_lo
	s_clause 0x1
	global_load_b128 v[10:13], v[6:7], off
	global_load_b64 v[14:15], v[6:7], off offset:16
	s_wait_loadcnt 0x1
	v_dual_fmac_f32 v0, v4, v10 :: v_dual_fmac_f32 v3, v5, v12
	v_dual_fmac_f32 v1, v5, v10 :: v_dual_fmac_f32 v2, v4, v12
	s_wait_loadcnt 0x0
	v_fmac_f32_e32 v8, v4, v14
	v_fmac_f32_e32 v9, v5, v14
	v_fma_f32 v0, -v5, v11, v0
	v_fmac_f32_e32 v1, v4, v11
	v_fma_f32 v2, -v5, v13, v2
	;; [unrolled: 2-line block ×3, first 2 shown]
	v_fmac_f32_e32 v9, v4, v15
	s_clause 0x1
	global_store_b128 v[6:7], v[0:3], off
	global_store_b64 v[6:7], v[8:9], off offset:16
	s_endpgm
	.section	.rodata,"a",@progbits
	.p2align	6, 0x0
	.amdhsa_kernel _ZN9rocsparseL18bsrxmvn_3x3_kernelILj256ELj8E21rocsparse_complex_numIfEiifS2_S2_EEvT3_20rocsparse_direction_NS_24const_host_device_scalarIT1_EES3_PKS3_PKT2_SC_S9_PKT4_PKT5_S7_PT6_21rocsparse_index_base_b
		.amdhsa_group_segment_fixed_size 0
		.amdhsa_private_segment_fixed_size 0
		.amdhsa_kernarg_size 96
		.amdhsa_user_sgpr_count 2
		.amdhsa_user_sgpr_dispatch_ptr 0
		.amdhsa_user_sgpr_queue_ptr 0
		.amdhsa_user_sgpr_kernarg_segment_ptr 1
		.amdhsa_user_sgpr_dispatch_id 0
		.amdhsa_user_sgpr_private_segment_size 0
		.amdhsa_wavefront_size32 1
		.amdhsa_uses_dynamic_stack 0
		.amdhsa_enable_private_segment 0
		.amdhsa_system_sgpr_workgroup_id_x 1
		.amdhsa_system_sgpr_workgroup_id_y 0
		.amdhsa_system_sgpr_workgroup_id_z 0
		.amdhsa_system_sgpr_workgroup_info 0
		.amdhsa_system_vgpr_workitem_id 0
		.amdhsa_next_free_vgpr 35
		.amdhsa_next_free_sgpr 14
		.amdhsa_reserve_vcc 1
		.amdhsa_float_round_mode_32 0
		.amdhsa_float_round_mode_16_64 0
		.amdhsa_float_denorm_mode_32 3
		.amdhsa_float_denorm_mode_16_64 3
		.amdhsa_fp16_overflow 0
		.amdhsa_workgroup_processor_mode 1
		.amdhsa_memory_ordered 1
		.amdhsa_forward_progress 1
		.amdhsa_inst_pref_size 19
		.amdhsa_round_robin_scheduling 0
		.amdhsa_exception_fp_ieee_invalid_op 0
		.amdhsa_exception_fp_denorm_src 0
		.amdhsa_exception_fp_ieee_div_zero 0
		.amdhsa_exception_fp_ieee_overflow 0
		.amdhsa_exception_fp_ieee_underflow 0
		.amdhsa_exception_fp_ieee_inexact 0
		.amdhsa_exception_int_div_zero 0
	.end_amdhsa_kernel
	.section	.text._ZN9rocsparseL18bsrxmvn_3x3_kernelILj256ELj8E21rocsparse_complex_numIfEiifS2_S2_EEvT3_20rocsparse_direction_NS_24const_host_device_scalarIT1_EES3_PKS3_PKT2_SC_S9_PKT4_PKT5_S7_PT6_21rocsparse_index_base_b,"axG",@progbits,_ZN9rocsparseL18bsrxmvn_3x3_kernelILj256ELj8E21rocsparse_complex_numIfEiifS2_S2_EEvT3_20rocsparse_direction_NS_24const_host_device_scalarIT1_EES3_PKS3_PKT2_SC_S9_PKT4_PKT5_S7_PT6_21rocsparse_index_base_b,comdat
.Lfunc_end121:
	.size	_ZN9rocsparseL18bsrxmvn_3x3_kernelILj256ELj8E21rocsparse_complex_numIfEiifS2_S2_EEvT3_20rocsparse_direction_NS_24const_host_device_scalarIT1_EES3_PKS3_PKT2_SC_S9_PKT4_PKT5_S7_PT6_21rocsparse_index_base_b, .Lfunc_end121-_ZN9rocsparseL18bsrxmvn_3x3_kernelILj256ELj8E21rocsparse_complex_numIfEiifS2_S2_EEvT3_20rocsparse_direction_NS_24const_host_device_scalarIT1_EES3_PKS3_PKT2_SC_S9_PKT4_PKT5_S7_PT6_21rocsparse_index_base_b
                                        ; -- End function
	.set _ZN9rocsparseL18bsrxmvn_3x3_kernelILj256ELj8E21rocsparse_complex_numIfEiifS2_S2_EEvT3_20rocsparse_direction_NS_24const_host_device_scalarIT1_EES3_PKS3_PKT2_SC_S9_PKT4_PKT5_S7_PT6_21rocsparse_index_base_b.num_vgpr, 35
	.set _ZN9rocsparseL18bsrxmvn_3x3_kernelILj256ELj8E21rocsparse_complex_numIfEiifS2_S2_EEvT3_20rocsparse_direction_NS_24const_host_device_scalarIT1_EES3_PKS3_PKT2_SC_S9_PKT4_PKT5_S7_PT6_21rocsparse_index_base_b.num_agpr, 0
	.set _ZN9rocsparseL18bsrxmvn_3x3_kernelILj256ELj8E21rocsparse_complex_numIfEiifS2_S2_EEvT3_20rocsparse_direction_NS_24const_host_device_scalarIT1_EES3_PKS3_PKT2_SC_S9_PKT4_PKT5_S7_PT6_21rocsparse_index_base_b.numbered_sgpr, 14
	.set _ZN9rocsparseL18bsrxmvn_3x3_kernelILj256ELj8E21rocsparse_complex_numIfEiifS2_S2_EEvT3_20rocsparse_direction_NS_24const_host_device_scalarIT1_EES3_PKS3_PKT2_SC_S9_PKT4_PKT5_S7_PT6_21rocsparse_index_base_b.num_named_barrier, 0
	.set _ZN9rocsparseL18bsrxmvn_3x3_kernelILj256ELj8E21rocsparse_complex_numIfEiifS2_S2_EEvT3_20rocsparse_direction_NS_24const_host_device_scalarIT1_EES3_PKS3_PKT2_SC_S9_PKT4_PKT5_S7_PT6_21rocsparse_index_base_b.private_seg_size, 0
	.set _ZN9rocsparseL18bsrxmvn_3x3_kernelILj256ELj8E21rocsparse_complex_numIfEiifS2_S2_EEvT3_20rocsparse_direction_NS_24const_host_device_scalarIT1_EES3_PKS3_PKT2_SC_S9_PKT4_PKT5_S7_PT6_21rocsparse_index_base_b.uses_vcc, 1
	.set _ZN9rocsparseL18bsrxmvn_3x3_kernelILj256ELj8E21rocsparse_complex_numIfEiifS2_S2_EEvT3_20rocsparse_direction_NS_24const_host_device_scalarIT1_EES3_PKS3_PKT2_SC_S9_PKT4_PKT5_S7_PT6_21rocsparse_index_base_b.uses_flat_scratch, 0
	.set _ZN9rocsparseL18bsrxmvn_3x3_kernelILj256ELj8E21rocsparse_complex_numIfEiifS2_S2_EEvT3_20rocsparse_direction_NS_24const_host_device_scalarIT1_EES3_PKS3_PKT2_SC_S9_PKT4_PKT5_S7_PT6_21rocsparse_index_base_b.has_dyn_sized_stack, 0
	.set _ZN9rocsparseL18bsrxmvn_3x3_kernelILj256ELj8E21rocsparse_complex_numIfEiifS2_S2_EEvT3_20rocsparse_direction_NS_24const_host_device_scalarIT1_EES3_PKS3_PKT2_SC_S9_PKT4_PKT5_S7_PT6_21rocsparse_index_base_b.has_recursion, 0
	.set _ZN9rocsparseL18bsrxmvn_3x3_kernelILj256ELj8E21rocsparse_complex_numIfEiifS2_S2_EEvT3_20rocsparse_direction_NS_24const_host_device_scalarIT1_EES3_PKS3_PKT2_SC_S9_PKT4_PKT5_S7_PT6_21rocsparse_index_base_b.has_indirect_call, 0
	.section	.AMDGPU.csdata,"",@progbits
; Kernel info:
; codeLenInByte = 2396
; TotalNumSgprs: 16
; NumVgprs: 35
; ScratchSize: 0
; MemoryBound: 0
; FloatMode: 240
; IeeeMode: 1
; LDSByteSize: 0 bytes/workgroup (compile time only)
; SGPRBlocks: 0
; VGPRBlocks: 4
; NumSGPRsForWavesPerEU: 16
; NumVGPRsForWavesPerEU: 35
; Occupancy: 16
; WaveLimiterHint : 1
; COMPUTE_PGM_RSRC2:SCRATCH_EN: 0
; COMPUTE_PGM_RSRC2:USER_SGPR: 2
; COMPUTE_PGM_RSRC2:TRAP_HANDLER: 0
; COMPUTE_PGM_RSRC2:TGID_X_EN: 1
; COMPUTE_PGM_RSRC2:TGID_Y_EN: 0
; COMPUTE_PGM_RSRC2:TGID_Z_EN: 0
; COMPUTE_PGM_RSRC2:TIDIG_COMP_CNT: 0
	.section	.text._ZN9rocsparseL18bsrxmvn_3x3_kernelILj256ELj16E21rocsparse_complex_numIfEiifS2_S2_EEvT3_20rocsparse_direction_NS_24const_host_device_scalarIT1_EES3_PKS3_PKT2_SC_S9_PKT4_PKT5_S7_PT6_21rocsparse_index_base_b,"axG",@progbits,_ZN9rocsparseL18bsrxmvn_3x3_kernelILj256ELj16E21rocsparse_complex_numIfEiifS2_S2_EEvT3_20rocsparse_direction_NS_24const_host_device_scalarIT1_EES3_PKS3_PKT2_SC_S9_PKT4_PKT5_S7_PT6_21rocsparse_index_base_b,comdat
	.globl	_ZN9rocsparseL18bsrxmvn_3x3_kernelILj256ELj16E21rocsparse_complex_numIfEiifS2_S2_EEvT3_20rocsparse_direction_NS_24const_host_device_scalarIT1_EES3_PKS3_PKT2_SC_S9_PKT4_PKT5_S7_PT6_21rocsparse_index_base_b ; -- Begin function _ZN9rocsparseL18bsrxmvn_3x3_kernelILj256ELj16E21rocsparse_complex_numIfEiifS2_S2_EEvT3_20rocsparse_direction_NS_24const_host_device_scalarIT1_EES3_PKS3_PKT2_SC_S9_PKT4_PKT5_S7_PT6_21rocsparse_index_base_b
	.p2align	8
	.type	_ZN9rocsparseL18bsrxmvn_3x3_kernelILj256ELj16E21rocsparse_complex_numIfEiifS2_S2_EEvT3_20rocsparse_direction_NS_24const_host_device_scalarIT1_EES3_PKS3_PKT2_SC_S9_PKT4_PKT5_S7_PT6_21rocsparse_index_base_b,@function
_ZN9rocsparseL18bsrxmvn_3x3_kernelILj256ELj16E21rocsparse_complex_numIfEiifS2_S2_EEvT3_20rocsparse_direction_NS_24const_host_device_scalarIT1_EES3_PKS3_PKT2_SC_S9_PKT4_PKT5_S7_PT6_21rocsparse_index_base_b: ; @_ZN9rocsparseL18bsrxmvn_3x3_kernelILj256ELj16E21rocsparse_complex_numIfEiifS2_S2_EEvT3_20rocsparse_direction_NS_24const_host_device_scalarIT1_EES3_PKS3_PKT2_SC_S9_PKT4_PKT5_S7_PT6_21rocsparse_index_base_b
; %bb.0:
	s_clause 0x2
	s_load_b64 s[12:13], s[0:1], 0x58
	s_load_b64 s[2:3], s[0:1], 0x8
	;; [unrolled: 1-line block ×3, first 2 shown]
	s_add_nc_u64 s[6:7], s[0:1], 8
	s_wait_kmcnt 0x0
	s_bitcmp1_b32 s13, 0
	s_cselect_b32 s2, s6, s2
	s_cselect_b32 s3, s7, s3
	s_delay_alu instid0(SALU_CYCLE_1)
	v_dual_mov_b32 v1, s2 :: v_dual_mov_b32 v2, s3
	s_add_nc_u64 s[2:3], s[0:1], 0x48
	s_wait_alu 0xfffe
	s_cselect_b32 s2, s2, s4
	s_cselect_b32 s3, s3, s5
	flat_load_b64 v[6:7], v[1:2]
	s_wait_alu 0xfffe
	v_dual_mov_b32 v1, s2 :: v_dual_mov_b32 v2, s3
	flat_load_b64 v[4:5], v[1:2]
	s_wait_loadcnt_dscnt 0x101
	v_cmp_eq_f32_e32 vcc_lo, 0, v6
	v_cmp_eq_f32_e64 s2, 0, v7
	s_and_b32 s4, vcc_lo, s2
	s_mov_b32 s2, -1
	s_and_saveexec_b32 s3, s4
	s_cbranch_execz .LBB122_2
; %bb.1:
	s_wait_loadcnt_dscnt 0x0
	v_cmp_neq_f32_e32 vcc_lo, 1.0, v4
	v_cmp_neq_f32_e64 s2, 0, v5
	s_wait_alu 0xfffe
	s_or_b32 s2, vcc_lo, s2
	s_wait_alu 0xfffe
	s_or_not1_b32 s2, s2, exec_lo
.LBB122_2:
	s_wait_alu 0xfffe
	s_or_b32 exec_lo, exec_lo, s3
	s_and_saveexec_b32 s3, s2
	s_cbranch_execz .LBB122_8
; %bb.3:
	s_clause 0x1
	s_load_b64 s[4:5], s[0:1], 0x18
	s_load_b64 s[2:3], s[0:1], 0x0
	v_lshrrev_b32_e32 v1, 4, v0
	s_delay_alu instid0(VALU_DEP_1)
	v_lshl_or_b32 v2, ttmp9, 4, v1
	s_wait_kmcnt 0x0
	s_cmp_lg_u64 s[4:5], 0
	s_cbranch_scc0 .LBB122_9
; %bb.4:
	s_load_b32 s6, s[0:1], 0x10
	s_mov_b32 s7, 0
                                        ; implicit-def: $vgpr1
	s_wait_kmcnt 0x0
	v_cmp_gt_i32_e32 vcc_lo, s6, v2
	s_mov_b32 s6, 0
	s_and_saveexec_b32 s8, vcc_lo
	s_delay_alu instid0(SALU_CYCLE_1)
	s_xor_b32 s8, exec_lo, s8
	s_cbranch_execz .LBB122_6
; %bb.5:
	v_ashrrev_i32_e32 v3, 31, v2
	s_mov_b32 s6, exec_lo
	s_delay_alu instid0(VALU_DEP_1) | instskip(NEXT) | instid1(VALU_DEP_1)
	v_lshlrev_b64_e32 v[8:9], 2, v[2:3]
	v_add_co_u32 v8, vcc_lo, s4, v8
	s_delay_alu instid0(VALU_DEP_1)
	v_add_co_ci_u32_e64 v9, null, s5, v9, vcc_lo
	global_load_b32 v1, v[8:9], off
	s_wait_loadcnt 0x0
	v_subrev_nc_u32_e32 v1, s12, v1
.LBB122_6:
	s_or_b32 exec_lo, exec_lo, s8
	s_delay_alu instid0(SALU_CYCLE_1)
	s_and_b32 vcc_lo, exec_lo, s7
	s_wait_alu 0xfffe
	s_cbranch_vccz .LBB122_10
.LBB122_7:
	v_cmp_gt_i32_e32 vcc_lo, s2, v2
	s_and_not1_b32 s2, s6, exec_lo
	s_and_b32 s4, vcc_lo, exec_lo
	s_wait_alu 0xfffe
	s_or_b32 s6, s2, s4
	s_wait_alu 0xfffe
	s_and_b32 exec_lo, exec_lo, s6
	s_cbranch_execnz .LBB122_11
.LBB122_8:
	s_endpgm
.LBB122_9:
	s_mov_b32 s6, 0
                                        ; implicit-def: $vgpr1
	s_cbranch_execnz .LBB122_7
.LBB122_10:
	v_mov_b32_e32 v2, v1
	s_and_b32 exec_lo, exec_lo, s6
	s_cbranch_execz .LBB122_8
.LBB122_11:
	s_load_b256 s[4:11], s[0:1], 0x20
	s_delay_alu instid0(VALU_DEP_1) | instskip(NEXT) | instid1(VALU_DEP_1)
	v_ashrrev_i32_e32 v3, 31, v2
	v_lshlrev_b64_e32 v[8:9], 2, v[2:3]
	s_wait_kmcnt 0x0
	s_delay_alu instid0(VALU_DEP_1) | instskip(SKIP_1) | instid1(VALU_DEP_2)
	v_add_co_u32 v10, vcc_lo, s4, v8
	s_wait_alu 0xfffd
	v_add_co_ci_u32_e64 v11, null, s5, v9, vcc_lo
	v_add_co_u32 v1, vcc_lo, s6, v8
	s_wait_alu 0xfffd
	v_add_co_ci_u32_e64 v3, null, s7, v9, vcc_lo
	;; [unrolled: 3-line block ×3, first 2 shown]
	s_cmp_eq_u64 s[6:7], 0
	global_load_b32 v10, v[10:11], off
	s_cselect_b32 vcc_lo, -1, 0
	s_load_b64 s[4:5], s[0:1], 0x40
	v_dual_cndmask_b32 v9, v3, v9 :: v_dual_cndmask_b32 v8, v1, v8
	v_and_b32_e32 v3, 15, v0
	s_cmp_eq_u32 s3, 1
	global_load_b32 v1, v[8:9], off
	s_wait_loadcnt 0x1
	v_subrev_nc_u32_e32 v0, s12, v10
	s_delay_alu instid0(VALU_DEP_1) | instskip(SKIP_2) | instid1(VALU_DEP_2)
	v_add_nc_u32_e32 v0, v0, v3
	s_wait_loadcnt 0x0
	v_subrev_nc_u32_e32 v20, s12, v1
	v_mad_co_i64_i32 v[8:9], null, v0, 36, s[10:11]
	s_delay_alu instid0(VALU_DEP_2)
	v_cmp_lt_i32_e64 s2, v0, v20
	s_cbranch_scc1 .LBB122_17
; %bb.12:
	v_dual_mov_b32 v14, 0 :: v_dual_mov_b32 v15, 0
	v_dual_mov_b32 v16, 0 :: v_dual_mov_b32 v17, 0
	;; [unrolled: 1-line block ×3, first 2 shown]
	s_and_saveexec_b32 s3, s2
	s_cbranch_execz .LBB122_16
; %bb.13:
	v_dual_mov_b32 v14, 0 :: v_dual_mov_b32 v13, v9
	v_dual_mov_b32 v10, v0 :: v_dual_mov_b32 v15, 0
	v_dual_mov_b32 v12, v8 :: v_dual_mov_b32 v17, 0
	v_dual_mov_b32 v16, 0 :: v_dual_mov_b32 v19, 0
	v_mov_b32_e32 v18, 0
	s_mov_b32 s6, 0
.LBB122_14:                             ; =>This Inner Loop Header: Depth=1
	v_ashrrev_i32_e32 v11, 31, v10
	s_delay_alu instid0(VALU_DEP_1) | instskip(NEXT) | instid1(VALU_DEP_1)
	v_lshlrev_b64_e32 v[21:22], 2, v[10:11]
	v_add_co_u32 v21, vcc_lo, s8, v21
	s_wait_alu 0xfffd
	s_delay_alu instid0(VALU_DEP_2)
	v_add_co_ci_u32_e64 v22, null, s9, v22, vcc_lo
	global_load_b32 v1, v[21:22], off
	s_clause 0x1
	global_load_b128 v[21:24], v[12:13], off offset:16
	global_load_b128 v[25:28], v[12:13], off
	s_wait_loadcnt 0x2
	v_subrev_nc_u32_e32 v1, s12, v1
	s_delay_alu instid0(VALU_DEP_1) | instskip(NEXT) | instid1(VALU_DEP_1)
	v_lshl_add_u32 v29, v1, 1, v1
	v_ashrrev_i32_e32 v30, 31, v29
	s_delay_alu instid0(VALU_DEP_1) | instskip(SKIP_1) | instid1(VALU_DEP_1)
	v_lshlrev_b64_e32 v[29:30], 3, v[29:30]
	s_wait_kmcnt 0x0
	v_add_co_u32 v33, vcc_lo, s4, v29
	s_wait_alu 0xfffd
	s_delay_alu instid0(VALU_DEP_2)
	v_add_co_ci_u32_e64 v34, null, s5, v30, vcc_lo
	s_clause 0x1
	global_load_b128 v[29:32], v[33:34], off
	global_load_b64 v[33:34], v[33:34], off offset:16
	global_load_b32 v1, v[12:13], off offset:32
	v_add_nc_u32_e32 v10, 16, v10
	v_add_co_u32 v12, vcc_lo, 0x240, v12
	s_wait_alu 0xfffd
	v_add_co_ci_u32_e64 v13, null, 0, v13, vcc_lo
	s_wait_loadcnt 0x2
	v_fmac_f32_e32 v15, v25, v29
	v_fmac_f32_e32 v14, 0, v29
	v_cmp_ge_i32_e32 vcc_lo, v10, v20
	s_delay_alu instid0(VALU_DEP_3) | instskip(NEXT) | instid1(VALU_DEP_3)
	v_fmac_f32_e32 v15, 0x80000000, v30
	v_dual_fmac_f32 v17, v28, v29 :: v_dual_fmac_f32 v14, v25, v30
	v_fmac_f32_e32 v16, 0, v29
	s_wait_alu 0xfffe
	s_or_b32 s6, vcc_lo, s6
	v_fmac_f32_e32 v15, v26, v31
	v_fmac_f32_e32 v17, 0x80000000, v30
	v_dual_fmac_f32 v19, v23, v29 :: v_dual_fmac_f32 v16, v28, v30
	v_fmac_f32_e32 v18, 0, v29
	s_delay_alu instid0(VALU_DEP_4) | instskip(NEXT) | instid1(VALU_DEP_3)
	v_dual_fmac_f32 v14, 0, v31 :: v_dual_fmac_f32 v15, 0x80000000, v32
	v_fmac_f32_e32 v19, 0x80000000, v30
	s_delay_alu instid0(VALU_DEP_3) | instskip(NEXT) | instid1(VALU_DEP_3)
	v_dual_fmac_f32 v17, v21, v31 :: v_dual_fmac_f32 v18, v23, v30
	v_fmac_f32_e32 v14, v26, v32
	s_wait_loadcnt 0x1
	v_dual_fmac_f32 v16, 0, v31 :: v_dual_fmac_f32 v15, v27, v33
	s_delay_alu instid0(VALU_DEP_3) | instskip(NEXT) | instid1(VALU_DEP_3)
	v_fmac_f32_e32 v17, 0x80000000, v32
	v_dual_fmac_f32 v19, v24, v31 :: v_dual_fmac_f32 v14, 0, v33
	s_delay_alu instid0(VALU_DEP_3) | instskip(NEXT) | instid1(VALU_DEP_4)
	v_fmac_f32_e32 v16, v21, v32
	v_dual_fmac_f32 v18, 0, v31 :: v_dual_fmac_f32 v15, 0x80000000, v34
	s_delay_alu instid0(VALU_DEP_3) | instskip(NEXT) | instid1(VALU_DEP_4)
	v_fmac_f32_e32 v19, 0x80000000, v32
	v_dual_fmac_f32 v17, v22, v33 :: v_dual_fmac_f32 v14, v27, v34
	s_delay_alu instid0(VALU_DEP_3) | instskip(NEXT) | instid1(VALU_DEP_2)
	v_fmac_f32_e32 v18, v24, v32
	v_dual_fmac_f32 v16, 0, v33 :: v_dual_fmac_f32 v17, 0x80000000, v34
	s_wait_loadcnt 0x0
	s_delay_alu instid0(VALU_DEP_1) | instskip(NEXT) | instid1(VALU_DEP_1)
	v_dual_fmac_f32 v19, v1, v33 :: v_dual_fmac_f32 v16, v22, v34
	v_dual_fmac_f32 v18, 0, v33 :: v_dual_fmac_f32 v19, 0x80000000, v34
	s_delay_alu instid0(VALU_DEP_1)
	v_fmac_f32_e32 v18, v1, v34
	s_wait_alu 0xfffe
	s_and_not1_b32 exec_lo, exec_lo, s6
	s_cbranch_execnz .LBB122_14
; %bb.15:
	s_or_b32 exec_lo, exec_lo, s6
.LBB122_16:
	s_wait_alu 0xfffe
	s_or_b32 exec_lo, exec_lo, s3
	s_cbranch_execz .LBB122_18
	s_branch .LBB122_23
.LBB122_17:
                                        ; implicit-def: $vgpr14
                                        ; implicit-def: $vgpr15
                                        ; implicit-def: $vgpr16
                                        ; implicit-def: $vgpr17
                                        ; implicit-def: $vgpr18
                                        ; implicit-def: $vgpr19
.LBB122_18:
	v_dual_mov_b32 v14, 0 :: v_dual_mov_b32 v15, 0
	v_dual_mov_b32 v16, 0 :: v_dual_mov_b32 v17, 0
	;; [unrolled: 1-line block ×3, first 2 shown]
	s_and_saveexec_b32 s3, s2
	s_cbranch_execz .LBB122_22
; %bb.19:
	v_dual_mov_b32 v14, 0 :: v_dual_mov_b32 v15, 0
	v_dual_mov_b32 v16, 0 :: v_dual_mov_b32 v17, 0
	;; [unrolled: 1-line block ×3, first 2 shown]
	s_mov_b32 s2, 0
.LBB122_20:                             ; =>This Inner Loop Header: Depth=1
	v_ashrrev_i32_e32 v1, 31, v0
	s_delay_alu instid0(VALU_DEP_1) | instskip(NEXT) | instid1(VALU_DEP_1)
	v_lshlrev_b64_e32 v[10:11], 2, v[0:1]
	v_add_co_u32 v10, vcc_lo, s8, v10
	s_wait_alu 0xfffd
	s_delay_alu instid0(VALU_DEP_2)
	v_add_co_ci_u32_e64 v11, null, s9, v11, vcc_lo
	global_load_b32 v1, v[10:11], off
	s_clause 0x1
	global_load_b128 v[10:13], v[8:9], off offset:16
	global_load_b128 v[21:24], v[8:9], off
	s_wait_loadcnt 0x2
	v_subrev_nc_u32_e32 v1, s12, v1
	s_delay_alu instid0(VALU_DEP_1) | instskip(NEXT) | instid1(VALU_DEP_1)
	v_lshl_add_u32 v25, v1, 1, v1
	v_ashrrev_i32_e32 v26, 31, v25
	s_delay_alu instid0(VALU_DEP_1) | instskip(SKIP_1) | instid1(VALU_DEP_1)
	v_lshlrev_b64_e32 v[25:26], 3, v[25:26]
	s_wait_kmcnt 0x0
	v_add_co_u32 v29, vcc_lo, s4, v25
	s_wait_alu 0xfffd
	s_delay_alu instid0(VALU_DEP_2)
	v_add_co_ci_u32_e64 v30, null, s5, v26, vcc_lo
	s_clause 0x1
	global_load_b128 v[25:28], v[29:30], off
	global_load_b64 v[29:30], v[29:30], off offset:16
	global_load_b32 v1, v[8:9], off offset:32
	v_add_nc_u32_e32 v0, 16, v0
	v_add_co_u32 v8, vcc_lo, 0x240, v8
	s_wait_alu 0xfffd
	v_add_co_ci_u32_e64 v9, null, 0, v9, vcc_lo
	s_wait_loadcnt 0x2
	v_fmac_f32_e32 v15, v21, v25
	v_fmac_f32_e32 v14, 0, v25
	v_cmp_ge_i32_e32 vcc_lo, v0, v20
	s_delay_alu instid0(VALU_DEP_3) | instskip(NEXT) | instid1(VALU_DEP_3)
	v_fmac_f32_e32 v15, 0x80000000, v26
	v_dual_fmac_f32 v17, v22, v25 :: v_dual_fmac_f32 v14, v21, v26
	v_fmac_f32_e32 v16, 0, v25
	s_wait_alu 0xfffe
	s_or_b32 s2, vcc_lo, s2
	v_fmac_f32_e32 v15, v24, v27
	v_fmac_f32_e32 v17, 0x80000000, v26
	v_dual_fmac_f32 v19, v23, v25 :: v_dual_fmac_f32 v16, v22, v26
	v_fmac_f32_e32 v18, 0, v25
	s_delay_alu instid0(VALU_DEP_4) | instskip(NEXT) | instid1(VALU_DEP_3)
	v_dual_fmac_f32 v14, 0, v27 :: v_dual_fmac_f32 v15, 0x80000000, v28
	v_fmac_f32_e32 v19, 0x80000000, v26
	s_delay_alu instid0(VALU_DEP_3) | instskip(NEXT) | instid1(VALU_DEP_3)
	v_dual_fmac_f32 v17, v10, v27 :: v_dual_fmac_f32 v18, v23, v26
	v_fmac_f32_e32 v14, v24, v28
	s_wait_loadcnt 0x1
	v_dual_fmac_f32 v16, 0, v27 :: v_dual_fmac_f32 v15, v12, v29
	s_delay_alu instid0(VALU_DEP_3) | instskip(NEXT) | instid1(VALU_DEP_3)
	v_fmac_f32_e32 v17, 0x80000000, v28
	v_dual_fmac_f32 v19, v11, v27 :: v_dual_fmac_f32 v14, 0, v29
	s_delay_alu instid0(VALU_DEP_3) | instskip(NEXT) | instid1(VALU_DEP_4)
	v_fmac_f32_e32 v16, v10, v28
	v_dual_fmac_f32 v18, 0, v27 :: v_dual_fmac_f32 v15, 0x80000000, v30
	s_delay_alu instid0(VALU_DEP_3) | instskip(NEXT) | instid1(VALU_DEP_4)
	v_fmac_f32_e32 v19, 0x80000000, v28
	v_dual_fmac_f32 v17, v13, v29 :: v_dual_fmac_f32 v14, v12, v30
	s_delay_alu instid0(VALU_DEP_3) | instskip(SKIP_3) | instid1(VALU_DEP_3)
	v_fmac_f32_e32 v18, v11, v28
	v_fmac_f32_e32 v16, 0, v29
	s_wait_loadcnt 0x0
	v_fmac_f32_e32 v19, v1, v29
	v_dual_fmac_f32 v17, 0x80000000, v30 :: v_dual_fmac_f32 v18, 0, v29
	s_delay_alu instid0(VALU_DEP_3) | instskip(NEXT) | instid1(VALU_DEP_3)
	v_fmac_f32_e32 v16, v13, v30
	v_fmac_f32_e32 v19, 0x80000000, v30
	s_delay_alu instid0(VALU_DEP_3)
	v_fmac_f32_e32 v18, v1, v30
	s_wait_alu 0xfffe
	s_and_not1_b32 exec_lo, exec_lo, s2
	s_cbranch_execnz .LBB122_20
; %bb.21:
	s_or_b32 exec_lo, exec_lo, s2
.LBB122_22:
	s_wait_alu 0xfffe
	s_or_b32 exec_lo, exec_lo, s3
.LBB122_23:
	v_mbcnt_lo_u32_b32 v0, -1, 0
	s_delay_alu instid0(VALU_DEP_1) | instskip(SKIP_1) | instid1(VALU_DEP_2)
	v_xor_b32_e32 v1, 8, v0
	v_xor_b32_e32 v13, 4, v0
	v_cmp_gt_i32_e32 vcc_lo, 32, v1
	s_wait_alu 0xfffd
	v_cndmask_b32_e32 v1, v0, v1, vcc_lo
	s_delay_alu instid0(VALU_DEP_3) | instskip(NEXT) | instid1(VALU_DEP_2)
	v_cmp_gt_i32_e32 vcc_lo, 32, v13
	v_lshlrev_b32_e32 v1, 2, v1
	ds_bpermute_b32 v10, v1, v17
	s_wait_dscnt 0x0
	v_add_f32_e32 v10, v17, v10
	ds_bpermute_b32 v8, v1, v15
	ds_bpermute_b32 v12, v1, v19
	;; [unrolled: 1-line block ×3, first 2 shown]
	s_wait_alu 0xfffd
	v_cndmask_b32_e32 v13, v0, v13, vcc_lo
	ds_bpermute_b32 v11, v1, v16
	ds_bpermute_b32 v1, v1, v18
	s_wait_dscnt 0x4
	v_add_f32_e32 v8, v15, v8
	s_wait_dscnt 0x3
	v_dual_add_f32 v12, v19, v12 :: v_dual_lshlrev_b32 v13, 2, v13
	s_wait_dscnt 0x2
	v_add_f32_e32 v9, v14, v9
	s_wait_dscnt 0x1
	v_add_f32_e32 v11, v16, v11
	;; [unrolled: 2-line block ×3, first 2 shown]
	v_xor_b32_e32 v19, 2, v0
	ds_bpermute_b32 v14, v13, v8
	v_cmp_gt_i32_e32 vcc_lo, 32, v19
	s_wait_alu 0xfffd
	v_cndmask_b32_e32 v19, v0, v19, vcc_lo
	s_wait_dscnt 0x0
	v_add_f32_e32 v8, v8, v14
	ds_bpermute_b32 v16, v13, v10
	ds_bpermute_b32 v18, v13, v12
	s_wait_dscnt 0x1
	v_dual_add_f32 v10, v10, v16 :: v_dual_lshlrev_b32 v19, 2, v19
	ds_bpermute_b32 v17, v13, v11
	s_wait_dscnt 0x1
	v_add_f32_e32 v12, v12, v18
	ds_bpermute_b32 v15, v13, v9
	ds_bpermute_b32 v13, v13, v1
	s_wait_dscnt 0x2
	v_add_f32_e32 v11, v11, v17
	ds_bpermute_b32 v17, v19, v12
	s_wait_dscnt 0x2
	v_add_f32_e32 v9, v9, v15
	s_wait_dscnt 0x1
	v_add_f32_e32 v13, v1, v13
	ds_bpermute_b32 v1, v19, v8
	ds_bpermute_b32 v15, v19, v10
	ds_bpermute_b32 v16, v19, v11
	ds_bpermute_b32 v14, v19, v9
	ds_bpermute_b32 v18, v19, v13
	v_xor_b32_e32 v19, 1, v0
	s_delay_alu instid0(VALU_DEP_1) | instskip(SKIP_4) | instid1(VALU_DEP_2)
	v_cmp_gt_i32_e32 vcc_lo, 32, v19
	s_wait_alu 0xfffd
	v_cndmask_b32_e32 v0, v0, v19, vcc_lo
	v_cmp_eq_u32_e32 vcc_lo, 15, v3
	s_wait_dscnt 0x4
	v_dual_add_f32 v0, v8, v1 :: v_dual_lshlrev_b32 v19, 2, v0
	s_wait_dscnt 0x3
	v_add_f32_e32 v8, v10, v15
	s_wait_dscnt 0x1
	v_dual_add_f32 v10, v12, v17 :: v_dual_add_f32 v1, v9, v14
	v_add_f32_e32 v9, v11, v16
	s_wait_dscnt 0x0
	v_add_f32_e32 v11, v13, v18
	ds_bpermute_b32 v12, v19, v0
	ds_bpermute_b32 v14, v19, v8
	;; [unrolled: 1-line block ×6, first 2 shown]
	s_and_b32 exec_lo, exec_lo, vcc_lo
	s_cbranch_execz .LBB122_8
; %bb.24:
	s_wait_dscnt 0x3
	v_dual_add_f32 v12, v0, v12 :: v_dual_add_f32 v1, v1, v13
	s_load_b64 s[2:3], s[0:1], 0x50
	s_wait_dscnt 0x1
	v_dual_add_f32 v13, v8, v14 :: v_dual_add_f32 v14, v10, v16
	v_lshl_add_u32 v10, v2, 1, v2
	v_mul_f32_e64 v0, v1, -v7
	v_add_f32_e32 v3, v9, v15
	s_wait_dscnt 0x0
	v_add_f32_e32 v9, v11, v17
	v_mul_f32_e32 v1, v6, v1
	v_cmp_eq_f32_e32 vcc_lo, 0, v4
	v_fmac_f32_e32 v0, v6, v12
	v_mul_f32_e64 v2, v3, -v7
	v_mul_f32_e64 v8, v9, -v7
	v_mul_f32_e32 v3, v6, v3
	v_cmp_eq_f32_e64 s0, 0, v5
	s_delay_alu instid0(VALU_DEP_4) | instskip(NEXT) | instid1(VALU_DEP_4)
	v_dual_fmac_f32 v1, v7, v12 :: v_dual_fmac_f32 v2, v6, v13
	v_fmac_f32_e32 v8, v6, v14
	v_mul_f32_e32 v9, v6, v9
	v_ashrrev_i32_e32 v11, 31, v10
	v_fmac_f32_e32 v3, v7, v13
	s_and_b32 s0, vcc_lo, s0
	s_delay_alu instid0(VALU_DEP_3)
	v_fmac_f32_e32 v9, v7, v14
	s_wait_alu 0xfffe
	s_and_saveexec_b32 s1, s0
	s_wait_alu 0xfffe
	s_xor_b32 s0, exec_lo, s1
	s_cbranch_execz .LBB122_26
; %bb.25:
	v_lshlrev_b64_e32 v[4:5], 3, v[10:11]
                                        ; implicit-def: $vgpr10
	s_wait_kmcnt 0x0
	s_delay_alu instid0(VALU_DEP_1) | instskip(SKIP_1) | instid1(VALU_DEP_2)
	v_add_co_u32 v4, vcc_lo, s2, v4
	s_wait_alu 0xfffd
	v_add_co_ci_u32_e64 v5, null, s3, v5, vcc_lo
	s_clause 0x1
	global_store_b128 v[4:5], v[0:3], off
	global_store_b64 v[4:5], v[8:9], off offset:16
                                        ; implicit-def: $vgpr4_vgpr5
                                        ; implicit-def: $vgpr0
                                        ; implicit-def: $vgpr8
.LBB122_26:
	s_wait_alu 0xfffe
	s_and_not1_saveexec_b32 s0, s0
	s_cbranch_execz .LBB122_8
; %bb.27:
	v_lshlrev_b64_e32 v[6:7], 3, v[10:11]
	s_wait_kmcnt 0x0
	s_delay_alu instid0(VALU_DEP_1) | instskip(SKIP_1) | instid1(VALU_DEP_2)
	v_add_co_u32 v6, vcc_lo, s2, v6
	s_wait_alu 0xfffd
	v_add_co_ci_u32_e64 v7, null, s3, v7, vcc_lo
	s_clause 0x1
	global_load_b128 v[10:13], v[6:7], off
	global_load_b64 v[14:15], v[6:7], off offset:16
	s_wait_loadcnt 0x1
	v_dual_fmac_f32 v0, v4, v10 :: v_dual_fmac_f32 v3, v5, v12
	v_dual_fmac_f32 v1, v5, v10 :: v_dual_fmac_f32 v2, v4, v12
	s_wait_loadcnt 0x0
	v_fmac_f32_e32 v8, v4, v14
	v_fmac_f32_e32 v9, v5, v14
	v_fma_f32 v0, -v5, v11, v0
	v_fmac_f32_e32 v1, v4, v11
	v_fma_f32 v2, -v5, v13, v2
	;; [unrolled: 2-line block ×3, first 2 shown]
	v_fmac_f32_e32 v9, v4, v15
	s_clause 0x1
	global_store_b128 v[6:7], v[0:3], off
	global_store_b64 v[6:7], v[8:9], off offset:16
	s_endpgm
	.section	.rodata,"a",@progbits
	.p2align	6, 0x0
	.amdhsa_kernel _ZN9rocsparseL18bsrxmvn_3x3_kernelILj256ELj16E21rocsparse_complex_numIfEiifS2_S2_EEvT3_20rocsparse_direction_NS_24const_host_device_scalarIT1_EES3_PKS3_PKT2_SC_S9_PKT4_PKT5_S7_PT6_21rocsparse_index_base_b
		.amdhsa_group_segment_fixed_size 0
		.amdhsa_private_segment_fixed_size 0
		.amdhsa_kernarg_size 96
		.amdhsa_user_sgpr_count 2
		.amdhsa_user_sgpr_dispatch_ptr 0
		.amdhsa_user_sgpr_queue_ptr 0
		.amdhsa_user_sgpr_kernarg_segment_ptr 1
		.amdhsa_user_sgpr_dispatch_id 0
		.amdhsa_user_sgpr_private_segment_size 0
		.amdhsa_wavefront_size32 1
		.amdhsa_uses_dynamic_stack 0
		.amdhsa_enable_private_segment 0
		.amdhsa_system_sgpr_workgroup_id_x 1
		.amdhsa_system_sgpr_workgroup_id_y 0
		.amdhsa_system_sgpr_workgroup_id_z 0
		.amdhsa_system_sgpr_workgroup_info 0
		.amdhsa_system_vgpr_workitem_id 0
		.amdhsa_next_free_vgpr 35
		.amdhsa_next_free_sgpr 14
		.amdhsa_reserve_vcc 1
		.amdhsa_float_round_mode_32 0
		.amdhsa_float_round_mode_16_64 0
		.amdhsa_float_denorm_mode_32 3
		.amdhsa_float_denorm_mode_16_64 3
		.amdhsa_fp16_overflow 0
		.amdhsa_workgroup_processor_mode 1
		.amdhsa_memory_ordered 1
		.amdhsa_forward_progress 1
		.amdhsa_inst_pref_size 20
		.amdhsa_round_robin_scheduling 0
		.amdhsa_exception_fp_ieee_invalid_op 0
		.amdhsa_exception_fp_denorm_src 0
		.amdhsa_exception_fp_ieee_div_zero 0
		.amdhsa_exception_fp_ieee_overflow 0
		.amdhsa_exception_fp_ieee_underflow 0
		.amdhsa_exception_fp_ieee_inexact 0
		.amdhsa_exception_int_div_zero 0
	.end_amdhsa_kernel
	.section	.text._ZN9rocsparseL18bsrxmvn_3x3_kernelILj256ELj16E21rocsparse_complex_numIfEiifS2_S2_EEvT3_20rocsparse_direction_NS_24const_host_device_scalarIT1_EES3_PKS3_PKT2_SC_S9_PKT4_PKT5_S7_PT6_21rocsparse_index_base_b,"axG",@progbits,_ZN9rocsparseL18bsrxmvn_3x3_kernelILj256ELj16E21rocsparse_complex_numIfEiifS2_S2_EEvT3_20rocsparse_direction_NS_24const_host_device_scalarIT1_EES3_PKS3_PKT2_SC_S9_PKT4_PKT5_S7_PT6_21rocsparse_index_base_b,comdat
.Lfunc_end122:
	.size	_ZN9rocsparseL18bsrxmvn_3x3_kernelILj256ELj16E21rocsparse_complex_numIfEiifS2_S2_EEvT3_20rocsparse_direction_NS_24const_host_device_scalarIT1_EES3_PKS3_PKT2_SC_S9_PKT4_PKT5_S7_PT6_21rocsparse_index_base_b, .Lfunc_end122-_ZN9rocsparseL18bsrxmvn_3x3_kernelILj256ELj16E21rocsparse_complex_numIfEiifS2_S2_EEvT3_20rocsparse_direction_NS_24const_host_device_scalarIT1_EES3_PKS3_PKT2_SC_S9_PKT4_PKT5_S7_PT6_21rocsparse_index_base_b
                                        ; -- End function
	.set _ZN9rocsparseL18bsrxmvn_3x3_kernelILj256ELj16E21rocsparse_complex_numIfEiifS2_S2_EEvT3_20rocsparse_direction_NS_24const_host_device_scalarIT1_EES3_PKS3_PKT2_SC_S9_PKT4_PKT5_S7_PT6_21rocsparse_index_base_b.num_vgpr, 35
	.set _ZN9rocsparseL18bsrxmvn_3x3_kernelILj256ELj16E21rocsparse_complex_numIfEiifS2_S2_EEvT3_20rocsparse_direction_NS_24const_host_device_scalarIT1_EES3_PKS3_PKT2_SC_S9_PKT4_PKT5_S7_PT6_21rocsparse_index_base_b.num_agpr, 0
	.set _ZN9rocsparseL18bsrxmvn_3x3_kernelILj256ELj16E21rocsparse_complex_numIfEiifS2_S2_EEvT3_20rocsparse_direction_NS_24const_host_device_scalarIT1_EES3_PKS3_PKT2_SC_S9_PKT4_PKT5_S7_PT6_21rocsparse_index_base_b.numbered_sgpr, 14
	.set _ZN9rocsparseL18bsrxmvn_3x3_kernelILj256ELj16E21rocsparse_complex_numIfEiifS2_S2_EEvT3_20rocsparse_direction_NS_24const_host_device_scalarIT1_EES3_PKS3_PKT2_SC_S9_PKT4_PKT5_S7_PT6_21rocsparse_index_base_b.num_named_barrier, 0
	.set _ZN9rocsparseL18bsrxmvn_3x3_kernelILj256ELj16E21rocsparse_complex_numIfEiifS2_S2_EEvT3_20rocsparse_direction_NS_24const_host_device_scalarIT1_EES3_PKS3_PKT2_SC_S9_PKT4_PKT5_S7_PT6_21rocsparse_index_base_b.private_seg_size, 0
	.set _ZN9rocsparseL18bsrxmvn_3x3_kernelILj256ELj16E21rocsparse_complex_numIfEiifS2_S2_EEvT3_20rocsparse_direction_NS_24const_host_device_scalarIT1_EES3_PKS3_PKT2_SC_S9_PKT4_PKT5_S7_PT6_21rocsparse_index_base_b.uses_vcc, 1
	.set _ZN9rocsparseL18bsrxmvn_3x3_kernelILj256ELj16E21rocsparse_complex_numIfEiifS2_S2_EEvT3_20rocsparse_direction_NS_24const_host_device_scalarIT1_EES3_PKS3_PKT2_SC_S9_PKT4_PKT5_S7_PT6_21rocsparse_index_base_b.uses_flat_scratch, 0
	.set _ZN9rocsparseL18bsrxmvn_3x3_kernelILj256ELj16E21rocsparse_complex_numIfEiifS2_S2_EEvT3_20rocsparse_direction_NS_24const_host_device_scalarIT1_EES3_PKS3_PKT2_SC_S9_PKT4_PKT5_S7_PT6_21rocsparse_index_base_b.has_dyn_sized_stack, 0
	.set _ZN9rocsparseL18bsrxmvn_3x3_kernelILj256ELj16E21rocsparse_complex_numIfEiifS2_S2_EEvT3_20rocsparse_direction_NS_24const_host_device_scalarIT1_EES3_PKS3_PKT2_SC_S9_PKT4_PKT5_S7_PT6_21rocsparse_index_base_b.has_recursion, 0
	.set _ZN9rocsparseL18bsrxmvn_3x3_kernelILj256ELj16E21rocsparse_complex_numIfEiifS2_S2_EEvT3_20rocsparse_direction_NS_24const_host_device_scalarIT1_EES3_PKS3_PKT2_SC_S9_PKT4_PKT5_S7_PT6_21rocsparse_index_base_b.has_indirect_call, 0
	.section	.AMDGPU.csdata,"",@progbits
; Kernel info:
; codeLenInByte = 2516
; TotalNumSgprs: 16
; NumVgprs: 35
; ScratchSize: 0
; MemoryBound: 0
; FloatMode: 240
; IeeeMode: 1
; LDSByteSize: 0 bytes/workgroup (compile time only)
; SGPRBlocks: 0
; VGPRBlocks: 4
; NumSGPRsForWavesPerEU: 16
; NumVGPRsForWavesPerEU: 35
; Occupancy: 16
; WaveLimiterHint : 1
; COMPUTE_PGM_RSRC2:SCRATCH_EN: 0
; COMPUTE_PGM_RSRC2:USER_SGPR: 2
; COMPUTE_PGM_RSRC2:TRAP_HANDLER: 0
; COMPUTE_PGM_RSRC2:TGID_X_EN: 1
; COMPUTE_PGM_RSRC2:TGID_Y_EN: 0
; COMPUTE_PGM_RSRC2:TGID_Z_EN: 0
; COMPUTE_PGM_RSRC2:TIDIG_COMP_CNT: 0
	.section	.text._ZN9rocsparseL18bsrxmvn_3x3_kernelILj256ELj32E21rocsparse_complex_numIfEiifS2_S2_EEvT3_20rocsparse_direction_NS_24const_host_device_scalarIT1_EES3_PKS3_PKT2_SC_S9_PKT4_PKT5_S7_PT6_21rocsparse_index_base_b,"axG",@progbits,_ZN9rocsparseL18bsrxmvn_3x3_kernelILj256ELj32E21rocsparse_complex_numIfEiifS2_S2_EEvT3_20rocsparse_direction_NS_24const_host_device_scalarIT1_EES3_PKS3_PKT2_SC_S9_PKT4_PKT5_S7_PT6_21rocsparse_index_base_b,comdat
	.globl	_ZN9rocsparseL18bsrxmvn_3x3_kernelILj256ELj32E21rocsparse_complex_numIfEiifS2_S2_EEvT3_20rocsparse_direction_NS_24const_host_device_scalarIT1_EES3_PKS3_PKT2_SC_S9_PKT4_PKT5_S7_PT6_21rocsparse_index_base_b ; -- Begin function _ZN9rocsparseL18bsrxmvn_3x3_kernelILj256ELj32E21rocsparse_complex_numIfEiifS2_S2_EEvT3_20rocsparse_direction_NS_24const_host_device_scalarIT1_EES3_PKS3_PKT2_SC_S9_PKT4_PKT5_S7_PT6_21rocsparse_index_base_b
	.p2align	8
	.type	_ZN9rocsparseL18bsrxmvn_3x3_kernelILj256ELj32E21rocsparse_complex_numIfEiifS2_S2_EEvT3_20rocsparse_direction_NS_24const_host_device_scalarIT1_EES3_PKS3_PKT2_SC_S9_PKT4_PKT5_S7_PT6_21rocsparse_index_base_b,@function
_ZN9rocsparseL18bsrxmvn_3x3_kernelILj256ELj32E21rocsparse_complex_numIfEiifS2_S2_EEvT3_20rocsparse_direction_NS_24const_host_device_scalarIT1_EES3_PKS3_PKT2_SC_S9_PKT4_PKT5_S7_PT6_21rocsparse_index_base_b: ; @_ZN9rocsparseL18bsrxmvn_3x3_kernelILj256ELj32E21rocsparse_complex_numIfEiifS2_S2_EEvT3_20rocsparse_direction_NS_24const_host_device_scalarIT1_EES3_PKS3_PKT2_SC_S9_PKT4_PKT5_S7_PT6_21rocsparse_index_base_b
; %bb.0:
	s_clause 0x2
	s_load_b64 s[12:13], s[0:1], 0x58
	s_load_b64 s[2:3], s[0:1], 0x8
	;; [unrolled: 1-line block ×3, first 2 shown]
	s_add_nc_u64 s[6:7], s[0:1], 8
	s_wait_kmcnt 0x0
	s_bitcmp1_b32 s13, 0
	s_cselect_b32 s2, s6, s2
	s_cselect_b32 s3, s7, s3
	s_delay_alu instid0(SALU_CYCLE_1)
	v_dual_mov_b32 v1, s2 :: v_dual_mov_b32 v2, s3
	s_add_nc_u64 s[2:3], s[0:1], 0x48
	s_wait_alu 0xfffe
	s_cselect_b32 s2, s2, s4
	s_cselect_b32 s3, s3, s5
	flat_load_b64 v[6:7], v[1:2]
	s_wait_alu 0xfffe
	v_dual_mov_b32 v1, s2 :: v_dual_mov_b32 v2, s3
	flat_load_b64 v[4:5], v[1:2]
	s_wait_loadcnt_dscnt 0x101
	v_cmp_eq_f32_e32 vcc_lo, 0, v6
	v_cmp_eq_f32_e64 s2, 0, v7
	s_and_b32 s4, vcc_lo, s2
	s_mov_b32 s2, -1
	s_and_saveexec_b32 s3, s4
	s_cbranch_execz .LBB123_2
; %bb.1:
	s_wait_loadcnt_dscnt 0x0
	v_cmp_neq_f32_e32 vcc_lo, 1.0, v4
	v_cmp_neq_f32_e64 s2, 0, v5
	s_wait_alu 0xfffe
	s_or_b32 s2, vcc_lo, s2
	s_wait_alu 0xfffe
	s_or_not1_b32 s2, s2, exec_lo
.LBB123_2:
	s_wait_alu 0xfffe
	s_or_b32 exec_lo, exec_lo, s3
	s_and_saveexec_b32 s3, s2
	s_cbranch_execz .LBB123_8
; %bb.3:
	s_clause 0x1
	s_load_b64 s[4:5], s[0:1], 0x18
	s_load_b64 s[2:3], s[0:1], 0x0
	v_lshrrev_b32_e32 v1, 5, v0
	s_delay_alu instid0(VALU_DEP_1)
	v_lshl_or_b32 v2, ttmp9, 3, v1
	s_wait_kmcnt 0x0
	s_cmp_lg_u64 s[4:5], 0
	s_cbranch_scc0 .LBB123_9
; %bb.4:
	s_load_b32 s6, s[0:1], 0x10
	s_mov_b32 s7, 0
                                        ; implicit-def: $vgpr1
	s_wait_kmcnt 0x0
	v_cmp_gt_i32_e32 vcc_lo, s6, v2
	s_mov_b32 s6, 0
	s_and_saveexec_b32 s8, vcc_lo
	s_delay_alu instid0(SALU_CYCLE_1)
	s_xor_b32 s8, exec_lo, s8
	s_cbranch_execz .LBB123_6
; %bb.5:
	v_ashrrev_i32_e32 v3, 31, v2
	s_mov_b32 s6, exec_lo
	s_delay_alu instid0(VALU_DEP_1) | instskip(NEXT) | instid1(VALU_DEP_1)
	v_lshlrev_b64_e32 v[8:9], 2, v[2:3]
	v_add_co_u32 v8, vcc_lo, s4, v8
	s_delay_alu instid0(VALU_DEP_1)
	v_add_co_ci_u32_e64 v9, null, s5, v9, vcc_lo
	global_load_b32 v1, v[8:9], off
	s_wait_loadcnt 0x0
	v_subrev_nc_u32_e32 v1, s12, v1
.LBB123_6:
	s_or_b32 exec_lo, exec_lo, s8
	s_delay_alu instid0(SALU_CYCLE_1)
	s_and_b32 vcc_lo, exec_lo, s7
	s_wait_alu 0xfffe
	s_cbranch_vccz .LBB123_10
.LBB123_7:
	v_cmp_gt_i32_e32 vcc_lo, s2, v2
	s_and_not1_b32 s2, s6, exec_lo
	s_and_b32 s4, vcc_lo, exec_lo
	s_wait_alu 0xfffe
	s_or_b32 s6, s2, s4
	s_wait_alu 0xfffe
	s_and_b32 exec_lo, exec_lo, s6
	s_cbranch_execnz .LBB123_11
.LBB123_8:
	s_endpgm
.LBB123_9:
	s_mov_b32 s6, 0
                                        ; implicit-def: $vgpr1
	s_cbranch_execnz .LBB123_7
.LBB123_10:
	v_mov_b32_e32 v2, v1
	s_and_b32 exec_lo, exec_lo, s6
	s_cbranch_execz .LBB123_8
.LBB123_11:
	s_load_b256 s[4:11], s[0:1], 0x20
	s_delay_alu instid0(VALU_DEP_1) | instskip(NEXT) | instid1(VALU_DEP_1)
	v_ashrrev_i32_e32 v3, 31, v2
	v_lshlrev_b64_e32 v[8:9], 2, v[2:3]
	s_wait_kmcnt 0x0
	s_delay_alu instid0(VALU_DEP_1) | instskip(SKIP_1) | instid1(VALU_DEP_2)
	v_add_co_u32 v10, vcc_lo, s4, v8
	s_wait_alu 0xfffd
	v_add_co_ci_u32_e64 v11, null, s5, v9, vcc_lo
	v_add_co_u32 v1, vcc_lo, s6, v8
	s_wait_alu 0xfffd
	v_add_co_ci_u32_e64 v3, null, s7, v9, vcc_lo
	v_add_co_u32 v8, vcc_lo, v10, 4
	s_wait_alu 0xfffd
	v_add_co_ci_u32_e64 v9, null, 0, v11, vcc_lo
	s_cmp_eq_u64 s[6:7], 0
	global_load_b32 v10, v[10:11], off
	s_cselect_b32 vcc_lo, -1, 0
	s_load_b64 s[4:5], s[0:1], 0x40
	v_dual_cndmask_b32 v9, v3, v9 :: v_dual_cndmask_b32 v8, v1, v8
	v_and_b32_e32 v3, 31, v0
	s_cmp_eq_u32 s3, 1
	global_load_b32 v1, v[8:9], off
	s_wait_loadcnt 0x1
	v_subrev_nc_u32_e32 v0, s12, v10
	s_delay_alu instid0(VALU_DEP_1) | instskip(SKIP_2) | instid1(VALU_DEP_2)
	v_add_nc_u32_e32 v0, v0, v3
	s_wait_loadcnt 0x0
	v_subrev_nc_u32_e32 v20, s12, v1
	v_mad_co_i64_i32 v[8:9], null, v0, 36, s[10:11]
	s_delay_alu instid0(VALU_DEP_2)
	v_cmp_lt_i32_e64 s2, v0, v20
	s_cbranch_scc1 .LBB123_17
; %bb.12:
	v_dual_mov_b32 v14, 0 :: v_dual_mov_b32 v15, 0
	v_dual_mov_b32 v16, 0 :: v_dual_mov_b32 v17, 0
	;; [unrolled: 1-line block ×3, first 2 shown]
	s_and_saveexec_b32 s3, s2
	s_cbranch_execz .LBB123_16
; %bb.13:
	v_dual_mov_b32 v14, 0 :: v_dual_mov_b32 v13, v9
	v_dual_mov_b32 v10, v0 :: v_dual_mov_b32 v15, 0
	v_dual_mov_b32 v12, v8 :: v_dual_mov_b32 v17, 0
	v_dual_mov_b32 v16, 0 :: v_dual_mov_b32 v19, 0
	v_mov_b32_e32 v18, 0
	s_mov_b32 s6, 0
.LBB123_14:                             ; =>This Inner Loop Header: Depth=1
	v_ashrrev_i32_e32 v11, 31, v10
	s_delay_alu instid0(VALU_DEP_1) | instskip(NEXT) | instid1(VALU_DEP_1)
	v_lshlrev_b64_e32 v[21:22], 2, v[10:11]
	v_add_co_u32 v21, vcc_lo, s8, v21
	s_wait_alu 0xfffd
	s_delay_alu instid0(VALU_DEP_2)
	v_add_co_ci_u32_e64 v22, null, s9, v22, vcc_lo
	global_load_b32 v1, v[21:22], off
	s_clause 0x1
	global_load_b128 v[21:24], v[12:13], off offset:16
	global_load_b128 v[25:28], v[12:13], off
	s_wait_loadcnt 0x2
	v_subrev_nc_u32_e32 v1, s12, v1
	s_delay_alu instid0(VALU_DEP_1) | instskip(NEXT) | instid1(VALU_DEP_1)
	v_lshl_add_u32 v29, v1, 1, v1
	v_ashrrev_i32_e32 v30, 31, v29
	s_delay_alu instid0(VALU_DEP_1) | instskip(SKIP_1) | instid1(VALU_DEP_1)
	v_lshlrev_b64_e32 v[29:30], 3, v[29:30]
	s_wait_kmcnt 0x0
	v_add_co_u32 v33, vcc_lo, s4, v29
	s_wait_alu 0xfffd
	s_delay_alu instid0(VALU_DEP_2)
	v_add_co_ci_u32_e64 v34, null, s5, v30, vcc_lo
	s_clause 0x1
	global_load_b128 v[29:32], v[33:34], off
	global_load_b64 v[33:34], v[33:34], off offset:16
	global_load_b32 v1, v[12:13], off offset:32
	v_add_nc_u32_e32 v10, 32, v10
	v_add_co_u32 v12, vcc_lo, 0x480, v12
	s_wait_alu 0xfffd
	v_add_co_ci_u32_e64 v13, null, 0, v13, vcc_lo
	s_wait_loadcnt 0x2
	v_fmac_f32_e32 v15, v25, v29
	v_fmac_f32_e32 v14, 0, v29
	v_cmp_ge_i32_e32 vcc_lo, v10, v20
	s_delay_alu instid0(VALU_DEP_3) | instskip(NEXT) | instid1(VALU_DEP_3)
	v_fmac_f32_e32 v15, 0x80000000, v30
	v_dual_fmac_f32 v17, v28, v29 :: v_dual_fmac_f32 v14, v25, v30
	v_fmac_f32_e32 v16, 0, v29
	s_wait_alu 0xfffe
	s_or_b32 s6, vcc_lo, s6
	v_fmac_f32_e32 v15, v26, v31
	v_fmac_f32_e32 v17, 0x80000000, v30
	v_dual_fmac_f32 v19, v23, v29 :: v_dual_fmac_f32 v16, v28, v30
	v_fmac_f32_e32 v18, 0, v29
	s_delay_alu instid0(VALU_DEP_4) | instskip(NEXT) | instid1(VALU_DEP_3)
	v_dual_fmac_f32 v14, 0, v31 :: v_dual_fmac_f32 v15, 0x80000000, v32
	v_fmac_f32_e32 v19, 0x80000000, v30
	s_delay_alu instid0(VALU_DEP_3) | instskip(NEXT) | instid1(VALU_DEP_3)
	v_dual_fmac_f32 v17, v21, v31 :: v_dual_fmac_f32 v18, v23, v30
	v_fmac_f32_e32 v14, v26, v32
	s_wait_loadcnt 0x1
	v_dual_fmac_f32 v16, 0, v31 :: v_dual_fmac_f32 v15, v27, v33
	s_delay_alu instid0(VALU_DEP_3) | instskip(NEXT) | instid1(VALU_DEP_3)
	v_fmac_f32_e32 v17, 0x80000000, v32
	v_dual_fmac_f32 v19, v24, v31 :: v_dual_fmac_f32 v14, 0, v33
	s_delay_alu instid0(VALU_DEP_3) | instskip(NEXT) | instid1(VALU_DEP_4)
	v_fmac_f32_e32 v16, v21, v32
	v_dual_fmac_f32 v18, 0, v31 :: v_dual_fmac_f32 v15, 0x80000000, v34
	s_delay_alu instid0(VALU_DEP_3) | instskip(NEXT) | instid1(VALU_DEP_4)
	v_fmac_f32_e32 v19, 0x80000000, v32
	v_dual_fmac_f32 v17, v22, v33 :: v_dual_fmac_f32 v14, v27, v34
	s_delay_alu instid0(VALU_DEP_3) | instskip(NEXT) | instid1(VALU_DEP_2)
	v_fmac_f32_e32 v18, v24, v32
	v_dual_fmac_f32 v16, 0, v33 :: v_dual_fmac_f32 v17, 0x80000000, v34
	s_wait_loadcnt 0x0
	s_delay_alu instid0(VALU_DEP_1) | instskip(NEXT) | instid1(VALU_DEP_1)
	v_dual_fmac_f32 v19, v1, v33 :: v_dual_fmac_f32 v16, v22, v34
	v_dual_fmac_f32 v18, 0, v33 :: v_dual_fmac_f32 v19, 0x80000000, v34
	s_delay_alu instid0(VALU_DEP_1)
	v_fmac_f32_e32 v18, v1, v34
	s_wait_alu 0xfffe
	s_and_not1_b32 exec_lo, exec_lo, s6
	s_cbranch_execnz .LBB123_14
; %bb.15:
	s_or_b32 exec_lo, exec_lo, s6
.LBB123_16:
	s_wait_alu 0xfffe
	s_or_b32 exec_lo, exec_lo, s3
	s_cbranch_execz .LBB123_18
	s_branch .LBB123_23
.LBB123_17:
                                        ; implicit-def: $vgpr14
                                        ; implicit-def: $vgpr15
                                        ; implicit-def: $vgpr16
                                        ; implicit-def: $vgpr17
                                        ; implicit-def: $vgpr18
                                        ; implicit-def: $vgpr19
.LBB123_18:
	v_dual_mov_b32 v14, 0 :: v_dual_mov_b32 v15, 0
	v_dual_mov_b32 v16, 0 :: v_dual_mov_b32 v17, 0
	;; [unrolled: 1-line block ×3, first 2 shown]
	s_and_saveexec_b32 s3, s2
	s_cbranch_execz .LBB123_22
; %bb.19:
	v_dual_mov_b32 v14, 0 :: v_dual_mov_b32 v15, 0
	v_dual_mov_b32 v16, 0 :: v_dual_mov_b32 v17, 0
	;; [unrolled: 1-line block ×3, first 2 shown]
	s_mov_b32 s2, 0
.LBB123_20:                             ; =>This Inner Loop Header: Depth=1
	v_ashrrev_i32_e32 v1, 31, v0
	s_delay_alu instid0(VALU_DEP_1) | instskip(NEXT) | instid1(VALU_DEP_1)
	v_lshlrev_b64_e32 v[10:11], 2, v[0:1]
	v_add_co_u32 v10, vcc_lo, s8, v10
	s_wait_alu 0xfffd
	s_delay_alu instid0(VALU_DEP_2)
	v_add_co_ci_u32_e64 v11, null, s9, v11, vcc_lo
	global_load_b32 v1, v[10:11], off
	s_clause 0x1
	global_load_b128 v[10:13], v[8:9], off offset:16
	global_load_b128 v[21:24], v[8:9], off
	s_wait_loadcnt 0x2
	v_subrev_nc_u32_e32 v1, s12, v1
	s_delay_alu instid0(VALU_DEP_1) | instskip(NEXT) | instid1(VALU_DEP_1)
	v_lshl_add_u32 v25, v1, 1, v1
	v_ashrrev_i32_e32 v26, 31, v25
	s_delay_alu instid0(VALU_DEP_1) | instskip(SKIP_1) | instid1(VALU_DEP_1)
	v_lshlrev_b64_e32 v[25:26], 3, v[25:26]
	s_wait_kmcnt 0x0
	v_add_co_u32 v29, vcc_lo, s4, v25
	s_wait_alu 0xfffd
	s_delay_alu instid0(VALU_DEP_2)
	v_add_co_ci_u32_e64 v30, null, s5, v26, vcc_lo
	s_clause 0x1
	global_load_b128 v[25:28], v[29:30], off
	global_load_b64 v[29:30], v[29:30], off offset:16
	global_load_b32 v1, v[8:9], off offset:32
	v_add_nc_u32_e32 v0, 32, v0
	v_add_co_u32 v8, vcc_lo, 0x480, v8
	s_wait_alu 0xfffd
	v_add_co_ci_u32_e64 v9, null, 0, v9, vcc_lo
	s_wait_loadcnt 0x2
	v_fmac_f32_e32 v15, v21, v25
	v_fmac_f32_e32 v14, 0, v25
	v_cmp_ge_i32_e32 vcc_lo, v0, v20
	s_delay_alu instid0(VALU_DEP_3) | instskip(NEXT) | instid1(VALU_DEP_3)
	v_fmac_f32_e32 v15, 0x80000000, v26
	v_dual_fmac_f32 v17, v22, v25 :: v_dual_fmac_f32 v14, v21, v26
	v_fmac_f32_e32 v16, 0, v25
	s_wait_alu 0xfffe
	s_or_b32 s2, vcc_lo, s2
	v_fmac_f32_e32 v15, v24, v27
	v_fmac_f32_e32 v17, 0x80000000, v26
	v_dual_fmac_f32 v19, v23, v25 :: v_dual_fmac_f32 v16, v22, v26
	v_fmac_f32_e32 v18, 0, v25
	s_delay_alu instid0(VALU_DEP_4) | instskip(NEXT) | instid1(VALU_DEP_3)
	v_dual_fmac_f32 v14, 0, v27 :: v_dual_fmac_f32 v15, 0x80000000, v28
	v_fmac_f32_e32 v19, 0x80000000, v26
	s_delay_alu instid0(VALU_DEP_3) | instskip(NEXT) | instid1(VALU_DEP_3)
	v_dual_fmac_f32 v17, v10, v27 :: v_dual_fmac_f32 v18, v23, v26
	v_fmac_f32_e32 v14, v24, v28
	s_wait_loadcnt 0x1
	v_dual_fmac_f32 v16, 0, v27 :: v_dual_fmac_f32 v15, v12, v29
	s_delay_alu instid0(VALU_DEP_3) | instskip(NEXT) | instid1(VALU_DEP_3)
	v_fmac_f32_e32 v17, 0x80000000, v28
	v_dual_fmac_f32 v19, v11, v27 :: v_dual_fmac_f32 v14, 0, v29
	s_delay_alu instid0(VALU_DEP_3) | instskip(NEXT) | instid1(VALU_DEP_4)
	v_fmac_f32_e32 v16, v10, v28
	v_dual_fmac_f32 v18, 0, v27 :: v_dual_fmac_f32 v15, 0x80000000, v30
	s_delay_alu instid0(VALU_DEP_3) | instskip(NEXT) | instid1(VALU_DEP_4)
	v_fmac_f32_e32 v19, 0x80000000, v28
	v_dual_fmac_f32 v17, v13, v29 :: v_dual_fmac_f32 v14, v12, v30
	s_delay_alu instid0(VALU_DEP_3) | instskip(SKIP_3) | instid1(VALU_DEP_3)
	v_fmac_f32_e32 v18, v11, v28
	v_fmac_f32_e32 v16, 0, v29
	s_wait_loadcnt 0x0
	v_fmac_f32_e32 v19, v1, v29
	v_dual_fmac_f32 v17, 0x80000000, v30 :: v_dual_fmac_f32 v18, 0, v29
	s_delay_alu instid0(VALU_DEP_3) | instskip(NEXT) | instid1(VALU_DEP_3)
	v_fmac_f32_e32 v16, v13, v30
	v_fmac_f32_e32 v19, 0x80000000, v30
	s_delay_alu instid0(VALU_DEP_3)
	v_fmac_f32_e32 v18, v1, v30
	s_wait_alu 0xfffe
	s_and_not1_b32 exec_lo, exec_lo, s2
	s_cbranch_execnz .LBB123_20
; %bb.21:
	s_or_b32 exec_lo, exec_lo, s2
.LBB123_22:
	s_wait_alu 0xfffe
	s_or_b32 exec_lo, exec_lo, s3
.LBB123_23:
	v_mbcnt_lo_u32_b32 v0, -1, 0
	s_delay_alu instid0(VALU_DEP_1) | instskip(SKIP_1) | instid1(VALU_DEP_2)
	v_xor_b32_e32 v1, 16, v0
	v_xor_b32_e32 v13, 8, v0
	v_cmp_gt_i32_e32 vcc_lo, 32, v1
	s_wait_alu 0xfffd
	v_cndmask_b32_e32 v1, v0, v1, vcc_lo
	s_delay_alu instid0(VALU_DEP_3) | instskip(NEXT) | instid1(VALU_DEP_2)
	v_cmp_gt_i32_e32 vcc_lo, 32, v13
	v_lshlrev_b32_e32 v1, 2, v1
	ds_bpermute_b32 v10, v1, v17
	s_wait_dscnt 0x0
	v_add_f32_e32 v10, v17, v10
	ds_bpermute_b32 v8, v1, v15
	ds_bpermute_b32 v12, v1, v19
	;; [unrolled: 1-line block ×3, first 2 shown]
	s_wait_alu 0xfffd
	v_cndmask_b32_e32 v13, v0, v13, vcc_lo
	ds_bpermute_b32 v11, v1, v16
	ds_bpermute_b32 v1, v1, v18
	s_wait_dscnt 0x4
	v_add_f32_e32 v8, v15, v8
	s_wait_dscnt 0x3
	v_dual_add_f32 v12, v19, v12 :: v_dual_lshlrev_b32 v13, 2, v13
	s_wait_dscnt 0x2
	v_add_f32_e32 v9, v14, v9
	s_wait_dscnt 0x1
	v_add_f32_e32 v11, v16, v11
	;; [unrolled: 2-line block ×3, first 2 shown]
	v_xor_b32_e32 v19, 4, v0
	ds_bpermute_b32 v14, v13, v8
	v_cmp_gt_i32_e32 vcc_lo, 32, v19
	s_wait_alu 0xfffd
	v_cndmask_b32_e32 v19, v0, v19, vcc_lo
	s_wait_dscnt 0x0
	v_add_f32_e32 v8, v8, v14
	ds_bpermute_b32 v16, v13, v10
	ds_bpermute_b32 v18, v13, v12
	s_wait_dscnt 0x1
	v_dual_add_f32 v10, v10, v16 :: v_dual_lshlrev_b32 v19, 2, v19
	ds_bpermute_b32 v17, v13, v11
	s_wait_dscnt 0x1
	v_add_f32_e32 v12, v12, v18
	ds_bpermute_b32 v15, v13, v9
	ds_bpermute_b32 v13, v13, v1
	s_wait_dscnt 0x2
	v_add_f32_e32 v11, v11, v17
	s_wait_dscnt 0x0
	v_add_f32_e32 v1, v1, v13
	ds_bpermute_b32 v13, v19, v8
	s_wait_dscnt 0x0
	v_add_f32_e32 v8, v8, v13
	ds_bpermute_b32 v17, v19, v12
	v_add_f32_e32 v9, v9, v15
	ds_bpermute_b32 v15, v19, v10
	ds_bpermute_b32 v18, v19, v1
	s_wait_dscnt 0x2
	v_add_f32_e32 v12, v12, v17
	ds_bpermute_b32 v14, v19, v9
	s_wait_dscnt 0x2
	v_add_f32_e32 v10, v10, v15
	ds_bpermute_b32 v16, v19, v11
	v_xor_b32_e32 v19, 2, v0
	s_wait_dscnt 0x2
	v_add_f32_e32 v13, v1, v18
	s_delay_alu instid0(VALU_DEP_2) | instskip(SKIP_2) | instid1(VALU_DEP_1)
	v_cmp_gt_i32_e32 vcc_lo, 32, v19
	s_wait_alu 0xfffd
	v_cndmask_b32_e32 v19, v0, v19, vcc_lo
	v_lshlrev_b32_e32 v19, 2, v19
	s_wait_dscnt 0x0
	v_add_f32_e32 v11, v11, v16
	ds_bpermute_b32 v17, v19, v12
	v_add_f32_e32 v9, v9, v14
	ds_bpermute_b32 v1, v19, v8
	ds_bpermute_b32 v15, v19, v10
	;; [unrolled: 1-line block ×5, first 2 shown]
	v_xor_b32_e32 v19, 1, v0
	s_delay_alu instid0(VALU_DEP_1) | instskip(SKIP_4) | instid1(VALU_DEP_2)
	v_cmp_gt_i32_e32 vcc_lo, 32, v19
	s_wait_alu 0xfffd
	v_cndmask_b32_e32 v0, v0, v19, vcc_lo
	v_cmp_eq_u32_e32 vcc_lo, 31, v3
	s_wait_dscnt 0x4
	v_dual_add_f32 v0, v8, v1 :: v_dual_lshlrev_b32 v19, 2, v0
	s_wait_dscnt 0x3
	v_add_f32_e32 v8, v10, v15
	s_wait_dscnt 0x0
	v_dual_add_f32 v10, v12, v17 :: v_dual_add_f32 v1, v9, v14
	v_add_f32_e32 v9, v11, v16
	v_add_f32_e32 v11, v13, v18
	ds_bpermute_b32 v12, v19, v0
	ds_bpermute_b32 v14, v19, v8
	;; [unrolled: 1-line block ×6, first 2 shown]
	s_and_b32 exec_lo, exec_lo, vcc_lo
	s_cbranch_execz .LBB123_8
; %bb.24:
	s_wait_dscnt 0x3
	v_dual_add_f32 v12, v0, v12 :: v_dual_add_f32 v1, v1, v13
	s_load_b64 s[2:3], s[0:1], 0x50
	s_wait_dscnt 0x1
	v_dual_add_f32 v13, v8, v14 :: v_dual_add_f32 v14, v10, v16
	v_lshl_add_u32 v10, v2, 1, v2
	v_mul_f32_e64 v0, v1, -v7
	v_add_f32_e32 v3, v9, v15
	s_wait_dscnt 0x0
	v_add_f32_e32 v9, v11, v17
	v_mul_f32_e32 v1, v6, v1
	v_cmp_eq_f32_e32 vcc_lo, 0, v4
	v_fmac_f32_e32 v0, v6, v12
	v_mul_f32_e64 v2, v3, -v7
	v_mul_f32_e64 v8, v9, -v7
	v_mul_f32_e32 v3, v6, v3
	v_cmp_eq_f32_e64 s0, 0, v5
	s_delay_alu instid0(VALU_DEP_4) | instskip(NEXT) | instid1(VALU_DEP_4)
	v_dual_fmac_f32 v1, v7, v12 :: v_dual_fmac_f32 v2, v6, v13
	v_fmac_f32_e32 v8, v6, v14
	v_mul_f32_e32 v9, v6, v9
	v_ashrrev_i32_e32 v11, 31, v10
	v_fmac_f32_e32 v3, v7, v13
	s_and_b32 s0, vcc_lo, s0
	s_delay_alu instid0(VALU_DEP_3)
	v_fmac_f32_e32 v9, v7, v14
	s_wait_alu 0xfffe
	s_and_saveexec_b32 s1, s0
	s_wait_alu 0xfffe
	s_xor_b32 s0, exec_lo, s1
	s_cbranch_execz .LBB123_26
; %bb.25:
	v_lshlrev_b64_e32 v[4:5], 3, v[10:11]
                                        ; implicit-def: $vgpr10
	s_wait_kmcnt 0x0
	s_delay_alu instid0(VALU_DEP_1) | instskip(SKIP_1) | instid1(VALU_DEP_2)
	v_add_co_u32 v4, vcc_lo, s2, v4
	s_wait_alu 0xfffd
	v_add_co_ci_u32_e64 v5, null, s3, v5, vcc_lo
	s_clause 0x1
	global_store_b128 v[4:5], v[0:3], off
	global_store_b64 v[4:5], v[8:9], off offset:16
                                        ; implicit-def: $vgpr4_vgpr5
                                        ; implicit-def: $vgpr0
                                        ; implicit-def: $vgpr8
.LBB123_26:
	s_wait_alu 0xfffe
	s_and_not1_saveexec_b32 s0, s0
	s_cbranch_execz .LBB123_8
; %bb.27:
	v_lshlrev_b64_e32 v[6:7], 3, v[10:11]
	s_wait_kmcnt 0x0
	s_delay_alu instid0(VALU_DEP_1) | instskip(SKIP_1) | instid1(VALU_DEP_2)
	v_add_co_u32 v6, vcc_lo, s2, v6
	s_wait_alu 0xfffd
	v_add_co_ci_u32_e64 v7, null, s3, v7, vcc_lo
	s_clause 0x1
	global_load_b128 v[10:13], v[6:7], off
	global_load_b64 v[14:15], v[6:7], off offset:16
	s_wait_loadcnt 0x1
	v_dual_fmac_f32 v0, v4, v10 :: v_dual_fmac_f32 v3, v5, v12
	v_dual_fmac_f32 v1, v5, v10 :: v_dual_fmac_f32 v2, v4, v12
	s_wait_loadcnt 0x0
	v_fmac_f32_e32 v8, v4, v14
	v_fmac_f32_e32 v9, v5, v14
	v_fma_f32 v0, -v5, v11, v0
	v_fmac_f32_e32 v1, v4, v11
	v_fma_f32 v2, -v5, v13, v2
	;; [unrolled: 2-line block ×3, first 2 shown]
	v_fmac_f32_e32 v9, v4, v15
	s_clause 0x1
	global_store_b128 v[6:7], v[0:3], off
	global_store_b64 v[6:7], v[8:9], off offset:16
	s_endpgm
	.section	.rodata,"a",@progbits
	.p2align	6, 0x0
	.amdhsa_kernel _ZN9rocsparseL18bsrxmvn_3x3_kernelILj256ELj32E21rocsparse_complex_numIfEiifS2_S2_EEvT3_20rocsparse_direction_NS_24const_host_device_scalarIT1_EES3_PKS3_PKT2_SC_S9_PKT4_PKT5_S7_PT6_21rocsparse_index_base_b
		.amdhsa_group_segment_fixed_size 0
		.amdhsa_private_segment_fixed_size 0
		.amdhsa_kernarg_size 96
		.amdhsa_user_sgpr_count 2
		.amdhsa_user_sgpr_dispatch_ptr 0
		.amdhsa_user_sgpr_queue_ptr 0
		.amdhsa_user_sgpr_kernarg_segment_ptr 1
		.amdhsa_user_sgpr_dispatch_id 0
		.amdhsa_user_sgpr_private_segment_size 0
		.amdhsa_wavefront_size32 1
		.amdhsa_uses_dynamic_stack 0
		.amdhsa_enable_private_segment 0
		.amdhsa_system_sgpr_workgroup_id_x 1
		.amdhsa_system_sgpr_workgroup_id_y 0
		.amdhsa_system_sgpr_workgroup_id_z 0
		.amdhsa_system_sgpr_workgroup_info 0
		.amdhsa_system_vgpr_workitem_id 0
		.amdhsa_next_free_vgpr 35
		.amdhsa_next_free_sgpr 14
		.amdhsa_reserve_vcc 1
		.amdhsa_float_round_mode_32 0
		.amdhsa_float_round_mode_16_64 0
		.amdhsa_float_denorm_mode_32 3
		.amdhsa_float_denorm_mode_16_64 3
		.amdhsa_fp16_overflow 0
		.amdhsa_workgroup_processor_mode 1
		.amdhsa_memory_ordered 1
		.amdhsa_forward_progress 1
		.amdhsa_inst_pref_size 21
		.amdhsa_round_robin_scheduling 0
		.amdhsa_exception_fp_ieee_invalid_op 0
		.amdhsa_exception_fp_denorm_src 0
		.amdhsa_exception_fp_ieee_div_zero 0
		.amdhsa_exception_fp_ieee_overflow 0
		.amdhsa_exception_fp_ieee_underflow 0
		.amdhsa_exception_fp_ieee_inexact 0
		.amdhsa_exception_int_div_zero 0
	.end_amdhsa_kernel
	.section	.text._ZN9rocsparseL18bsrxmvn_3x3_kernelILj256ELj32E21rocsparse_complex_numIfEiifS2_S2_EEvT3_20rocsparse_direction_NS_24const_host_device_scalarIT1_EES3_PKS3_PKT2_SC_S9_PKT4_PKT5_S7_PT6_21rocsparse_index_base_b,"axG",@progbits,_ZN9rocsparseL18bsrxmvn_3x3_kernelILj256ELj32E21rocsparse_complex_numIfEiifS2_S2_EEvT3_20rocsparse_direction_NS_24const_host_device_scalarIT1_EES3_PKS3_PKT2_SC_S9_PKT4_PKT5_S7_PT6_21rocsparse_index_base_b,comdat
.Lfunc_end123:
	.size	_ZN9rocsparseL18bsrxmvn_3x3_kernelILj256ELj32E21rocsparse_complex_numIfEiifS2_S2_EEvT3_20rocsparse_direction_NS_24const_host_device_scalarIT1_EES3_PKS3_PKT2_SC_S9_PKT4_PKT5_S7_PT6_21rocsparse_index_base_b, .Lfunc_end123-_ZN9rocsparseL18bsrxmvn_3x3_kernelILj256ELj32E21rocsparse_complex_numIfEiifS2_S2_EEvT3_20rocsparse_direction_NS_24const_host_device_scalarIT1_EES3_PKS3_PKT2_SC_S9_PKT4_PKT5_S7_PT6_21rocsparse_index_base_b
                                        ; -- End function
	.set _ZN9rocsparseL18bsrxmvn_3x3_kernelILj256ELj32E21rocsparse_complex_numIfEiifS2_S2_EEvT3_20rocsparse_direction_NS_24const_host_device_scalarIT1_EES3_PKS3_PKT2_SC_S9_PKT4_PKT5_S7_PT6_21rocsparse_index_base_b.num_vgpr, 35
	.set _ZN9rocsparseL18bsrxmvn_3x3_kernelILj256ELj32E21rocsparse_complex_numIfEiifS2_S2_EEvT3_20rocsparse_direction_NS_24const_host_device_scalarIT1_EES3_PKS3_PKT2_SC_S9_PKT4_PKT5_S7_PT6_21rocsparse_index_base_b.num_agpr, 0
	.set _ZN9rocsparseL18bsrxmvn_3x3_kernelILj256ELj32E21rocsparse_complex_numIfEiifS2_S2_EEvT3_20rocsparse_direction_NS_24const_host_device_scalarIT1_EES3_PKS3_PKT2_SC_S9_PKT4_PKT5_S7_PT6_21rocsparse_index_base_b.numbered_sgpr, 14
	.set _ZN9rocsparseL18bsrxmvn_3x3_kernelILj256ELj32E21rocsparse_complex_numIfEiifS2_S2_EEvT3_20rocsparse_direction_NS_24const_host_device_scalarIT1_EES3_PKS3_PKT2_SC_S9_PKT4_PKT5_S7_PT6_21rocsparse_index_base_b.num_named_barrier, 0
	.set _ZN9rocsparseL18bsrxmvn_3x3_kernelILj256ELj32E21rocsparse_complex_numIfEiifS2_S2_EEvT3_20rocsparse_direction_NS_24const_host_device_scalarIT1_EES3_PKS3_PKT2_SC_S9_PKT4_PKT5_S7_PT6_21rocsparse_index_base_b.private_seg_size, 0
	.set _ZN9rocsparseL18bsrxmvn_3x3_kernelILj256ELj32E21rocsparse_complex_numIfEiifS2_S2_EEvT3_20rocsparse_direction_NS_24const_host_device_scalarIT1_EES3_PKS3_PKT2_SC_S9_PKT4_PKT5_S7_PT6_21rocsparse_index_base_b.uses_vcc, 1
	.set _ZN9rocsparseL18bsrxmvn_3x3_kernelILj256ELj32E21rocsparse_complex_numIfEiifS2_S2_EEvT3_20rocsparse_direction_NS_24const_host_device_scalarIT1_EES3_PKS3_PKT2_SC_S9_PKT4_PKT5_S7_PT6_21rocsparse_index_base_b.uses_flat_scratch, 0
	.set _ZN9rocsparseL18bsrxmvn_3x3_kernelILj256ELj32E21rocsparse_complex_numIfEiifS2_S2_EEvT3_20rocsparse_direction_NS_24const_host_device_scalarIT1_EES3_PKS3_PKT2_SC_S9_PKT4_PKT5_S7_PT6_21rocsparse_index_base_b.has_dyn_sized_stack, 0
	.set _ZN9rocsparseL18bsrxmvn_3x3_kernelILj256ELj32E21rocsparse_complex_numIfEiifS2_S2_EEvT3_20rocsparse_direction_NS_24const_host_device_scalarIT1_EES3_PKS3_PKT2_SC_S9_PKT4_PKT5_S7_PT6_21rocsparse_index_base_b.has_recursion, 0
	.set _ZN9rocsparseL18bsrxmvn_3x3_kernelILj256ELj32E21rocsparse_complex_numIfEiifS2_S2_EEvT3_20rocsparse_direction_NS_24const_host_device_scalarIT1_EES3_PKS3_PKT2_SC_S9_PKT4_PKT5_S7_PT6_21rocsparse_index_base_b.has_indirect_call, 0
	.section	.AMDGPU.csdata,"",@progbits
; Kernel info:
; codeLenInByte = 2624
; TotalNumSgprs: 16
; NumVgprs: 35
; ScratchSize: 0
; MemoryBound: 0
; FloatMode: 240
; IeeeMode: 1
; LDSByteSize: 0 bytes/workgroup (compile time only)
; SGPRBlocks: 0
; VGPRBlocks: 4
; NumSGPRsForWavesPerEU: 16
; NumVGPRsForWavesPerEU: 35
; Occupancy: 16
; WaveLimiterHint : 1
; COMPUTE_PGM_RSRC2:SCRATCH_EN: 0
; COMPUTE_PGM_RSRC2:USER_SGPR: 2
; COMPUTE_PGM_RSRC2:TRAP_HANDLER: 0
; COMPUTE_PGM_RSRC2:TGID_X_EN: 1
; COMPUTE_PGM_RSRC2:TGID_Y_EN: 0
; COMPUTE_PGM_RSRC2:TGID_Z_EN: 0
; COMPUTE_PGM_RSRC2:TIDIG_COMP_CNT: 0
	.section	.text._ZN9rocsparseL18bsrxmvn_3x3_kernelILj256ELj64E21rocsparse_complex_numIfEiifS2_S2_EEvT3_20rocsparse_direction_NS_24const_host_device_scalarIT1_EES3_PKS3_PKT2_SC_S9_PKT4_PKT5_S7_PT6_21rocsparse_index_base_b,"axG",@progbits,_ZN9rocsparseL18bsrxmvn_3x3_kernelILj256ELj64E21rocsparse_complex_numIfEiifS2_S2_EEvT3_20rocsparse_direction_NS_24const_host_device_scalarIT1_EES3_PKS3_PKT2_SC_S9_PKT4_PKT5_S7_PT6_21rocsparse_index_base_b,comdat
	.globl	_ZN9rocsparseL18bsrxmvn_3x3_kernelILj256ELj64E21rocsparse_complex_numIfEiifS2_S2_EEvT3_20rocsparse_direction_NS_24const_host_device_scalarIT1_EES3_PKS3_PKT2_SC_S9_PKT4_PKT5_S7_PT6_21rocsparse_index_base_b ; -- Begin function _ZN9rocsparseL18bsrxmvn_3x3_kernelILj256ELj64E21rocsparse_complex_numIfEiifS2_S2_EEvT3_20rocsparse_direction_NS_24const_host_device_scalarIT1_EES3_PKS3_PKT2_SC_S9_PKT4_PKT5_S7_PT6_21rocsparse_index_base_b
	.p2align	8
	.type	_ZN9rocsparseL18bsrxmvn_3x3_kernelILj256ELj64E21rocsparse_complex_numIfEiifS2_S2_EEvT3_20rocsparse_direction_NS_24const_host_device_scalarIT1_EES3_PKS3_PKT2_SC_S9_PKT4_PKT5_S7_PT6_21rocsparse_index_base_b,@function
_ZN9rocsparseL18bsrxmvn_3x3_kernelILj256ELj64E21rocsparse_complex_numIfEiifS2_S2_EEvT3_20rocsparse_direction_NS_24const_host_device_scalarIT1_EES3_PKS3_PKT2_SC_S9_PKT4_PKT5_S7_PT6_21rocsparse_index_base_b: ; @_ZN9rocsparseL18bsrxmvn_3x3_kernelILj256ELj64E21rocsparse_complex_numIfEiifS2_S2_EEvT3_20rocsparse_direction_NS_24const_host_device_scalarIT1_EES3_PKS3_PKT2_SC_S9_PKT4_PKT5_S7_PT6_21rocsparse_index_base_b
; %bb.0:
	s_clause 0x2
	s_load_b64 s[12:13], s[0:1], 0x58
	s_load_b64 s[2:3], s[0:1], 0x8
	;; [unrolled: 1-line block ×3, first 2 shown]
	s_add_nc_u64 s[6:7], s[0:1], 8
	s_wait_kmcnt 0x0
	s_bitcmp1_b32 s13, 0
	s_cselect_b32 s2, s6, s2
	s_cselect_b32 s3, s7, s3
	s_delay_alu instid0(SALU_CYCLE_1)
	v_dual_mov_b32 v1, s2 :: v_dual_mov_b32 v2, s3
	s_add_nc_u64 s[2:3], s[0:1], 0x48
	s_wait_alu 0xfffe
	s_cselect_b32 s2, s2, s4
	s_cselect_b32 s3, s3, s5
	flat_load_b64 v[6:7], v[1:2]
	s_wait_alu 0xfffe
	v_dual_mov_b32 v1, s2 :: v_dual_mov_b32 v2, s3
	flat_load_b64 v[4:5], v[1:2]
	s_wait_loadcnt_dscnt 0x101
	v_cmp_eq_f32_e32 vcc_lo, 0, v6
	v_cmp_eq_f32_e64 s2, 0, v7
	s_and_b32 s4, vcc_lo, s2
	s_mov_b32 s2, -1
	s_and_saveexec_b32 s3, s4
	s_cbranch_execz .LBB124_2
; %bb.1:
	s_wait_loadcnt_dscnt 0x0
	v_cmp_neq_f32_e32 vcc_lo, 1.0, v4
	v_cmp_neq_f32_e64 s2, 0, v5
	s_wait_alu 0xfffe
	s_or_b32 s2, vcc_lo, s2
	s_wait_alu 0xfffe
	s_or_not1_b32 s2, s2, exec_lo
.LBB124_2:
	s_wait_alu 0xfffe
	s_or_b32 exec_lo, exec_lo, s3
	s_and_saveexec_b32 s3, s2
	s_cbranch_execz .LBB124_8
; %bb.3:
	s_clause 0x1
	s_load_b64 s[4:5], s[0:1], 0x18
	s_load_b64 s[2:3], s[0:1], 0x0
	v_lshrrev_b32_e32 v1, 6, v0
	s_delay_alu instid0(VALU_DEP_1)
	v_lshl_or_b32 v2, ttmp9, 2, v1
	s_wait_kmcnt 0x0
	s_cmp_lg_u64 s[4:5], 0
	s_cbranch_scc0 .LBB124_9
; %bb.4:
	s_load_b32 s6, s[0:1], 0x10
	s_mov_b32 s7, 0
                                        ; implicit-def: $vgpr1
	s_wait_kmcnt 0x0
	v_cmp_gt_i32_e32 vcc_lo, s6, v2
	s_mov_b32 s6, 0
	s_and_saveexec_b32 s8, vcc_lo
	s_delay_alu instid0(SALU_CYCLE_1)
	s_xor_b32 s8, exec_lo, s8
	s_cbranch_execz .LBB124_6
; %bb.5:
	v_ashrrev_i32_e32 v3, 31, v2
	s_mov_b32 s6, exec_lo
	s_delay_alu instid0(VALU_DEP_1) | instskip(NEXT) | instid1(VALU_DEP_1)
	v_lshlrev_b64_e32 v[8:9], 2, v[2:3]
	v_add_co_u32 v8, vcc_lo, s4, v8
	s_delay_alu instid0(VALU_DEP_1)
	v_add_co_ci_u32_e64 v9, null, s5, v9, vcc_lo
	global_load_b32 v1, v[8:9], off
	s_wait_loadcnt 0x0
	v_subrev_nc_u32_e32 v1, s12, v1
.LBB124_6:
	s_or_b32 exec_lo, exec_lo, s8
	s_delay_alu instid0(SALU_CYCLE_1)
	s_and_b32 vcc_lo, exec_lo, s7
	s_wait_alu 0xfffe
	s_cbranch_vccz .LBB124_10
.LBB124_7:
	v_cmp_gt_i32_e32 vcc_lo, s2, v2
	s_and_not1_b32 s2, s6, exec_lo
	s_and_b32 s4, vcc_lo, exec_lo
	s_wait_alu 0xfffe
	s_or_b32 s6, s2, s4
	s_wait_alu 0xfffe
	s_and_b32 exec_lo, exec_lo, s6
	s_cbranch_execnz .LBB124_11
.LBB124_8:
	s_endpgm
.LBB124_9:
	s_mov_b32 s6, 0
                                        ; implicit-def: $vgpr1
	s_cbranch_execnz .LBB124_7
.LBB124_10:
	v_mov_b32_e32 v2, v1
	s_and_b32 exec_lo, exec_lo, s6
	s_cbranch_execz .LBB124_8
.LBB124_11:
	s_load_b256 s[4:11], s[0:1], 0x20
	s_delay_alu instid0(VALU_DEP_1) | instskip(NEXT) | instid1(VALU_DEP_1)
	v_ashrrev_i32_e32 v3, 31, v2
	v_lshlrev_b64_e32 v[8:9], 2, v[2:3]
	s_wait_kmcnt 0x0
	s_delay_alu instid0(VALU_DEP_1) | instskip(SKIP_1) | instid1(VALU_DEP_2)
	v_add_co_u32 v10, vcc_lo, s4, v8
	s_wait_alu 0xfffd
	v_add_co_ci_u32_e64 v11, null, s5, v9, vcc_lo
	v_add_co_u32 v1, vcc_lo, s6, v8
	s_wait_alu 0xfffd
	v_add_co_ci_u32_e64 v3, null, s7, v9, vcc_lo
	;; [unrolled: 3-line block ×3, first 2 shown]
	s_cmp_eq_u64 s[6:7], 0
	global_load_b32 v10, v[10:11], off
	s_cselect_b32 vcc_lo, -1, 0
	s_load_b64 s[4:5], s[0:1], 0x40
	v_dual_cndmask_b32 v9, v3, v9 :: v_dual_cndmask_b32 v8, v1, v8
	v_and_b32_e32 v3, 63, v0
	s_cmp_eq_u32 s3, 1
	global_load_b32 v1, v[8:9], off
	s_wait_loadcnt 0x1
	v_subrev_nc_u32_e32 v0, s12, v10
	s_delay_alu instid0(VALU_DEP_1) | instskip(SKIP_2) | instid1(VALU_DEP_2)
	v_add_nc_u32_e32 v0, v0, v3
	s_wait_loadcnt 0x0
	v_subrev_nc_u32_e32 v20, s12, v1
	v_mad_co_i64_i32 v[8:9], null, v0, 36, s[10:11]
	s_delay_alu instid0(VALU_DEP_2)
	v_cmp_lt_i32_e64 s2, v0, v20
	s_cbranch_scc1 .LBB124_17
; %bb.12:
	v_dual_mov_b32 v14, 0 :: v_dual_mov_b32 v15, 0
	v_dual_mov_b32 v16, 0 :: v_dual_mov_b32 v17, 0
	v_dual_mov_b32 v18, 0 :: v_dual_mov_b32 v19, 0
	s_and_saveexec_b32 s3, s2
	s_cbranch_execz .LBB124_16
; %bb.13:
	v_dual_mov_b32 v14, 0 :: v_dual_mov_b32 v13, v9
	v_dual_mov_b32 v10, v0 :: v_dual_mov_b32 v15, 0
	;; [unrolled: 1-line block ×4, first 2 shown]
	v_mov_b32_e32 v18, 0
	s_mov_b32 s6, 0
.LBB124_14:                             ; =>This Inner Loop Header: Depth=1
	v_ashrrev_i32_e32 v11, 31, v10
	s_delay_alu instid0(VALU_DEP_1) | instskip(NEXT) | instid1(VALU_DEP_1)
	v_lshlrev_b64_e32 v[21:22], 2, v[10:11]
	v_add_co_u32 v21, vcc_lo, s8, v21
	s_wait_alu 0xfffd
	s_delay_alu instid0(VALU_DEP_2)
	v_add_co_ci_u32_e64 v22, null, s9, v22, vcc_lo
	global_load_b32 v1, v[21:22], off
	s_clause 0x1
	global_load_b128 v[21:24], v[12:13], off offset:16
	global_load_b128 v[25:28], v[12:13], off
	s_wait_loadcnt 0x2
	v_subrev_nc_u32_e32 v1, s12, v1
	s_delay_alu instid0(VALU_DEP_1) | instskip(NEXT) | instid1(VALU_DEP_1)
	v_lshl_add_u32 v29, v1, 1, v1
	v_ashrrev_i32_e32 v30, 31, v29
	s_delay_alu instid0(VALU_DEP_1) | instskip(SKIP_1) | instid1(VALU_DEP_1)
	v_lshlrev_b64_e32 v[29:30], 3, v[29:30]
	s_wait_kmcnt 0x0
	v_add_co_u32 v33, vcc_lo, s4, v29
	s_wait_alu 0xfffd
	s_delay_alu instid0(VALU_DEP_2)
	v_add_co_ci_u32_e64 v34, null, s5, v30, vcc_lo
	s_clause 0x1
	global_load_b128 v[29:32], v[33:34], off
	global_load_b64 v[33:34], v[33:34], off offset:16
	global_load_b32 v1, v[12:13], off offset:32
	v_add_nc_u32_e32 v10, 64, v10
	v_add_co_u32 v12, vcc_lo, 0x900, v12
	s_wait_alu 0xfffd
	v_add_co_ci_u32_e64 v13, null, 0, v13, vcc_lo
	s_wait_loadcnt 0x2
	v_fmac_f32_e32 v15, v25, v29
	v_fmac_f32_e32 v14, 0, v29
	v_cmp_ge_i32_e32 vcc_lo, v10, v20
	s_delay_alu instid0(VALU_DEP_3) | instskip(NEXT) | instid1(VALU_DEP_3)
	v_fmac_f32_e32 v15, 0x80000000, v30
	v_dual_fmac_f32 v17, v28, v29 :: v_dual_fmac_f32 v14, v25, v30
	v_fmac_f32_e32 v16, 0, v29
	s_wait_alu 0xfffe
	s_or_b32 s6, vcc_lo, s6
	v_fmac_f32_e32 v15, v26, v31
	v_fmac_f32_e32 v17, 0x80000000, v30
	v_dual_fmac_f32 v19, v23, v29 :: v_dual_fmac_f32 v16, v28, v30
	v_fmac_f32_e32 v18, 0, v29
	s_delay_alu instid0(VALU_DEP_4) | instskip(NEXT) | instid1(VALU_DEP_3)
	v_dual_fmac_f32 v14, 0, v31 :: v_dual_fmac_f32 v15, 0x80000000, v32
	v_fmac_f32_e32 v19, 0x80000000, v30
	s_delay_alu instid0(VALU_DEP_3) | instskip(NEXT) | instid1(VALU_DEP_3)
	v_dual_fmac_f32 v17, v21, v31 :: v_dual_fmac_f32 v18, v23, v30
	v_fmac_f32_e32 v14, v26, v32
	s_wait_loadcnt 0x1
	v_dual_fmac_f32 v16, 0, v31 :: v_dual_fmac_f32 v15, v27, v33
	s_delay_alu instid0(VALU_DEP_3) | instskip(NEXT) | instid1(VALU_DEP_3)
	v_fmac_f32_e32 v17, 0x80000000, v32
	v_dual_fmac_f32 v19, v24, v31 :: v_dual_fmac_f32 v14, 0, v33
	s_delay_alu instid0(VALU_DEP_3) | instskip(NEXT) | instid1(VALU_DEP_4)
	v_fmac_f32_e32 v16, v21, v32
	v_dual_fmac_f32 v18, 0, v31 :: v_dual_fmac_f32 v15, 0x80000000, v34
	s_delay_alu instid0(VALU_DEP_3) | instskip(NEXT) | instid1(VALU_DEP_4)
	v_fmac_f32_e32 v19, 0x80000000, v32
	v_dual_fmac_f32 v17, v22, v33 :: v_dual_fmac_f32 v14, v27, v34
	s_delay_alu instid0(VALU_DEP_3) | instskip(NEXT) | instid1(VALU_DEP_2)
	v_fmac_f32_e32 v18, v24, v32
	v_dual_fmac_f32 v16, 0, v33 :: v_dual_fmac_f32 v17, 0x80000000, v34
	s_wait_loadcnt 0x0
	s_delay_alu instid0(VALU_DEP_1) | instskip(NEXT) | instid1(VALU_DEP_1)
	v_dual_fmac_f32 v19, v1, v33 :: v_dual_fmac_f32 v16, v22, v34
	v_dual_fmac_f32 v18, 0, v33 :: v_dual_fmac_f32 v19, 0x80000000, v34
	s_delay_alu instid0(VALU_DEP_1)
	v_fmac_f32_e32 v18, v1, v34
	s_wait_alu 0xfffe
	s_and_not1_b32 exec_lo, exec_lo, s6
	s_cbranch_execnz .LBB124_14
; %bb.15:
	s_or_b32 exec_lo, exec_lo, s6
.LBB124_16:
	s_wait_alu 0xfffe
	s_or_b32 exec_lo, exec_lo, s3
	s_cbranch_execz .LBB124_18
	s_branch .LBB124_23
.LBB124_17:
                                        ; implicit-def: $vgpr14
                                        ; implicit-def: $vgpr15
                                        ; implicit-def: $vgpr16
                                        ; implicit-def: $vgpr17
                                        ; implicit-def: $vgpr18
                                        ; implicit-def: $vgpr19
.LBB124_18:
	v_dual_mov_b32 v14, 0 :: v_dual_mov_b32 v15, 0
	v_dual_mov_b32 v16, 0 :: v_dual_mov_b32 v17, 0
	;; [unrolled: 1-line block ×3, first 2 shown]
	s_and_saveexec_b32 s3, s2
	s_cbranch_execz .LBB124_22
; %bb.19:
	v_dual_mov_b32 v14, 0 :: v_dual_mov_b32 v15, 0
	v_dual_mov_b32 v16, 0 :: v_dual_mov_b32 v17, 0
	;; [unrolled: 1-line block ×3, first 2 shown]
	s_mov_b32 s2, 0
.LBB124_20:                             ; =>This Inner Loop Header: Depth=1
	v_ashrrev_i32_e32 v1, 31, v0
	s_delay_alu instid0(VALU_DEP_1) | instskip(NEXT) | instid1(VALU_DEP_1)
	v_lshlrev_b64_e32 v[10:11], 2, v[0:1]
	v_add_co_u32 v10, vcc_lo, s8, v10
	s_wait_alu 0xfffd
	s_delay_alu instid0(VALU_DEP_2)
	v_add_co_ci_u32_e64 v11, null, s9, v11, vcc_lo
	global_load_b32 v1, v[10:11], off
	s_clause 0x1
	global_load_b128 v[10:13], v[8:9], off offset:16
	global_load_b128 v[21:24], v[8:9], off
	s_wait_loadcnt 0x2
	v_subrev_nc_u32_e32 v1, s12, v1
	s_delay_alu instid0(VALU_DEP_1) | instskip(NEXT) | instid1(VALU_DEP_1)
	v_lshl_add_u32 v25, v1, 1, v1
	v_ashrrev_i32_e32 v26, 31, v25
	s_delay_alu instid0(VALU_DEP_1) | instskip(SKIP_1) | instid1(VALU_DEP_1)
	v_lshlrev_b64_e32 v[25:26], 3, v[25:26]
	s_wait_kmcnt 0x0
	v_add_co_u32 v29, vcc_lo, s4, v25
	s_wait_alu 0xfffd
	s_delay_alu instid0(VALU_DEP_2)
	v_add_co_ci_u32_e64 v30, null, s5, v26, vcc_lo
	s_clause 0x1
	global_load_b128 v[25:28], v[29:30], off
	global_load_b64 v[29:30], v[29:30], off offset:16
	global_load_b32 v1, v[8:9], off offset:32
	v_add_nc_u32_e32 v0, 64, v0
	v_add_co_u32 v8, vcc_lo, 0x900, v8
	s_wait_alu 0xfffd
	v_add_co_ci_u32_e64 v9, null, 0, v9, vcc_lo
	s_wait_loadcnt 0x2
	v_fmac_f32_e32 v15, v21, v25
	v_fmac_f32_e32 v14, 0, v25
	v_cmp_ge_i32_e32 vcc_lo, v0, v20
	s_delay_alu instid0(VALU_DEP_3) | instskip(NEXT) | instid1(VALU_DEP_3)
	v_fmac_f32_e32 v15, 0x80000000, v26
	v_dual_fmac_f32 v17, v22, v25 :: v_dual_fmac_f32 v14, v21, v26
	v_fmac_f32_e32 v16, 0, v25
	s_wait_alu 0xfffe
	s_or_b32 s2, vcc_lo, s2
	v_fmac_f32_e32 v15, v24, v27
	v_fmac_f32_e32 v17, 0x80000000, v26
	v_dual_fmac_f32 v19, v23, v25 :: v_dual_fmac_f32 v16, v22, v26
	v_fmac_f32_e32 v18, 0, v25
	s_delay_alu instid0(VALU_DEP_4) | instskip(NEXT) | instid1(VALU_DEP_3)
	v_dual_fmac_f32 v14, 0, v27 :: v_dual_fmac_f32 v15, 0x80000000, v28
	v_fmac_f32_e32 v19, 0x80000000, v26
	s_delay_alu instid0(VALU_DEP_3) | instskip(NEXT) | instid1(VALU_DEP_3)
	v_dual_fmac_f32 v17, v10, v27 :: v_dual_fmac_f32 v18, v23, v26
	v_fmac_f32_e32 v14, v24, v28
	s_wait_loadcnt 0x1
	v_dual_fmac_f32 v16, 0, v27 :: v_dual_fmac_f32 v15, v12, v29
	s_delay_alu instid0(VALU_DEP_3) | instskip(NEXT) | instid1(VALU_DEP_3)
	v_fmac_f32_e32 v17, 0x80000000, v28
	v_dual_fmac_f32 v19, v11, v27 :: v_dual_fmac_f32 v14, 0, v29
	s_delay_alu instid0(VALU_DEP_3) | instskip(NEXT) | instid1(VALU_DEP_4)
	v_fmac_f32_e32 v16, v10, v28
	v_dual_fmac_f32 v18, 0, v27 :: v_dual_fmac_f32 v15, 0x80000000, v30
	s_delay_alu instid0(VALU_DEP_3) | instskip(NEXT) | instid1(VALU_DEP_4)
	v_fmac_f32_e32 v19, 0x80000000, v28
	v_dual_fmac_f32 v17, v13, v29 :: v_dual_fmac_f32 v14, v12, v30
	s_delay_alu instid0(VALU_DEP_3) | instskip(SKIP_3) | instid1(VALU_DEP_3)
	v_fmac_f32_e32 v18, v11, v28
	v_fmac_f32_e32 v16, 0, v29
	s_wait_loadcnt 0x0
	v_fmac_f32_e32 v19, v1, v29
	v_dual_fmac_f32 v17, 0x80000000, v30 :: v_dual_fmac_f32 v18, 0, v29
	s_delay_alu instid0(VALU_DEP_3) | instskip(NEXT) | instid1(VALU_DEP_3)
	v_fmac_f32_e32 v16, v13, v30
	v_fmac_f32_e32 v19, 0x80000000, v30
	s_delay_alu instid0(VALU_DEP_3)
	v_fmac_f32_e32 v18, v1, v30
	s_wait_alu 0xfffe
	s_and_not1_b32 exec_lo, exec_lo, s2
	s_cbranch_execnz .LBB124_20
; %bb.21:
	s_or_b32 exec_lo, exec_lo, s2
.LBB124_22:
	s_wait_alu 0xfffe
	s_or_b32 exec_lo, exec_lo, s3
.LBB124_23:
	v_mbcnt_lo_u32_b32 v0, -1, 0
	s_delay_alu instid0(VALU_DEP_1) | instskip(SKIP_1) | instid1(VALU_DEP_2)
	v_or_b32_e32 v1, 32, v0
	v_xor_b32_e32 v13, 16, v0
	v_cmp_gt_i32_e32 vcc_lo, 32, v1
	s_wait_alu 0xfffd
	v_cndmask_b32_e32 v1, v0, v1, vcc_lo
	s_delay_alu instid0(VALU_DEP_3) | instskip(NEXT) | instid1(VALU_DEP_2)
	v_cmp_gt_i32_e32 vcc_lo, 32, v13
	v_lshlrev_b32_e32 v1, 2, v1
	ds_bpermute_b32 v10, v1, v17
	s_wait_dscnt 0x0
	v_add_f32_e32 v10, v17, v10
	ds_bpermute_b32 v8, v1, v15
	ds_bpermute_b32 v12, v1, v19
	;; [unrolled: 1-line block ×3, first 2 shown]
	s_wait_alu 0xfffd
	v_cndmask_b32_e32 v13, v0, v13, vcc_lo
	ds_bpermute_b32 v11, v1, v16
	ds_bpermute_b32 v1, v1, v18
	s_wait_dscnt 0x4
	v_add_f32_e32 v8, v15, v8
	s_wait_dscnt 0x3
	v_dual_add_f32 v12, v19, v12 :: v_dual_lshlrev_b32 v13, 2, v13
	s_wait_dscnt 0x2
	v_add_f32_e32 v9, v14, v9
	s_wait_dscnt 0x1
	v_add_f32_e32 v11, v16, v11
	;; [unrolled: 2-line block ×3, first 2 shown]
	v_xor_b32_e32 v19, 8, v0
	ds_bpermute_b32 v14, v13, v8
	v_cmp_gt_i32_e32 vcc_lo, 32, v19
	s_wait_alu 0xfffd
	v_cndmask_b32_e32 v19, v0, v19, vcc_lo
	s_wait_dscnt 0x0
	v_add_f32_e32 v8, v8, v14
	ds_bpermute_b32 v16, v13, v10
	ds_bpermute_b32 v18, v13, v12
	s_wait_dscnt 0x1
	v_dual_add_f32 v10, v10, v16 :: v_dual_lshlrev_b32 v19, 2, v19
	ds_bpermute_b32 v17, v13, v11
	s_wait_dscnt 0x1
	v_add_f32_e32 v12, v12, v18
	ds_bpermute_b32 v15, v13, v9
	ds_bpermute_b32 v13, v13, v1
	s_wait_dscnt 0x2
	v_add_f32_e32 v11, v11, v17
	s_wait_dscnt 0x0
	v_add_f32_e32 v1, v1, v13
	ds_bpermute_b32 v13, v19, v8
	s_wait_dscnt 0x0
	v_add_f32_e32 v8, v8, v13
	ds_bpermute_b32 v17, v19, v12
	v_add_f32_e32 v9, v9, v15
	ds_bpermute_b32 v15, v19, v10
	ds_bpermute_b32 v18, v19, v1
	s_wait_dscnt 0x2
	v_add_f32_e32 v12, v12, v17
	ds_bpermute_b32 v14, v19, v9
	s_wait_dscnt 0x2
	v_add_f32_e32 v10, v10, v15
	ds_bpermute_b32 v16, v19, v11
	v_xor_b32_e32 v19, 4, v0
	s_delay_alu instid0(VALU_DEP_1) | instskip(SKIP_2) | instid1(VALU_DEP_1)
	v_cmp_gt_i32_e32 vcc_lo, 32, v19
	s_wait_alu 0xfffd
	v_cndmask_b32_e32 v19, v0, v19, vcc_lo
	v_lshlrev_b32_e32 v19, 2, v19
	ds_bpermute_b32 v13, v19, v8
	s_wait_dscnt 0x0
	v_add_f32_e32 v8, v8, v13
	ds_bpermute_b32 v15, v19, v10
	ds_bpermute_b32 v17, v19, v12
	v_add_f32_e32 v9, v9, v14
	v_add_f32_e32 v11, v11, v16
	ds_bpermute_b32 v16, v19, v11
	s_wait_dscnt 0x2
	v_dual_add_f32 v10, v10, v15 :: v_dual_add_f32 v1, v1, v18
	s_wait_dscnt 0x1
	v_add_f32_e32 v12, v12, v17
	ds_bpermute_b32 v14, v19, v9
	ds_bpermute_b32 v18, v19, v1
	v_xor_b32_e32 v19, 2, v0
	s_wait_dscnt 0x2
	v_add_f32_e32 v11, v11, v16
	s_delay_alu instid0(VALU_DEP_2) | instskip(SKIP_2) | instid1(VALU_DEP_1)
	v_cmp_gt_i32_e32 vcc_lo, 32, v19
	s_wait_alu 0xfffd
	v_cndmask_b32_e32 v19, v0, v19, vcc_lo
	v_lshlrev_b32_e32 v19, 2, v19
	s_wait_dscnt 0x1
	v_add_f32_e32 v9, v9, v14
	s_wait_dscnt 0x0
	v_add_f32_e32 v13, v1, v18
	ds_bpermute_b32 v1, v19, v8
	ds_bpermute_b32 v14, v19, v9
	;; [unrolled: 1-line block ×6, first 2 shown]
	v_xor_b32_e32 v19, 1, v0
	s_delay_alu instid0(VALU_DEP_1) | instskip(SKIP_4) | instid1(VALU_DEP_2)
	v_cmp_gt_i32_e32 vcc_lo, 32, v19
	s_wait_alu 0xfffd
	v_cndmask_b32_e32 v0, v0, v19, vcc_lo
	v_cmp_eq_u32_e32 vcc_lo, 63, v3
	s_wait_dscnt 0x5
	v_dual_add_f32 v0, v8, v1 :: v_dual_lshlrev_b32 v19, 2, v0
	s_wait_dscnt 0x3
	v_dual_add_f32 v1, v9, v14 :: v_dual_add_f32 v8, v10, v15
	s_wait_dscnt 0x1
	v_dual_add_f32 v9, v11, v16 :: v_dual_add_f32 v10, v12, v17
	s_wait_dscnt 0x0
	v_add_f32_e32 v11, v13, v18
	ds_bpermute_b32 v12, v19, v0
	ds_bpermute_b32 v13, v19, v1
	;; [unrolled: 1-line block ×6, first 2 shown]
	s_and_b32 exec_lo, exec_lo, vcc_lo
	s_cbranch_execz .LBB124_8
; %bb.24:
	s_wait_dscnt 0x4
	v_dual_add_f32 v12, v0, v12 :: v_dual_add_f32 v1, v1, v13
	s_load_b64 s[2:3], s[0:1], 0x50
	s_wait_dscnt 0x1
	v_dual_add_f32 v13, v8, v14 :: v_dual_add_f32 v14, v10, v16
	v_lshl_add_u32 v10, v2, 1, v2
	v_mul_f32_e64 v0, v1, -v7
	v_add_f32_e32 v3, v9, v15
	s_wait_dscnt 0x0
	v_add_f32_e32 v9, v11, v17
	v_mul_f32_e32 v1, v6, v1
	v_cmp_eq_f32_e32 vcc_lo, 0, v4
	v_fmac_f32_e32 v0, v6, v12
	v_mul_f32_e64 v2, v3, -v7
	v_mul_f32_e64 v8, v9, -v7
	v_mul_f32_e32 v3, v6, v3
	v_cmp_eq_f32_e64 s0, 0, v5
	s_delay_alu instid0(VALU_DEP_4) | instskip(NEXT) | instid1(VALU_DEP_4)
	v_dual_fmac_f32 v1, v7, v12 :: v_dual_fmac_f32 v2, v6, v13
	v_fmac_f32_e32 v8, v6, v14
	v_mul_f32_e32 v9, v6, v9
	v_ashrrev_i32_e32 v11, 31, v10
	v_fmac_f32_e32 v3, v7, v13
	s_and_b32 s0, vcc_lo, s0
	s_delay_alu instid0(VALU_DEP_3)
	v_fmac_f32_e32 v9, v7, v14
	s_wait_alu 0xfffe
	s_and_saveexec_b32 s1, s0
	s_wait_alu 0xfffe
	s_xor_b32 s0, exec_lo, s1
	s_cbranch_execz .LBB124_26
; %bb.25:
	v_lshlrev_b64_e32 v[4:5], 3, v[10:11]
                                        ; implicit-def: $vgpr10
	s_wait_kmcnt 0x0
	s_delay_alu instid0(VALU_DEP_1) | instskip(SKIP_1) | instid1(VALU_DEP_2)
	v_add_co_u32 v4, vcc_lo, s2, v4
	s_wait_alu 0xfffd
	v_add_co_ci_u32_e64 v5, null, s3, v5, vcc_lo
	s_clause 0x1
	global_store_b128 v[4:5], v[0:3], off
	global_store_b64 v[4:5], v[8:9], off offset:16
                                        ; implicit-def: $vgpr4_vgpr5
                                        ; implicit-def: $vgpr0
                                        ; implicit-def: $vgpr8
.LBB124_26:
	s_wait_alu 0xfffe
	s_and_not1_saveexec_b32 s0, s0
	s_cbranch_execz .LBB124_8
; %bb.27:
	v_lshlrev_b64_e32 v[6:7], 3, v[10:11]
	s_wait_kmcnt 0x0
	s_delay_alu instid0(VALU_DEP_1) | instskip(SKIP_1) | instid1(VALU_DEP_2)
	v_add_co_u32 v6, vcc_lo, s2, v6
	s_wait_alu 0xfffd
	v_add_co_ci_u32_e64 v7, null, s3, v7, vcc_lo
	s_clause 0x1
	global_load_b128 v[10:13], v[6:7], off
	global_load_b64 v[14:15], v[6:7], off offset:16
	s_wait_loadcnt 0x1
	v_dual_fmac_f32 v0, v4, v10 :: v_dual_fmac_f32 v3, v5, v12
	v_dual_fmac_f32 v1, v5, v10 :: v_dual_fmac_f32 v2, v4, v12
	s_wait_loadcnt 0x0
	v_fmac_f32_e32 v8, v4, v14
	v_fmac_f32_e32 v9, v5, v14
	v_fma_f32 v0, -v5, v11, v0
	v_fmac_f32_e32 v1, v4, v11
	v_fma_f32 v2, -v5, v13, v2
	;; [unrolled: 2-line block ×3, first 2 shown]
	v_fmac_f32_e32 v9, v4, v15
	s_clause 0x1
	global_store_b128 v[6:7], v[0:3], off
	global_store_b64 v[6:7], v[8:9], off offset:16
	s_endpgm
	.section	.rodata,"a",@progbits
	.p2align	6, 0x0
	.amdhsa_kernel _ZN9rocsparseL18bsrxmvn_3x3_kernelILj256ELj64E21rocsparse_complex_numIfEiifS2_S2_EEvT3_20rocsparse_direction_NS_24const_host_device_scalarIT1_EES3_PKS3_PKT2_SC_S9_PKT4_PKT5_S7_PT6_21rocsparse_index_base_b
		.amdhsa_group_segment_fixed_size 0
		.amdhsa_private_segment_fixed_size 0
		.amdhsa_kernarg_size 96
		.amdhsa_user_sgpr_count 2
		.amdhsa_user_sgpr_dispatch_ptr 0
		.amdhsa_user_sgpr_queue_ptr 0
		.amdhsa_user_sgpr_kernarg_segment_ptr 1
		.amdhsa_user_sgpr_dispatch_id 0
		.amdhsa_user_sgpr_private_segment_size 0
		.amdhsa_wavefront_size32 1
		.amdhsa_uses_dynamic_stack 0
		.amdhsa_enable_private_segment 0
		.amdhsa_system_sgpr_workgroup_id_x 1
		.amdhsa_system_sgpr_workgroup_id_y 0
		.amdhsa_system_sgpr_workgroup_id_z 0
		.amdhsa_system_sgpr_workgroup_info 0
		.amdhsa_system_vgpr_workitem_id 0
		.amdhsa_next_free_vgpr 35
		.amdhsa_next_free_sgpr 14
		.amdhsa_reserve_vcc 1
		.amdhsa_float_round_mode_32 0
		.amdhsa_float_round_mode_16_64 0
		.amdhsa_float_denorm_mode_32 3
		.amdhsa_float_denorm_mode_16_64 3
		.amdhsa_fp16_overflow 0
		.amdhsa_workgroup_processor_mode 1
		.amdhsa_memory_ordered 1
		.amdhsa_forward_progress 1
		.amdhsa_inst_pref_size 22
		.amdhsa_round_robin_scheduling 0
		.amdhsa_exception_fp_ieee_invalid_op 0
		.amdhsa_exception_fp_denorm_src 0
		.amdhsa_exception_fp_ieee_div_zero 0
		.amdhsa_exception_fp_ieee_overflow 0
		.amdhsa_exception_fp_ieee_underflow 0
		.amdhsa_exception_fp_ieee_inexact 0
		.amdhsa_exception_int_div_zero 0
	.end_amdhsa_kernel
	.section	.text._ZN9rocsparseL18bsrxmvn_3x3_kernelILj256ELj64E21rocsparse_complex_numIfEiifS2_S2_EEvT3_20rocsparse_direction_NS_24const_host_device_scalarIT1_EES3_PKS3_PKT2_SC_S9_PKT4_PKT5_S7_PT6_21rocsparse_index_base_b,"axG",@progbits,_ZN9rocsparseL18bsrxmvn_3x3_kernelILj256ELj64E21rocsparse_complex_numIfEiifS2_S2_EEvT3_20rocsparse_direction_NS_24const_host_device_scalarIT1_EES3_PKS3_PKT2_SC_S9_PKT4_PKT5_S7_PT6_21rocsparse_index_base_b,comdat
.Lfunc_end124:
	.size	_ZN9rocsparseL18bsrxmvn_3x3_kernelILj256ELj64E21rocsparse_complex_numIfEiifS2_S2_EEvT3_20rocsparse_direction_NS_24const_host_device_scalarIT1_EES3_PKS3_PKT2_SC_S9_PKT4_PKT5_S7_PT6_21rocsparse_index_base_b, .Lfunc_end124-_ZN9rocsparseL18bsrxmvn_3x3_kernelILj256ELj64E21rocsparse_complex_numIfEiifS2_S2_EEvT3_20rocsparse_direction_NS_24const_host_device_scalarIT1_EES3_PKS3_PKT2_SC_S9_PKT4_PKT5_S7_PT6_21rocsparse_index_base_b
                                        ; -- End function
	.set _ZN9rocsparseL18bsrxmvn_3x3_kernelILj256ELj64E21rocsparse_complex_numIfEiifS2_S2_EEvT3_20rocsparse_direction_NS_24const_host_device_scalarIT1_EES3_PKS3_PKT2_SC_S9_PKT4_PKT5_S7_PT6_21rocsparse_index_base_b.num_vgpr, 35
	.set _ZN9rocsparseL18bsrxmvn_3x3_kernelILj256ELj64E21rocsparse_complex_numIfEiifS2_S2_EEvT3_20rocsparse_direction_NS_24const_host_device_scalarIT1_EES3_PKS3_PKT2_SC_S9_PKT4_PKT5_S7_PT6_21rocsparse_index_base_b.num_agpr, 0
	.set _ZN9rocsparseL18bsrxmvn_3x3_kernelILj256ELj64E21rocsparse_complex_numIfEiifS2_S2_EEvT3_20rocsparse_direction_NS_24const_host_device_scalarIT1_EES3_PKS3_PKT2_SC_S9_PKT4_PKT5_S7_PT6_21rocsparse_index_base_b.numbered_sgpr, 14
	.set _ZN9rocsparseL18bsrxmvn_3x3_kernelILj256ELj64E21rocsparse_complex_numIfEiifS2_S2_EEvT3_20rocsparse_direction_NS_24const_host_device_scalarIT1_EES3_PKS3_PKT2_SC_S9_PKT4_PKT5_S7_PT6_21rocsparse_index_base_b.num_named_barrier, 0
	.set _ZN9rocsparseL18bsrxmvn_3x3_kernelILj256ELj64E21rocsparse_complex_numIfEiifS2_S2_EEvT3_20rocsparse_direction_NS_24const_host_device_scalarIT1_EES3_PKS3_PKT2_SC_S9_PKT4_PKT5_S7_PT6_21rocsparse_index_base_b.private_seg_size, 0
	.set _ZN9rocsparseL18bsrxmvn_3x3_kernelILj256ELj64E21rocsparse_complex_numIfEiifS2_S2_EEvT3_20rocsparse_direction_NS_24const_host_device_scalarIT1_EES3_PKS3_PKT2_SC_S9_PKT4_PKT5_S7_PT6_21rocsparse_index_base_b.uses_vcc, 1
	.set _ZN9rocsparseL18bsrxmvn_3x3_kernelILj256ELj64E21rocsparse_complex_numIfEiifS2_S2_EEvT3_20rocsparse_direction_NS_24const_host_device_scalarIT1_EES3_PKS3_PKT2_SC_S9_PKT4_PKT5_S7_PT6_21rocsparse_index_base_b.uses_flat_scratch, 0
	.set _ZN9rocsparseL18bsrxmvn_3x3_kernelILj256ELj64E21rocsparse_complex_numIfEiifS2_S2_EEvT3_20rocsparse_direction_NS_24const_host_device_scalarIT1_EES3_PKS3_PKT2_SC_S9_PKT4_PKT5_S7_PT6_21rocsparse_index_base_b.has_dyn_sized_stack, 0
	.set _ZN9rocsparseL18bsrxmvn_3x3_kernelILj256ELj64E21rocsparse_complex_numIfEiifS2_S2_EEvT3_20rocsparse_direction_NS_24const_host_device_scalarIT1_EES3_PKS3_PKT2_SC_S9_PKT4_PKT5_S7_PT6_21rocsparse_index_base_b.has_recursion, 0
	.set _ZN9rocsparseL18bsrxmvn_3x3_kernelILj256ELj64E21rocsparse_complex_numIfEiifS2_S2_EEvT3_20rocsparse_direction_NS_24const_host_device_scalarIT1_EES3_PKS3_PKT2_SC_S9_PKT4_PKT5_S7_PT6_21rocsparse_index_base_b.has_indirect_call, 0
	.section	.AMDGPU.csdata,"",@progbits
; Kernel info:
; codeLenInByte = 2740
; TotalNumSgprs: 16
; NumVgprs: 35
; ScratchSize: 0
; MemoryBound: 0
; FloatMode: 240
; IeeeMode: 1
; LDSByteSize: 0 bytes/workgroup (compile time only)
; SGPRBlocks: 0
; VGPRBlocks: 4
; NumSGPRsForWavesPerEU: 16
; NumVGPRsForWavesPerEU: 35
; Occupancy: 16
; WaveLimiterHint : 1
; COMPUTE_PGM_RSRC2:SCRATCH_EN: 0
; COMPUTE_PGM_RSRC2:USER_SGPR: 2
; COMPUTE_PGM_RSRC2:TRAP_HANDLER: 0
; COMPUTE_PGM_RSRC2:TGID_X_EN: 1
; COMPUTE_PGM_RSRC2:TGID_Y_EN: 0
; COMPUTE_PGM_RSRC2:TGID_Z_EN: 0
; COMPUTE_PGM_RSRC2:TIDIG_COMP_CNT: 0
	.section	.text._ZN9rocsparseL18bsrxmvn_3x3_kernelILj256ELj4E21rocsparse_complex_numIfElifS2_S2_EEvT3_20rocsparse_direction_NS_24const_host_device_scalarIT1_EES3_PKS3_PKT2_SC_S9_PKT4_PKT5_S7_PT6_21rocsparse_index_base_b,"axG",@progbits,_ZN9rocsparseL18bsrxmvn_3x3_kernelILj256ELj4E21rocsparse_complex_numIfElifS2_S2_EEvT3_20rocsparse_direction_NS_24const_host_device_scalarIT1_EES3_PKS3_PKT2_SC_S9_PKT4_PKT5_S7_PT6_21rocsparse_index_base_b,comdat
	.globl	_ZN9rocsparseL18bsrxmvn_3x3_kernelILj256ELj4E21rocsparse_complex_numIfElifS2_S2_EEvT3_20rocsparse_direction_NS_24const_host_device_scalarIT1_EES3_PKS3_PKT2_SC_S9_PKT4_PKT5_S7_PT6_21rocsparse_index_base_b ; -- Begin function _ZN9rocsparseL18bsrxmvn_3x3_kernelILj256ELj4E21rocsparse_complex_numIfElifS2_S2_EEvT3_20rocsparse_direction_NS_24const_host_device_scalarIT1_EES3_PKS3_PKT2_SC_S9_PKT4_PKT5_S7_PT6_21rocsparse_index_base_b
	.p2align	8
	.type	_ZN9rocsparseL18bsrxmvn_3x3_kernelILj256ELj4E21rocsparse_complex_numIfElifS2_S2_EEvT3_20rocsparse_direction_NS_24const_host_device_scalarIT1_EES3_PKS3_PKT2_SC_S9_PKT4_PKT5_S7_PT6_21rocsparse_index_base_b,@function
_ZN9rocsparseL18bsrxmvn_3x3_kernelILj256ELj4E21rocsparse_complex_numIfElifS2_S2_EEvT3_20rocsparse_direction_NS_24const_host_device_scalarIT1_EES3_PKS3_PKT2_SC_S9_PKT4_PKT5_S7_PT6_21rocsparse_index_base_b: ; @_ZN9rocsparseL18bsrxmvn_3x3_kernelILj256ELj4E21rocsparse_complex_numIfElifS2_S2_EEvT3_20rocsparse_direction_NS_24const_host_device_scalarIT1_EES3_PKS3_PKT2_SC_S9_PKT4_PKT5_S7_PT6_21rocsparse_index_base_b
; %bb.0:
	s_clause 0x2
	s_load_b64 s[12:13], s[0:1], 0x58
	s_load_b64 s[2:3], s[0:1], 0x8
	;; [unrolled: 1-line block ×3, first 2 shown]
	s_add_nc_u64 s[6:7], s[0:1], 8
	s_wait_kmcnt 0x0
	s_bitcmp1_b32 s13, 0
	s_cselect_b32 s2, s6, s2
	s_cselect_b32 s3, s7, s3
	s_delay_alu instid0(SALU_CYCLE_1)
	v_dual_mov_b32 v1, s2 :: v_dual_mov_b32 v2, s3
	s_add_nc_u64 s[2:3], s[0:1], 0x48
	s_wait_alu 0xfffe
	s_cselect_b32 s2, s2, s4
	s_cselect_b32 s3, s3, s5
	flat_load_b64 v[6:7], v[1:2]
	s_wait_alu 0xfffe
	v_dual_mov_b32 v1, s2 :: v_dual_mov_b32 v2, s3
	flat_load_b64 v[4:5], v[1:2]
	s_wait_loadcnt_dscnt 0x101
	v_cmp_eq_f32_e32 vcc_lo, 0, v6
	v_cmp_eq_f32_e64 s2, 0, v7
	s_and_b32 s4, vcc_lo, s2
	s_mov_b32 s2, -1
	s_and_saveexec_b32 s3, s4
	s_cbranch_execz .LBB125_2
; %bb.1:
	s_wait_loadcnt_dscnt 0x0
	v_cmp_neq_f32_e32 vcc_lo, 1.0, v4
	v_cmp_neq_f32_e64 s2, 0, v5
	s_wait_alu 0xfffe
	s_or_b32 s2, vcc_lo, s2
	s_wait_alu 0xfffe
	s_or_not1_b32 s2, s2, exec_lo
.LBB125_2:
	s_wait_alu 0xfffe
	s_or_b32 exec_lo, exec_lo, s3
	s_and_saveexec_b32 s3, s2
	s_cbranch_execz .LBB125_8
; %bb.3:
	s_clause 0x1
	s_load_b64 s[4:5], s[0:1], 0x18
	s_load_b64 s[2:3], s[0:1], 0x0
	v_lshrrev_b32_e32 v1, 2, v0
	s_delay_alu instid0(VALU_DEP_1)
	v_lshl_or_b32 v2, ttmp9, 6, v1
	s_wait_kmcnt 0x0
	s_cmp_lg_u64 s[4:5], 0
	s_cbranch_scc0 .LBB125_9
; %bb.4:
	s_load_b32 s6, s[0:1], 0x10
	s_mov_b32 s7, 0
                                        ; implicit-def: $vgpr1
	s_wait_kmcnt 0x0
	v_cmp_gt_i32_e32 vcc_lo, s6, v2
	s_mov_b32 s6, 0
	s_and_saveexec_b32 s8, vcc_lo
	s_delay_alu instid0(SALU_CYCLE_1)
	s_xor_b32 s8, exec_lo, s8
	s_cbranch_execz .LBB125_6
; %bb.5:
	v_ashrrev_i32_e32 v3, 31, v2
	s_mov_b32 s6, exec_lo
	s_delay_alu instid0(VALU_DEP_1) | instskip(NEXT) | instid1(VALU_DEP_1)
	v_lshlrev_b64_e32 v[8:9], 2, v[2:3]
	v_add_co_u32 v8, vcc_lo, s4, v8
	s_delay_alu instid0(VALU_DEP_1)
	v_add_co_ci_u32_e64 v9, null, s5, v9, vcc_lo
	global_load_b32 v1, v[8:9], off
	s_wait_loadcnt 0x0
	v_subrev_nc_u32_e32 v1, s12, v1
.LBB125_6:
	s_or_b32 exec_lo, exec_lo, s8
	s_delay_alu instid0(SALU_CYCLE_1)
	s_and_b32 vcc_lo, exec_lo, s7
	s_wait_alu 0xfffe
	s_cbranch_vccz .LBB125_10
.LBB125_7:
	v_cmp_gt_i32_e32 vcc_lo, s2, v2
	s_and_not1_b32 s2, s6, exec_lo
	s_and_b32 s4, vcc_lo, exec_lo
	s_wait_alu 0xfffe
	s_or_b32 s6, s2, s4
	s_wait_alu 0xfffe
	s_and_b32 exec_lo, exec_lo, s6
	s_cbranch_execnz .LBB125_11
.LBB125_8:
	s_endpgm
.LBB125_9:
	s_mov_b32 s6, 0
                                        ; implicit-def: $vgpr1
	s_cbranch_execnz .LBB125_7
.LBB125_10:
	v_mov_b32_e32 v2, v1
	s_and_b32 exec_lo, exec_lo, s6
	s_cbranch_execz .LBB125_8
.LBB125_11:
	s_load_b256 s[4:11], s[0:1], 0x20
	s_delay_alu instid0(VALU_DEP_1) | instskip(SKIP_1) | instid1(VALU_DEP_2)
	v_ashrrev_i32_e32 v3, 31, v2
	v_mov_b32_e32 v18, 0
	v_lshlrev_b64_e32 v[8:9], 3, v[2:3]
	s_wait_kmcnt 0x0
	s_delay_alu instid0(VALU_DEP_1) | instskip(SKIP_1) | instid1(VALU_DEP_2)
	v_add_co_u32 v10, vcc_lo, s4, v8
	s_wait_alu 0xfffd
	v_add_co_ci_u32_e64 v11, null, s5, v9, vcc_lo
	v_add_co_u32 v1, vcc_lo, s6, v8
	s_wait_alu 0xfffd
	v_add_co_ci_u32_e64 v3, null, s7, v9, vcc_lo
	global_load_b64 v[12:13], v[10:11], off
	v_add_co_u32 v8, vcc_lo, v10, 8
	s_wait_alu 0xfffd
	v_add_co_ci_u32_e64 v9, null, 0, v11, vcc_lo
	s_cmp_eq_u64 s[6:7], 0
	s_load_b64 s[4:5], s[0:1], 0x40
	s_cselect_b32 vcc_lo, -1, 0
	s_cmp_eq_u32 s3, 1
	s_wait_alu 0xfffe
	v_dual_cndmask_b32 v9, v3, v9 :: v_dual_cndmask_b32 v8, v1, v8
	v_and_b32_e32 v3, 3, v0
	global_load_b64 v[10:11], v[8:9], off
	s_wait_loadcnt 0x1
	v_sub_co_u32 v0, vcc_lo, v12, s12
	s_wait_alu 0xfffd
	v_subrev_co_ci_u32_e64 v1, null, 0, v13, vcc_lo
	s_delay_alu instid0(VALU_DEP_2) | instskip(SKIP_1) | instid1(VALU_DEP_2)
	v_add_co_u32 v0, vcc_lo, v0, v3
	s_wait_alu 0xfffd
	v_add_co_ci_u32_e64 v1, null, 0, v1, vcc_lo
	s_delay_alu instid0(VALU_DEP_2) | instskip(SKIP_1) | instid1(VALU_DEP_1)
	v_mad_co_u64_u32 v[8:9], null, v0, 36, s[10:11]
	s_wait_loadcnt 0x0
	v_mad_co_u64_u32 v[12:13], null, v1, 36, v[9:10]
	v_sub_co_u32 v10, vcc_lo, v10, s12
	s_wait_alu 0xfffd
	v_subrev_co_ci_u32_e64 v11, null, 0, v11, vcc_lo
	s_delay_alu instid0(VALU_DEP_3) | instskip(NEXT) | instid1(VALU_DEP_2)
	v_mov_b32_e32 v9, v12
	v_cmp_lt_i64_e64 s2, v[0:1], v[10:11]
	s_cbranch_scc1 .LBB125_17
; %bb.12:
	v_dual_mov_b32 v19, 0 :: v_dual_mov_b32 v20, 0
	v_dual_mov_b32 v21, 0 :: v_dual_mov_b32 v22, 0
	v_mov_b32_e32 v23, 0
	s_and_saveexec_b32 s3, s2
	s_cbranch_execz .LBB125_16
; %bb.13:
	v_lshlrev_b64_e32 v[14:15], 2, v[0:1]
	v_dual_mov_b32 v18, 0 :: v_dual_mov_b32 v13, v1
	v_dual_mov_b32 v12, v0 :: v_dual_mov_b32 v17, v9
	;; [unrolled: 1-line block ×3, first 2 shown]
	s_delay_alu instid0(VALU_DEP_4)
	v_add_co_u32 v14, vcc_lo, s8, v14
	s_wait_alu 0xfffd
	v_add_co_ci_u32_e64 v15, null, s9, v15, vcc_lo
	v_dual_mov_b32 v20, 0 :: v_dual_mov_b32 v21, 0
	v_dual_mov_b32 v22, 0 :: v_dual_mov_b32 v23, 0
	s_mov_b32 s6, 0
.LBB125_14:                             ; =>This Inner Loop Header: Depth=1
	global_load_b32 v32, v[14:15], off
	s_clause 0x1
	global_load_b128 v[24:27], v[16:17], off offset:16
	global_load_b128 v[28:31], v[16:17], off
	s_wait_loadcnt 0x2
	v_subrev_nc_u32_e32 v32, s12, v32
	s_delay_alu instid0(VALU_DEP_1) | instskip(NEXT) | instid1(VALU_DEP_1)
	v_lshl_add_u32 v32, v32, 1, v32
	v_ashrrev_i32_e32 v33, 31, v32
	s_delay_alu instid0(VALU_DEP_1) | instskip(SKIP_1) | instid1(VALU_DEP_1)
	v_lshlrev_b64_e32 v[32:33], 3, v[32:33]
	s_wait_kmcnt 0x0
	v_add_co_u32 v36, vcc_lo, s4, v32
	s_wait_alu 0xfffd
	s_delay_alu instid0(VALU_DEP_2)
	v_add_co_ci_u32_e64 v37, null, s5, v33, vcc_lo
	s_clause 0x1
	global_load_b128 v[32:35], v[36:37], off
	global_load_b64 v[36:37], v[36:37], off offset:16
	global_load_b32 v38, v[16:17], off offset:32
	v_add_co_u32 v16, vcc_lo, 0x90, v16
	s_wait_alu 0xfffd
	v_add_co_ci_u32_e64 v17, null, 0, v17, vcc_lo
	v_add_co_u32 v12, vcc_lo, v12, 4
	s_wait_alu 0xfffd
	v_add_co_ci_u32_e64 v13, null, 0, v13, vcc_lo
	;; [unrolled: 3-line block ×3, first 2 shown]
	s_delay_alu instid0(VALU_DEP_3) | instskip(SKIP_4) | instid1(VALU_DEP_1)
	v_cmp_ge_i64_e32 vcc_lo, v[12:13], v[10:11]
	s_wait_alu 0xfffe
	s_or_b32 s6, vcc_lo, s6
	s_wait_loadcnt 0x2
	v_fmac_f32_e32 v20, 0, v32
	v_dual_fmac_f32 v19, v28, v32 :: v_dual_fmac_f32 v20, v31, v33
	s_delay_alu instid0(VALU_DEP_1) | instskip(NEXT) | instid1(VALU_DEP_1)
	v_dual_fmac_f32 v18, 0, v32 :: v_dual_fmac_f32 v19, 0x80000000, v33
	v_dual_fmac_f32 v21, v31, v32 :: v_dual_fmac_f32 v18, v28, v33
	v_fmac_f32_e32 v23, v26, v32
	s_delay_alu instid0(VALU_DEP_2) | instskip(NEXT) | instid1(VALU_DEP_4)
	v_fmac_f32_e32 v21, 0x80000000, v33
	v_fmac_f32_e32 v19, v29, v34
	;; [unrolled: 1-line block ×4, first 2 shown]
	v_dual_fmac_f32 v22, 0, v32 :: v_dual_fmac_f32 v23, 0x80000000, v33
	v_fmac_f32_e32 v21, v24, v34
	v_fmac_f32_e32 v19, 0x80000000, v35
	s_delay_alu instid0(VALU_DEP_4) | instskip(NEXT) | instid1(VALU_DEP_4)
	v_fmac_f32_e32 v18, v29, v35
	v_dual_fmac_f32 v22, v26, v33 :: v_dual_fmac_f32 v23, v27, v34
	v_fmac_f32_e32 v20, v24, v35
	v_fmac_f32_e32 v21, 0x80000000, v35
	s_wait_loadcnt 0x1
	s_delay_alu instid0(VALU_DEP_3) | instskip(SKIP_1) | instid1(VALU_DEP_3)
	v_dual_fmac_f32 v19, v30, v36 :: v_dual_fmac_f32 v22, 0, v34
	v_dual_fmac_f32 v23, 0x80000000, v35 :: v_dual_fmac_f32 v18, 0, v36
	v_fmac_f32_e32 v21, v25, v36
	s_delay_alu instid0(VALU_DEP_3) | instskip(SKIP_1) | instid1(VALU_DEP_3)
	v_dual_fmac_f32 v20, 0, v36 :: v_dual_fmac_f32 v19, 0x80000000, v37
	s_wait_loadcnt 0x0
	v_dual_fmac_f32 v22, v27, v35 :: v_dual_fmac_f32 v23, v38, v36
	v_fmac_f32_e32 v18, v30, v37
	v_fmac_f32_e32 v21, 0x80000000, v37
	;; [unrolled: 1-line block ×3, first 2 shown]
	s_delay_alu instid0(VALU_DEP_4) | instskip(NEXT) | instid1(VALU_DEP_1)
	v_dual_fmac_f32 v22, 0, v36 :: v_dual_fmac_f32 v23, 0x80000000, v37
	v_fmac_f32_e32 v22, v38, v37
	s_wait_alu 0xfffe
	s_and_not1_b32 exec_lo, exec_lo, s6
	s_cbranch_execnz .LBB125_14
; %bb.15:
	s_or_b32 exec_lo, exec_lo, s6
.LBB125_16:
	s_wait_alu 0xfffe
	s_or_b32 exec_lo, exec_lo, s3
	s_cbranch_execz .LBB125_18
	s_branch .LBB125_23
.LBB125_17:
                                        ; implicit-def: $vgpr18
                                        ; implicit-def: $vgpr19
                                        ; implicit-def: $vgpr20
                                        ; implicit-def: $vgpr21
                                        ; implicit-def: $vgpr22
                                        ; implicit-def: $vgpr23
.LBB125_18:
	v_dual_mov_b32 v18, 0 :: v_dual_mov_b32 v19, 0
	v_dual_mov_b32 v20, 0 :: v_dual_mov_b32 v21, 0
	v_dual_mov_b32 v22, 0 :: v_dual_mov_b32 v23, 0
	s_and_saveexec_b32 s3, s2
	s_cbranch_execz .LBB125_22
; %bb.19:
	v_lshlrev_b64_e32 v[12:13], 2, v[0:1]
	v_dual_mov_b32 v18, 0 :: v_dual_mov_b32 v19, 0
	v_dual_mov_b32 v20, 0 :: v_dual_mov_b32 v21, 0
	;; [unrolled: 1-line block ×3, first 2 shown]
	s_delay_alu instid0(VALU_DEP_4)
	v_add_co_u32 v12, vcc_lo, s8, v12
	s_wait_alu 0xfffd
	v_add_co_ci_u32_e64 v13, null, s9, v13, vcc_lo
	s_mov_b32 s2, 0
.LBB125_20:                             ; =>This Inner Loop Header: Depth=1
	global_load_b32 v28, v[12:13], off
	s_clause 0x1
	global_load_b128 v[14:17], v[8:9], off offset:16
	global_load_b128 v[24:27], v[8:9], off
	s_wait_loadcnt 0x2
	v_subrev_nc_u32_e32 v28, s12, v28
	s_delay_alu instid0(VALU_DEP_1) | instskip(NEXT) | instid1(VALU_DEP_1)
	v_lshl_add_u32 v28, v28, 1, v28
	v_ashrrev_i32_e32 v29, 31, v28
	s_delay_alu instid0(VALU_DEP_1) | instskip(SKIP_1) | instid1(VALU_DEP_1)
	v_lshlrev_b64_e32 v[28:29], 3, v[28:29]
	s_wait_kmcnt 0x0
	v_add_co_u32 v32, vcc_lo, s4, v28
	s_wait_alu 0xfffd
	s_delay_alu instid0(VALU_DEP_2)
	v_add_co_ci_u32_e64 v33, null, s5, v29, vcc_lo
	s_clause 0x1
	global_load_b128 v[28:31], v[32:33], off
	global_load_b64 v[32:33], v[32:33], off offset:16
	global_load_b32 v34, v[8:9], off offset:32
	v_add_co_u32 v8, vcc_lo, 0x90, v8
	s_wait_alu 0xfffd
	v_add_co_ci_u32_e64 v9, null, 0, v9, vcc_lo
	v_add_co_u32 v0, vcc_lo, v0, 4
	s_wait_alu 0xfffd
	v_add_co_ci_u32_e64 v1, null, 0, v1, vcc_lo
	;; [unrolled: 3-line block ×3, first 2 shown]
	s_delay_alu instid0(VALU_DEP_3) | instskip(SKIP_4) | instid1(VALU_DEP_1)
	v_cmp_ge_i64_e32 vcc_lo, v[0:1], v[10:11]
	s_wait_alu 0xfffe
	s_or_b32 s2, vcc_lo, s2
	s_wait_loadcnt 0x2
	v_fmac_f32_e32 v20, 0, v28
	v_dual_fmac_f32 v19, v24, v28 :: v_dual_fmac_f32 v20, v25, v29
	s_delay_alu instid0(VALU_DEP_1) | instskip(NEXT) | instid1(VALU_DEP_1)
	v_dual_fmac_f32 v18, 0, v28 :: v_dual_fmac_f32 v19, 0x80000000, v29
	v_dual_fmac_f32 v21, v25, v28 :: v_dual_fmac_f32 v18, v24, v29
	v_fmac_f32_e32 v23, v26, v28
	s_delay_alu instid0(VALU_DEP_2) | instskip(NEXT) | instid1(VALU_DEP_4)
	v_fmac_f32_e32 v21, 0x80000000, v29
	v_fmac_f32_e32 v19, v27, v30
	;; [unrolled: 1-line block ×4, first 2 shown]
	v_dual_fmac_f32 v22, 0, v28 :: v_dual_fmac_f32 v23, 0x80000000, v29
	v_fmac_f32_e32 v21, v14, v30
	v_fmac_f32_e32 v19, 0x80000000, v31
	s_delay_alu instid0(VALU_DEP_4) | instskip(NEXT) | instid1(VALU_DEP_4)
	v_fmac_f32_e32 v18, v27, v31
	v_dual_fmac_f32 v22, v26, v29 :: v_dual_fmac_f32 v23, v15, v30
	v_fmac_f32_e32 v20, v14, v31
	v_fmac_f32_e32 v21, 0x80000000, v31
	s_wait_loadcnt 0x1
	s_delay_alu instid0(VALU_DEP_3) | instskip(SKIP_1) | instid1(VALU_DEP_3)
	v_dual_fmac_f32 v19, v16, v32 :: v_dual_fmac_f32 v22, 0, v30
	v_dual_fmac_f32 v23, 0x80000000, v31 :: v_dual_fmac_f32 v18, 0, v32
	v_fmac_f32_e32 v21, v17, v32
	s_delay_alu instid0(VALU_DEP_3) | instskip(SKIP_1) | instid1(VALU_DEP_3)
	v_dual_fmac_f32 v20, 0, v32 :: v_dual_fmac_f32 v19, 0x80000000, v33
	s_wait_loadcnt 0x0
	v_dual_fmac_f32 v22, v15, v31 :: v_dual_fmac_f32 v23, v34, v32
	v_fmac_f32_e32 v18, v16, v33
	v_fmac_f32_e32 v21, 0x80000000, v33
	;; [unrolled: 1-line block ×3, first 2 shown]
	s_delay_alu instid0(VALU_DEP_4) | instskip(NEXT) | instid1(VALU_DEP_1)
	v_dual_fmac_f32 v22, 0, v32 :: v_dual_fmac_f32 v23, 0x80000000, v33
	v_fmac_f32_e32 v22, v34, v33
	s_wait_alu 0xfffe
	s_and_not1_b32 exec_lo, exec_lo, s2
	s_cbranch_execnz .LBB125_20
; %bb.21:
	s_or_b32 exec_lo, exec_lo, s2
.LBB125_22:
	s_wait_alu 0xfffe
	s_or_b32 exec_lo, exec_lo, s3
.LBB125_23:
	v_mbcnt_lo_u32_b32 v0, -1, 0
	s_delay_alu instid0(VALU_DEP_1) | instskip(NEXT) | instid1(VALU_DEP_1)
	v_xor_b32_e32 v1, 2, v0
	v_cmp_gt_i32_e32 vcc_lo, 32, v1
	s_wait_alu 0xfffd
	v_cndmask_b32_e32 v1, v0, v1, vcc_lo
	s_delay_alu instid0(VALU_DEP_1)
	v_lshlrev_b32_e32 v1, 2, v1
	ds_bpermute_b32 v8, v1, v19
	ds_bpermute_b32 v9, v1, v18
	;; [unrolled: 1-line block ×6, first 2 shown]
	v_xor_b32_e32 v1, 1, v0
	s_delay_alu instid0(VALU_DEP_1) | instskip(SKIP_3) | instid1(VALU_DEP_2)
	v_cmp_gt_i32_e32 vcc_lo, 32, v1
	s_wait_alu 0xfffd
	v_cndmask_b32_e32 v0, v0, v1, vcc_lo
	v_cmp_eq_u32_e32 vcc_lo, 3, v3
	v_lshlrev_b32_e32 v17, 2, v0
	s_wait_dscnt 0x4
	v_dual_add_f32 v0, v19, v8 :: v_dual_add_f32 v1, v18, v9
	s_wait_dscnt 0x2
	v_dual_add_f32 v8, v21, v10 :: v_dual_add_f32 v9, v20, v11
	;; [unrolled: 2-line block ×3, first 2 shown]
	ds_bpermute_b32 v12, v17, v0
	ds_bpermute_b32 v13, v17, v1
	;; [unrolled: 1-line block ×6, first 2 shown]
	s_and_b32 exec_lo, exec_lo, vcc_lo
	s_cbranch_execz .LBB125_8
; %bb.24:
	s_wait_dscnt 0x4
	v_dual_add_f32 v12, v0, v12 :: v_dual_add_f32 v1, v1, v13
	s_load_b64 s[2:3], s[0:1], 0x50
	s_wait_dscnt 0x1
	v_dual_add_f32 v13, v8, v14 :: v_dual_add_f32 v14, v10, v16
	v_lshl_add_u32 v10, v2, 1, v2
	v_mul_f32_e64 v0, v1, -v7
	v_add_f32_e32 v3, v9, v15
	s_wait_dscnt 0x0
	v_add_f32_e32 v9, v11, v17
	v_mul_f32_e32 v1, v6, v1
	v_cmp_eq_f32_e32 vcc_lo, 0, v4
	v_fmac_f32_e32 v0, v6, v12
	v_mul_f32_e64 v2, v3, -v7
	v_mul_f32_e64 v8, v9, -v7
	v_mul_f32_e32 v3, v6, v3
	v_cmp_eq_f32_e64 s0, 0, v5
	s_delay_alu instid0(VALU_DEP_4) | instskip(NEXT) | instid1(VALU_DEP_4)
	v_dual_fmac_f32 v1, v7, v12 :: v_dual_fmac_f32 v2, v6, v13
	v_fmac_f32_e32 v8, v6, v14
	v_mul_f32_e32 v9, v6, v9
	v_ashrrev_i32_e32 v11, 31, v10
	v_fmac_f32_e32 v3, v7, v13
	s_and_b32 s0, vcc_lo, s0
	s_delay_alu instid0(VALU_DEP_3)
	v_fmac_f32_e32 v9, v7, v14
	s_wait_alu 0xfffe
	s_and_saveexec_b32 s1, s0
	s_wait_alu 0xfffe
	s_xor_b32 s0, exec_lo, s1
	s_cbranch_execz .LBB125_26
; %bb.25:
	v_lshlrev_b64_e32 v[4:5], 3, v[10:11]
                                        ; implicit-def: $vgpr10
	s_wait_kmcnt 0x0
	s_delay_alu instid0(VALU_DEP_1) | instskip(SKIP_1) | instid1(VALU_DEP_2)
	v_add_co_u32 v4, vcc_lo, s2, v4
	s_wait_alu 0xfffd
	v_add_co_ci_u32_e64 v5, null, s3, v5, vcc_lo
	s_clause 0x1
	global_store_b128 v[4:5], v[0:3], off
	global_store_b64 v[4:5], v[8:9], off offset:16
                                        ; implicit-def: $vgpr4_vgpr5
                                        ; implicit-def: $vgpr0
                                        ; implicit-def: $vgpr8
.LBB125_26:
	s_wait_alu 0xfffe
	s_and_not1_saveexec_b32 s0, s0
	s_cbranch_execz .LBB125_8
; %bb.27:
	v_lshlrev_b64_e32 v[6:7], 3, v[10:11]
	s_wait_kmcnt 0x0
	s_delay_alu instid0(VALU_DEP_1) | instskip(SKIP_1) | instid1(VALU_DEP_2)
	v_add_co_u32 v6, vcc_lo, s2, v6
	s_wait_alu 0xfffd
	v_add_co_ci_u32_e64 v7, null, s3, v7, vcc_lo
	s_clause 0x1
	global_load_b128 v[10:13], v[6:7], off
	global_load_b64 v[14:15], v[6:7], off offset:16
	s_wait_loadcnt 0x1
	v_dual_fmac_f32 v0, v4, v10 :: v_dual_fmac_f32 v3, v5, v12
	v_dual_fmac_f32 v1, v5, v10 :: v_dual_fmac_f32 v2, v4, v12
	s_wait_loadcnt 0x0
	v_fmac_f32_e32 v8, v4, v14
	v_fmac_f32_e32 v9, v5, v14
	v_fma_f32 v0, -v5, v11, v0
	v_fmac_f32_e32 v1, v4, v11
	v_fma_f32 v2, -v5, v13, v2
	;; [unrolled: 2-line block ×3, first 2 shown]
	v_fmac_f32_e32 v9, v4, v15
	s_clause 0x1
	global_store_b128 v[6:7], v[0:3], off
	global_store_b64 v[6:7], v[8:9], off offset:16
	s_endpgm
	.section	.rodata,"a",@progbits
	.p2align	6, 0x0
	.amdhsa_kernel _ZN9rocsparseL18bsrxmvn_3x3_kernelILj256ELj4E21rocsparse_complex_numIfElifS2_S2_EEvT3_20rocsparse_direction_NS_24const_host_device_scalarIT1_EES3_PKS3_PKT2_SC_S9_PKT4_PKT5_S7_PT6_21rocsparse_index_base_b
		.amdhsa_group_segment_fixed_size 0
		.amdhsa_private_segment_fixed_size 0
		.amdhsa_kernarg_size 96
		.amdhsa_user_sgpr_count 2
		.amdhsa_user_sgpr_dispatch_ptr 0
		.amdhsa_user_sgpr_queue_ptr 0
		.amdhsa_user_sgpr_kernarg_segment_ptr 1
		.amdhsa_user_sgpr_dispatch_id 0
		.amdhsa_user_sgpr_private_segment_size 0
		.amdhsa_wavefront_size32 1
		.amdhsa_uses_dynamic_stack 0
		.amdhsa_enable_private_segment 0
		.amdhsa_system_sgpr_workgroup_id_x 1
		.amdhsa_system_sgpr_workgroup_id_y 0
		.amdhsa_system_sgpr_workgroup_id_z 0
		.amdhsa_system_sgpr_workgroup_info 0
		.amdhsa_system_vgpr_workitem_id 0
		.amdhsa_next_free_vgpr 39
		.amdhsa_next_free_sgpr 14
		.amdhsa_reserve_vcc 1
		.amdhsa_float_round_mode_32 0
		.amdhsa_float_round_mode_16_64 0
		.amdhsa_float_denorm_mode_32 3
		.amdhsa_float_denorm_mode_16_64 3
		.amdhsa_fp16_overflow 0
		.amdhsa_workgroup_processor_mode 1
		.amdhsa_memory_ordered 1
		.amdhsa_forward_progress 1
		.amdhsa_inst_pref_size 19
		.amdhsa_round_robin_scheduling 0
		.amdhsa_exception_fp_ieee_invalid_op 0
		.amdhsa_exception_fp_denorm_src 0
		.amdhsa_exception_fp_ieee_div_zero 0
		.amdhsa_exception_fp_ieee_overflow 0
		.amdhsa_exception_fp_ieee_underflow 0
		.amdhsa_exception_fp_ieee_inexact 0
		.amdhsa_exception_int_div_zero 0
	.end_amdhsa_kernel
	.section	.text._ZN9rocsparseL18bsrxmvn_3x3_kernelILj256ELj4E21rocsparse_complex_numIfElifS2_S2_EEvT3_20rocsparse_direction_NS_24const_host_device_scalarIT1_EES3_PKS3_PKT2_SC_S9_PKT4_PKT5_S7_PT6_21rocsparse_index_base_b,"axG",@progbits,_ZN9rocsparseL18bsrxmvn_3x3_kernelILj256ELj4E21rocsparse_complex_numIfElifS2_S2_EEvT3_20rocsparse_direction_NS_24const_host_device_scalarIT1_EES3_PKS3_PKT2_SC_S9_PKT4_PKT5_S7_PT6_21rocsparse_index_base_b,comdat
.Lfunc_end125:
	.size	_ZN9rocsparseL18bsrxmvn_3x3_kernelILj256ELj4E21rocsparse_complex_numIfElifS2_S2_EEvT3_20rocsparse_direction_NS_24const_host_device_scalarIT1_EES3_PKS3_PKT2_SC_S9_PKT4_PKT5_S7_PT6_21rocsparse_index_base_b, .Lfunc_end125-_ZN9rocsparseL18bsrxmvn_3x3_kernelILj256ELj4E21rocsparse_complex_numIfElifS2_S2_EEvT3_20rocsparse_direction_NS_24const_host_device_scalarIT1_EES3_PKS3_PKT2_SC_S9_PKT4_PKT5_S7_PT6_21rocsparse_index_base_b
                                        ; -- End function
	.set _ZN9rocsparseL18bsrxmvn_3x3_kernelILj256ELj4E21rocsparse_complex_numIfElifS2_S2_EEvT3_20rocsparse_direction_NS_24const_host_device_scalarIT1_EES3_PKS3_PKT2_SC_S9_PKT4_PKT5_S7_PT6_21rocsparse_index_base_b.num_vgpr, 39
	.set _ZN9rocsparseL18bsrxmvn_3x3_kernelILj256ELj4E21rocsparse_complex_numIfElifS2_S2_EEvT3_20rocsparse_direction_NS_24const_host_device_scalarIT1_EES3_PKS3_PKT2_SC_S9_PKT4_PKT5_S7_PT6_21rocsparse_index_base_b.num_agpr, 0
	.set _ZN9rocsparseL18bsrxmvn_3x3_kernelILj256ELj4E21rocsparse_complex_numIfElifS2_S2_EEvT3_20rocsparse_direction_NS_24const_host_device_scalarIT1_EES3_PKS3_PKT2_SC_S9_PKT4_PKT5_S7_PT6_21rocsparse_index_base_b.numbered_sgpr, 14
	.set _ZN9rocsparseL18bsrxmvn_3x3_kernelILj256ELj4E21rocsparse_complex_numIfElifS2_S2_EEvT3_20rocsparse_direction_NS_24const_host_device_scalarIT1_EES3_PKS3_PKT2_SC_S9_PKT4_PKT5_S7_PT6_21rocsparse_index_base_b.num_named_barrier, 0
	.set _ZN9rocsparseL18bsrxmvn_3x3_kernelILj256ELj4E21rocsparse_complex_numIfElifS2_S2_EEvT3_20rocsparse_direction_NS_24const_host_device_scalarIT1_EES3_PKS3_PKT2_SC_S9_PKT4_PKT5_S7_PT6_21rocsparse_index_base_b.private_seg_size, 0
	.set _ZN9rocsparseL18bsrxmvn_3x3_kernelILj256ELj4E21rocsparse_complex_numIfElifS2_S2_EEvT3_20rocsparse_direction_NS_24const_host_device_scalarIT1_EES3_PKS3_PKT2_SC_S9_PKT4_PKT5_S7_PT6_21rocsparse_index_base_b.uses_vcc, 1
	.set _ZN9rocsparseL18bsrxmvn_3x3_kernelILj256ELj4E21rocsparse_complex_numIfElifS2_S2_EEvT3_20rocsparse_direction_NS_24const_host_device_scalarIT1_EES3_PKS3_PKT2_SC_S9_PKT4_PKT5_S7_PT6_21rocsparse_index_base_b.uses_flat_scratch, 0
	.set _ZN9rocsparseL18bsrxmvn_3x3_kernelILj256ELj4E21rocsparse_complex_numIfElifS2_S2_EEvT3_20rocsparse_direction_NS_24const_host_device_scalarIT1_EES3_PKS3_PKT2_SC_S9_PKT4_PKT5_S7_PT6_21rocsparse_index_base_b.has_dyn_sized_stack, 0
	.set _ZN9rocsparseL18bsrxmvn_3x3_kernelILj256ELj4E21rocsparse_complex_numIfElifS2_S2_EEvT3_20rocsparse_direction_NS_24const_host_device_scalarIT1_EES3_PKS3_PKT2_SC_S9_PKT4_PKT5_S7_PT6_21rocsparse_index_base_b.has_recursion, 0
	.set _ZN9rocsparseL18bsrxmvn_3x3_kernelILj256ELj4E21rocsparse_complex_numIfElifS2_S2_EEvT3_20rocsparse_direction_NS_24const_host_device_scalarIT1_EES3_PKS3_PKT2_SC_S9_PKT4_PKT5_S7_PT6_21rocsparse_index_base_b.has_indirect_call, 0
	.section	.AMDGPU.csdata,"",@progbits
; Kernel info:
; codeLenInByte = 2392
; TotalNumSgprs: 16
; NumVgprs: 39
; ScratchSize: 0
; MemoryBound: 0
; FloatMode: 240
; IeeeMode: 1
; LDSByteSize: 0 bytes/workgroup (compile time only)
; SGPRBlocks: 0
; VGPRBlocks: 4
; NumSGPRsForWavesPerEU: 16
; NumVGPRsForWavesPerEU: 39
; Occupancy: 16
; WaveLimiterHint : 1
; COMPUTE_PGM_RSRC2:SCRATCH_EN: 0
; COMPUTE_PGM_RSRC2:USER_SGPR: 2
; COMPUTE_PGM_RSRC2:TRAP_HANDLER: 0
; COMPUTE_PGM_RSRC2:TGID_X_EN: 1
; COMPUTE_PGM_RSRC2:TGID_Y_EN: 0
; COMPUTE_PGM_RSRC2:TGID_Z_EN: 0
; COMPUTE_PGM_RSRC2:TIDIG_COMP_CNT: 0
	.section	.text._ZN9rocsparseL18bsrxmvn_3x3_kernelILj256ELj8E21rocsparse_complex_numIfElifS2_S2_EEvT3_20rocsparse_direction_NS_24const_host_device_scalarIT1_EES3_PKS3_PKT2_SC_S9_PKT4_PKT5_S7_PT6_21rocsparse_index_base_b,"axG",@progbits,_ZN9rocsparseL18bsrxmvn_3x3_kernelILj256ELj8E21rocsparse_complex_numIfElifS2_S2_EEvT3_20rocsparse_direction_NS_24const_host_device_scalarIT1_EES3_PKS3_PKT2_SC_S9_PKT4_PKT5_S7_PT6_21rocsparse_index_base_b,comdat
	.globl	_ZN9rocsparseL18bsrxmvn_3x3_kernelILj256ELj8E21rocsparse_complex_numIfElifS2_S2_EEvT3_20rocsparse_direction_NS_24const_host_device_scalarIT1_EES3_PKS3_PKT2_SC_S9_PKT4_PKT5_S7_PT6_21rocsparse_index_base_b ; -- Begin function _ZN9rocsparseL18bsrxmvn_3x3_kernelILj256ELj8E21rocsparse_complex_numIfElifS2_S2_EEvT3_20rocsparse_direction_NS_24const_host_device_scalarIT1_EES3_PKS3_PKT2_SC_S9_PKT4_PKT5_S7_PT6_21rocsparse_index_base_b
	.p2align	8
	.type	_ZN9rocsparseL18bsrxmvn_3x3_kernelILj256ELj8E21rocsparse_complex_numIfElifS2_S2_EEvT3_20rocsparse_direction_NS_24const_host_device_scalarIT1_EES3_PKS3_PKT2_SC_S9_PKT4_PKT5_S7_PT6_21rocsparse_index_base_b,@function
_ZN9rocsparseL18bsrxmvn_3x3_kernelILj256ELj8E21rocsparse_complex_numIfElifS2_S2_EEvT3_20rocsparse_direction_NS_24const_host_device_scalarIT1_EES3_PKS3_PKT2_SC_S9_PKT4_PKT5_S7_PT6_21rocsparse_index_base_b: ; @_ZN9rocsparseL18bsrxmvn_3x3_kernelILj256ELj8E21rocsparse_complex_numIfElifS2_S2_EEvT3_20rocsparse_direction_NS_24const_host_device_scalarIT1_EES3_PKS3_PKT2_SC_S9_PKT4_PKT5_S7_PT6_21rocsparse_index_base_b
; %bb.0:
	s_clause 0x2
	s_load_b64 s[12:13], s[0:1], 0x58
	s_load_b64 s[2:3], s[0:1], 0x8
	;; [unrolled: 1-line block ×3, first 2 shown]
	s_add_nc_u64 s[6:7], s[0:1], 8
	s_wait_kmcnt 0x0
	s_bitcmp1_b32 s13, 0
	s_cselect_b32 s2, s6, s2
	s_cselect_b32 s3, s7, s3
	s_delay_alu instid0(SALU_CYCLE_1)
	v_dual_mov_b32 v1, s2 :: v_dual_mov_b32 v2, s3
	s_add_nc_u64 s[2:3], s[0:1], 0x48
	s_wait_alu 0xfffe
	s_cselect_b32 s2, s2, s4
	s_cselect_b32 s3, s3, s5
	flat_load_b64 v[6:7], v[1:2]
	s_wait_alu 0xfffe
	v_dual_mov_b32 v1, s2 :: v_dual_mov_b32 v2, s3
	flat_load_b64 v[4:5], v[1:2]
	s_wait_loadcnt_dscnt 0x101
	v_cmp_eq_f32_e32 vcc_lo, 0, v6
	v_cmp_eq_f32_e64 s2, 0, v7
	s_and_b32 s4, vcc_lo, s2
	s_mov_b32 s2, -1
	s_and_saveexec_b32 s3, s4
	s_cbranch_execz .LBB126_2
; %bb.1:
	s_wait_loadcnt_dscnt 0x0
	v_cmp_neq_f32_e32 vcc_lo, 1.0, v4
	v_cmp_neq_f32_e64 s2, 0, v5
	s_wait_alu 0xfffe
	s_or_b32 s2, vcc_lo, s2
	s_wait_alu 0xfffe
	s_or_not1_b32 s2, s2, exec_lo
.LBB126_2:
	s_wait_alu 0xfffe
	s_or_b32 exec_lo, exec_lo, s3
	s_and_saveexec_b32 s3, s2
	s_cbranch_execz .LBB126_8
; %bb.3:
	s_clause 0x1
	s_load_b64 s[4:5], s[0:1], 0x18
	s_load_b64 s[2:3], s[0:1], 0x0
	v_lshrrev_b32_e32 v1, 3, v0
	s_delay_alu instid0(VALU_DEP_1)
	v_lshl_or_b32 v2, ttmp9, 5, v1
	s_wait_kmcnt 0x0
	s_cmp_lg_u64 s[4:5], 0
	s_cbranch_scc0 .LBB126_9
; %bb.4:
	s_load_b32 s6, s[0:1], 0x10
	s_mov_b32 s7, 0
                                        ; implicit-def: $vgpr1
	s_wait_kmcnt 0x0
	v_cmp_gt_i32_e32 vcc_lo, s6, v2
	s_mov_b32 s6, 0
	s_and_saveexec_b32 s8, vcc_lo
	s_delay_alu instid0(SALU_CYCLE_1)
	s_xor_b32 s8, exec_lo, s8
	s_cbranch_execz .LBB126_6
; %bb.5:
	v_ashrrev_i32_e32 v3, 31, v2
	s_mov_b32 s6, exec_lo
	s_delay_alu instid0(VALU_DEP_1) | instskip(NEXT) | instid1(VALU_DEP_1)
	v_lshlrev_b64_e32 v[8:9], 2, v[2:3]
	v_add_co_u32 v8, vcc_lo, s4, v8
	s_delay_alu instid0(VALU_DEP_1)
	v_add_co_ci_u32_e64 v9, null, s5, v9, vcc_lo
	global_load_b32 v1, v[8:9], off
	s_wait_loadcnt 0x0
	v_subrev_nc_u32_e32 v1, s12, v1
.LBB126_6:
	s_or_b32 exec_lo, exec_lo, s8
	s_delay_alu instid0(SALU_CYCLE_1)
	s_and_b32 vcc_lo, exec_lo, s7
	s_wait_alu 0xfffe
	s_cbranch_vccz .LBB126_10
.LBB126_7:
	v_cmp_gt_i32_e32 vcc_lo, s2, v2
	s_and_not1_b32 s2, s6, exec_lo
	s_and_b32 s4, vcc_lo, exec_lo
	s_wait_alu 0xfffe
	s_or_b32 s6, s2, s4
	s_wait_alu 0xfffe
	s_and_b32 exec_lo, exec_lo, s6
	s_cbranch_execnz .LBB126_11
.LBB126_8:
	s_endpgm
.LBB126_9:
	s_mov_b32 s6, 0
                                        ; implicit-def: $vgpr1
	s_cbranch_execnz .LBB126_7
.LBB126_10:
	v_mov_b32_e32 v2, v1
	s_and_b32 exec_lo, exec_lo, s6
	s_cbranch_execz .LBB126_8
.LBB126_11:
	s_load_b256 s[4:11], s[0:1], 0x20
	s_delay_alu instid0(VALU_DEP_1) | instskip(SKIP_1) | instid1(VALU_DEP_2)
	v_ashrrev_i32_e32 v3, 31, v2
	v_mov_b32_e32 v18, 0
	v_lshlrev_b64_e32 v[8:9], 3, v[2:3]
	s_wait_kmcnt 0x0
	s_delay_alu instid0(VALU_DEP_1) | instskip(SKIP_1) | instid1(VALU_DEP_2)
	v_add_co_u32 v10, vcc_lo, s4, v8
	s_wait_alu 0xfffd
	v_add_co_ci_u32_e64 v11, null, s5, v9, vcc_lo
	v_add_co_u32 v1, vcc_lo, s6, v8
	s_wait_alu 0xfffd
	v_add_co_ci_u32_e64 v3, null, s7, v9, vcc_lo
	global_load_b64 v[12:13], v[10:11], off
	v_add_co_u32 v8, vcc_lo, v10, 8
	s_wait_alu 0xfffd
	v_add_co_ci_u32_e64 v9, null, 0, v11, vcc_lo
	s_cmp_eq_u64 s[6:7], 0
	s_load_b64 s[4:5], s[0:1], 0x40
	s_cselect_b32 vcc_lo, -1, 0
	s_cmp_eq_u32 s3, 1
	s_wait_alu 0xfffe
	v_dual_cndmask_b32 v9, v3, v9 :: v_dual_cndmask_b32 v8, v1, v8
	v_and_b32_e32 v3, 7, v0
	global_load_b64 v[10:11], v[8:9], off
	s_wait_loadcnt 0x1
	v_sub_co_u32 v0, vcc_lo, v12, s12
	s_wait_alu 0xfffd
	v_subrev_co_ci_u32_e64 v1, null, 0, v13, vcc_lo
	s_delay_alu instid0(VALU_DEP_2) | instskip(SKIP_1) | instid1(VALU_DEP_2)
	v_add_co_u32 v0, vcc_lo, v0, v3
	s_wait_alu 0xfffd
	v_add_co_ci_u32_e64 v1, null, 0, v1, vcc_lo
	s_delay_alu instid0(VALU_DEP_2) | instskip(SKIP_1) | instid1(VALU_DEP_1)
	v_mad_co_u64_u32 v[8:9], null, v0, 36, s[10:11]
	s_wait_loadcnt 0x0
	v_mad_co_u64_u32 v[12:13], null, v1, 36, v[9:10]
	v_sub_co_u32 v10, vcc_lo, v10, s12
	s_wait_alu 0xfffd
	v_subrev_co_ci_u32_e64 v11, null, 0, v11, vcc_lo
	s_delay_alu instid0(VALU_DEP_3) | instskip(NEXT) | instid1(VALU_DEP_2)
	v_mov_b32_e32 v9, v12
	v_cmp_lt_i64_e64 s2, v[0:1], v[10:11]
	s_cbranch_scc1 .LBB126_17
; %bb.12:
	v_dual_mov_b32 v19, 0 :: v_dual_mov_b32 v20, 0
	v_dual_mov_b32 v21, 0 :: v_dual_mov_b32 v22, 0
	v_mov_b32_e32 v23, 0
	s_and_saveexec_b32 s3, s2
	s_cbranch_execz .LBB126_16
; %bb.13:
	v_lshlrev_b64_e32 v[14:15], 2, v[0:1]
	v_dual_mov_b32 v18, 0 :: v_dual_mov_b32 v13, v1
	v_dual_mov_b32 v12, v0 :: v_dual_mov_b32 v17, v9
	;; [unrolled: 1-line block ×3, first 2 shown]
	s_delay_alu instid0(VALU_DEP_4)
	v_add_co_u32 v14, vcc_lo, s8, v14
	s_wait_alu 0xfffd
	v_add_co_ci_u32_e64 v15, null, s9, v15, vcc_lo
	v_dual_mov_b32 v20, 0 :: v_dual_mov_b32 v21, 0
	v_dual_mov_b32 v22, 0 :: v_dual_mov_b32 v23, 0
	s_mov_b32 s6, 0
.LBB126_14:                             ; =>This Inner Loop Header: Depth=1
	global_load_b32 v32, v[14:15], off
	s_clause 0x1
	global_load_b128 v[24:27], v[16:17], off offset:16
	global_load_b128 v[28:31], v[16:17], off
	s_wait_loadcnt 0x2
	v_subrev_nc_u32_e32 v32, s12, v32
	s_delay_alu instid0(VALU_DEP_1) | instskip(NEXT) | instid1(VALU_DEP_1)
	v_lshl_add_u32 v32, v32, 1, v32
	v_ashrrev_i32_e32 v33, 31, v32
	s_delay_alu instid0(VALU_DEP_1) | instskip(SKIP_1) | instid1(VALU_DEP_1)
	v_lshlrev_b64_e32 v[32:33], 3, v[32:33]
	s_wait_kmcnt 0x0
	v_add_co_u32 v36, vcc_lo, s4, v32
	s_wait_alu 0xfffd
	s_delay_alu instid0(VALU_DEP_2)
	v_add_co_ci_u32_e64 v37, null, s5, v33, vcc_lo
	s_clause 0x1
	global_load_b128 v[32:35], v[36:37], off
	global_load_b64 v[36:37], v[36:37], off offset:16
	global_load_b32 v38, v[16:17], off offset:32
	v_add_co_u32 v16, vcc_lo, 0x120, v16
	s_wait_alu 0xfffd
	v_add_co_ci_u32_e64 v17, null, 0, v17, vcc_lo
	v_add_co_u32 v12, vcc_lo, v12, 8
	s_wait_alu 0xfffd
	v_add_co_ci_u32_e64 v13, null, 0, v13, vcc_lo
	v_add_co_u32 v14, vcc_lo, v14, 32
	s_wait_alu 0xfffd
	v_add_co_ci_u32_e64 v15, null, 0, v15, vcc_lo
	s_delay_alu instid0(VALU_DEP_3) | instskip(SKIP_4) | instid1(VALU_DEP_1)
	v_cmp_ge_i64_e32 vcc_lo, v[12:13], v[10:11]
	s_wait_alu 0xfffe
	s_or_b32 s6, vcc_lo, s6
	s_wait_loadcnt 0x2
	v_fmac_f32_e32 v20, 0, v32
	v_dual_fmac_f32 v19, v28, v32 :: v_dual_fmac_f32 v20, v31, v33
	s_delay_alu instid0(VALU_DEP_1) | instskip(NEXT) | instid1(VALU_DEP_1)
	v_dual_fmac_f32 v18, 0, v32 :: v_dual_fmac_f32 v19, 0x80000000, v33
	v_dual_fmac_f32 v21, v31, v32 :: v_dual_fmac_f32 v18, v28, v33
	v_fmac_f32_e32 v23, v26, v32
	s_delay_alu instid0(VALU_DEP_2) | instskip(NEXT) | instid1(VALU_DEP_4)
	v_fmac_f32_e32 v21, 0x80000000, v33
	v_fmac_f32_e32 v19, v29, v34
	;; [unrolled: 1-line block ×4, first 2 shown]
	v_dual_fmac_f32 v22, 0, v32 :: v_dual_fmac_f32 v23, 0x80000000, v33
	v_fmac_f32_e32 v21, v24, v34
	v_fmac_f32_e32 v19, 0x80000000, v35
	s_delay_alu instid0(VALU_DEP_4) | instskip(NEXT) | instid1(VALU_DEP_4)
	v_fmac_f32_e32 v18, v29, v35
	v_dual_fmac_f32 v22, v26, v33 :: v_dual_fmac_f32 v23, v27, v34
	v_fmac_f32_e32 v20, v24, v35
	v_fmac_f32_e32 v21, 0x80000000, v35
	s_wait_loadcnt 0x1
	s_delay_alu instid0(VALU_DEP_3) | instskip(SKIP_1) | instid1(VALU_DEP_3)
	v_dual_fmac_f32 v19, v30, v36 :: v_dual_fmac_f32 v22, 0, v34
	v_dual_fmac_f32 v23, 0x80000000, v35 :: v_dual_fmac_f32 v18, 0, v36
	v_fmac_f32_e32 v21, v25, v36
	s_delay_alu instid0(VALU_DEP_3) | instskip(SKIP_1) | instid1(VALU_DEP_3)
	v_dual_fmac_f32 v20, 0, v36 :: v_dual_fmac_f32 v19, 0x80000000, v37
	s_wait_loadcnt 0x0
	v_dual_fmac_f32 v22, v27, v35 :: v_dual_fmac_f32 v23, v38, v36
	v_fmac_f32_e32 v18, v30, v37
	v_fmac_f32_e32 v21, 0x80000000, v37
	;; [unrolled: 1-line block ×3, first 2 shown]
	s_delay_alu instid0(VALU_DEP_4) | instskip(NEXT) | instid1(VALU_DEP_1)
	v_dual_fmac_f32 v22, 0, v36 :: v_dual_fmac_f32 v23, 0x80000000, v37
	v_fmac_f32_e32 v22, v38, v37
	s_wait_alu 0xfffe
	s_and_not1_b32 exec_lo, exec_lo, s6
	s_cbranch_execnz .LBB126_14
; %bb.15:
	s_or_b32 exec_lo, exec_lo, s6
.LBB126_16:
	s_wait_alu 0xfffe
	s_or_b32 exec_lo, exec_lo, s3
	s_cbranch_execz .LBB126_18
	s_branch .LBB126_23
.LBB126_17:
                                        ; implicit-def: $vgpr18
                                        ; implicit-def: $vgpr19
                                        ; implicit-def: $vgpr20
                                        ; implicit-def: $vgpr21
                                        ; implicit-def: $vgpr22
                                        ; implicit-def: $vgpr23
.LBB126_18:
	v_dual_mov_b32 v18, 0 :: v_dual_mov_b32 v19, 0
	v_dual_mov_b32 v20, 0 :: v_dual_mov_b32 v21, 0
	;; [unrolled: 1-line block ×3, first 2 shown]
	s_and_saveexec_b32 s3, s2
	s_cbranch_execz .LBB126_22
; %bb.19:
	v_lshlrev_b64_e32 v[12:13], 2, v[0:1]
	v_dual_mov_b32 v18, 0 :: v_dual_mov_b32 v19, 0
	v_dual_mov_b32 v20, 0 :: v_dual_mov_b32 v21, 0
	;; [unrolled: 1-line block ×3, first 2 shown]
	s_delay_alu instid0(VALU_DEP_4)
	v_add_co_u32 v12, vcc_lo, s8, v12
	s_wait_alu 0xfffd
	v_add_co_ci_u32_e64 v13, null, s9, v13, vcc_lo
	s_mov_b32 s2, 0
.LBB126_20:                             ; =>This Inner Loop Header: Depth=1
	global_load_b32 v28, v[12:13], off
	s_clause 0x1
	global_load_b128 v[14:17], v[8:9], off offset:16
	global_load_b128 v[24:27], v[8:9], off
	s_wait_loadcnt 0x2
	v_subrev_nc_u32_e32 v28, s12, v28
	s_delay_alu instid0(VALU_DEP_1) | instskip(NEXT) | instid1(VALU_DEP_1)
	v_lshl_add_u32 v28, v28, 1, v28
	v_ashrrev_i32_e32 v29, 31, v28
	s_delay_alu instid0(VALU_DEP_1) | instskip(SKIP_1) | instid1(VALU_DEP_1)
	v_lshlrev_b64_e32 v[28:29], 3, v[28:29]
	s_wait_kmcnt 0x0
	v_add_co_u32 v32, vcc_lo, s4, v28
	s_wait_alu 0xfffd
	s_delay_alu instid0(VALU_DEP_2)
	v_add_co_ci_u32_e64 v33, null, s5, v29, vcc_lo
	s_clause 0x1
	global_load_b128 v[28:31], v[32:33], off
	global_load_b64 v[32:33], v[32:33], off offset:16
	global_load_b32 v34, v[8:9], off offset:32
	v_add_co_u32 v8, vcc_lo, 0x120, v8
	s_wait_alu 0xfffd
	v_add_co_ci_u32_e64 v9, null, 0, v9, vcc_lo
	v_add_co_u32 v0, vcc_lo, v0, 8
	s_wait_alu 0xfffd
	v_add_co_ci_u32_e64 v1, null, 0, v1, vcc_lo
	;; [unrolled: 3-line block ×3, first 2 shown]
	s_delay_alu instid0(VALU_DEP_3) | instskip(SKIP_4) | instid1(VALU_DEP_1)
	v_cmp_ge_i64_e32 vcc_lo, v[0:1], v[10:11]
	s_wait_alu 0xfffe
	s_or_b32 s2, vcc_lo, s2
	s_wait_loadcnt 0x2
	v_fmac_f32_e32 v20, 0, v28
	v_dual_fmac_f32 v19, v24, v28 :: v_dual_fmac_f32 v20, v25, v29
	s_delay_alu instid0(VALU_DEP_1) | instskip(NEXT) | instid1(VALU_DEP_1)
	v_dual_fmac_f32 v18, 0, v28 :: v_dual_fmac_f32 v19, 0x80000000, v29
	v_dual_fmac_f32 v21, v25, v28 :: v_dual_fmac_f32 v18, v24, v29
	v_fmac_f32_e32 v23, v26, v28
	s_delay_alu instid0(VALU_DEP_2) | instskip(NEXT) | instid1(VALU_DEP_4)
	v_fmac_f32_e32 v21, 0x80000000, v29
	v_fmac_f32_e32 v19, v27, v30
	;; [unrolled: 1-line block ×4, first 2 shown]
	v_dual_fmac_f32 v22, 0, v28 :: v_dual_fmac_f32 v23, 0x80000000, v29
	v_fmac_f32_e32 v21, v14, v30
	v_fmac_f32_e32 v19, 0x80000000, v31
	s_delay_alu instid0(VALU_DEP_4) | instskip(NEXT) | instid1(VALU_DEP_4)
	v_fmac_f32_e32 v18, v27, v31
	v_dual_fmac_f32 v22, v26, v29 :: v_dual_fmac_f32 v23, v15, v30
	v_fmac_f32_e32 v20, v14, v31
	v_fmac_f32_e32 v21, 0x80000000, v31
	s_wait_loadcnt 0x1
	s_delay_alu instid0(VALU_DEP_3) | instskip(SKIP_1) | instid1(VALU_DEP_3)
	v_dual_fmac_f32 v19, v16, v32 :: v_dual_fmac_f32 v22, 0, v30
	v_dual_fmac_f32 v23, 0x80000000, v31 :: v_dual_fmac_f32 v18, 0, v32
	v_fmac_f32_e32 v21, v17, v32
	s_delay_alu instid0(VALU_DEP_3) | instskip(SKIP_1) | instid1(VALU_DEP_3)
	v_dual_fmac_f32 v20, 0, v32 :: v_dual_fmac_f32 v19, 0x80000000, v33
	s_wait_loadcnt 0x0
	v_dual_fmac_f32 v22, v15, v31 :: v_dual_fmac_f32 v23, v34, v32
	v_fmac_f32_e32 v18, v16, v33
	v_fmac_f32_e32 v21, 0x80000000, v33
	;; [unrolled: 1-line block ×3, first 2 shown]
	s_delay_alu instid0(VALU_DEP_4) | instskip(NEXT) | instid1(VALU_DEP_1)
	v_dual_fmac_f32 v22, 0, v32 :: v_dual_fmac_f32 v23, 0x80000000, v33
	v_fmac_f32_e32 v22, v34, v33
	s_wait_alu 0xfffe
	s_and_not1_b32 exec_lo, exec_lo, s2
	s_cbranch_execnz .LBB126_20
; %bb.21:
	s_or_b32 exec_lo, exec_lo, s2
.LBB126_22:
	s_wait_alu 0xfffe
	s_or_b32 exec_lo, exec_lo, s3
.LBB126_23:
	v_mbcnt_lo_u32_b32 v0, -1, 0
	s_delay_alu instid0(VALU_DEP_1) | instskip(SKIP_1) | instid1(VALU_DEP_2)
	v_xor_b32_e32 v1, 4, v0
	v_xor_b32_e32 v13, 2, v0
	v_cmp_gt_i32_e32 vcc_lo, 32, v1
	s_wait_alu 0xfffd
	v_cndmask_b32_e32 v1, v0, v1, vcc_lo
	s_delay_alu instid0(VALU_DEP_3) | instskip(NEXT) | instid1(VALU_DEP_2)
	v_cmp_gt_i32_e32 vcc_lo, 32, v13
	v_lshlrev_b32_e32 v1, 2, v1
	ds_bpermute_b32 v10, v1, v21
	s_wait_dscnt 0x0
	v_add_f32_e32 v10, v21, v10
	ds_bpermute_b32 v8, v1, v19
	ds_bpermute_b32 v12, v1, v23
	;; [unrolled: 1-line block ×5, first 2 shown]
	s_wait_dscnt 0x4
	s_wait_alu 0xfffd
	v_dual_cndmask_b32 v13, v0, v13 :: v_dual_add_f32 v8, v19, v8
	v_xor_b32_e32 v19, 1, v0
	s_wait_dscnt 0x2
	v_dual_add_f32 v12, v23, v12 :: v_dual_add_f32 v9, v18, v9
	s_wait_dscnt 0x0
	v_dual_add_f32 v11, v20, v11 :: v_dual_add_f32 v14, v22, v1
	v_cmp_gt_i32_e32 vcc_lo, 32, v19
	s_wait_alu 0xfffd
	v_dual_cndmask_b32 v0, v0, v19 :: v_dual_lshlrev_b32 v13, 2, v13
	ds_bpermute_b32 v1, v13, v8
	ds_bpermute_b32 v16, v13, v10
	;; [unrolled: 1-line block ×4, first 2 shown]
	v_lshlrev_b32_e32 v19, 2, v0
	v_cmp_eq_u32_e32 vcc_lo, 7, v3
	s_wait_dscnt 0x3
	v_add_f32_e32 v0, v8, v1
	s_wait_dscnt 0x2
	v_add_f32_e32 v8, v10, v16
	;; [unrolled: 2-line block ×3, first 2 shown]
	ds_bpermute_b32 v15, v13, v9
	ds_bpermute_b32 v13, v13, v14
	;; [unrolled: 1-line block ×4, first 2 shown]
	s_wait_dscnt 0x3
	v_add_f32_e32 v1, v9, v15
	v_add_f32_e32 v9, v11, v17
	s_wait_dscnt 0x2
	v_add_f32_e32 v11, v14, v13
	ds_bpermute_b32 v14, v19, v8
	ds_bpermute_b32 v13, v19, v1
	;; [unrolled: 1-line block ×4, first 2 shown]
	s_and_b32 exec_lo, exec_lo, vcc_lo
	s_cbranch_execz .LBB126_8
; %bb.24:
	s_wait_dscnt 0x2
	v_dual_add_f32 v12, v0, v12 :: v_dual_add_f32 v1, v1, v13
	s_load_b64 s[2:3], s[0:1], 0x50
	v_dual_add_f32 v13, v8, v14 :: v_dual_add_f32 v14, v10, v16
	v_lshl_add_u32 v10, v2, 1, v2
	s_delay_alu instid0(VALU_DEP_3)
	v_mul_f32_e64 v0, v1, -v7
	s_wait_dscnt 0x1
	v_add_f32_e32 v3, v9, v15
	s_wait_dscnt 0x0
	v_add_f32_e32 v9, v11, v17
	v_mul_f32_e32 v1, v6, v1
	v_cmp_eq_f32_e32 vcc_lo, 0, v4
	v_fmac_f32_e32 v0, v6, v12
	v_mul_f32_e64 v2, v3, -v7
	v_mul_f32_e64 v8, v9, -v7
	v_mul_f32_e32 v3, v6, v3
	v_cmp_eq_f32_e64 s0, 0, v5
	s_delay_alu instid0(VALU_DEP_4) | instskip(NEXT) | instid1(VALU_DEP_4)
	v_dual_fmac_f32 v1, v7, v12 :: v_dual_fmac_f32 v2, v6, v13
	v_fmac_f32_e32 v8, v6, v14
	v_mul_f32_e32 v9, v6, v9
	v_ashrrev_i32_e32 v11, 31, v10
	v_fmac_f32_e32 v3, v7, v13
	s_and_b32 s0, vcc_lo, s0
	s_delay_alu instid0(VALU_DEP_3)
	v_fmac_f32_e32 v9, v7, v14
	s_wait_alu 0xfffe
	s_and_saveexec_b32 s1, s0
	s_wait_alu 0xfffe
	s_xor_b32 s0, exec_lo, s1
	s_cbranch_execz .LBB126_26
; %bb.25:
	v_lshlrev_b64_e32 v[4:5], 3, v[10:11]
                                        ; implicit-def: $vgpr10
	s_wait_kmcnt 0x0
	s_delay_alu instid0(VALU_DEP_1) | instskip(SKIP_1) | instid1(VALU_DEP_2)
	v_add_co_u32 v4, vcc_lo, s2, v4
	s_wait_alu 0xfffd
	v_add_co_ci_u32_e64 v5, null, s3, v5, vcc_lo
	s_clause 0x1
	global_store_b128 v[4:5], v[0:3], off
	global_store_b64 v[4:5], v[8:9], off offset:16
                                        ; implicit-def: $vgpr4_vgpr5
                                        ; implicit-def: $vgpr0
                                        ; implicit-def: $vgpr8
.LBB126_26:
	s_wait_alu 0xfffe
	s_and_not1_saveexec_b32 s0, s0
	s_cbranch_execz .LBB126_8
; %bb.27:
	v_lshlrev_b64_e32 v[6:7], 3, v[10:11]
	s_wait_kmcnt 0x0
	s_delay_alu instid0(VALU_DEP_1) | instskip(SKIP_1) | instid1(VALU_DEP_2)
	v_add_co_u32 v6, vcc_lo, s2, v6
	s_wait_alu 0xfffd
	v_add_co_ci_u32_e64 v7, null, s3, v7, vcc_lo
	s_clause 0x1
	global_load_b128 v[10:13], v[6:7], off
	global_load_b64 v[14:15], v[6:7], off offset:16
	s_wait_loadcnt 0x1
	v_dual_fmac_f32 v0, v4, v10 :: v_dual_fmac_f32 v3, v5, v12
	v_dual_fmac_f32 v1, v5, v10 :: v_dual_fmac_f32 v2, v4, v12
	s_wait_loadcnt 0x0
	v_fmac_f32_e32 v8, v4, v14
	v_fmac_f32_e32 v9, v5, v14
	v_fma_f32 v0, -v5, v11, v0
	v_fmac_f32_e32 v1, v4, v11
	v_fma_f32 v2, -v5, v13, v2
	;; [unrolled: 2-line block ×3, first 2 shown]
	v_fmac_f32_e32 v9, v4, v15
	s_clause 0x1
	global_store_b128 v[6:7], v[0:3], off
	global_store_b64 v[6:7], v[8:9], off offset:16
	s_endpgm
	.section	.rodata,"a",@progbits
	.p2align	6, 0x0
	.amdhsa_kernel _ZN9rocsparseL18bsrxmvn_3x3_kernelILj256ELj8E21rocsparse_complex_numIfElifS2_S2_EEvT3_20rocsparse_direction_NS_24const_host_device_scalarIT1_EES3_PKS3_PKT2_SC_S9_PKT4_PKT5_S7_PT6_21rocsparse_index_base_b
		.amdhsa_group_segment_fixed_size 0
		.amdhsa_private_segment_fixed_size 0
		.amdhsa_kernarg_size 96
		.amdhsa_user_sgpr_count 2
		.amdhsa_user_sgpr_dispatch_ptr 0
		.amdhsa_user_sgpr_queue_ptr 0
		.amdhsa_user_sgpr_kernarg_segment_ptr 1
		.amdhsa_user_sgpr_dispatch_id 0
		.amdhsa_user_sgpr_private_segment_size 0
		.amdhsa_wavefront_size32 1
		.amdhsa_uses_dynamic_stack 0
		.amdhsa_enable_private_segment 0
		.amdhsa_system_sgpr_workgroup_id_x 1
		.amdhsa_system_sgpr_workgroup_id_y 0
		.amdhsa_system_sgpr_workgroup_id_z 0
		.amdhsa_system_sgpr_workgroup_info 0
		.amdhsa_system_vgpr_workitem_id 0
		.amdhsa_next_free_vgpr 39
		.amdhsa_next_free_sgpr 14
		.amdhsa_reserve_vcc 1
		.amdhsa_float_round_mode_32 0
		.amdhsa_float_round_mode_16_64 0
		.amdhsa_float_denorm_mode_32 3
		.amdhsa_float_denorm_mode_16_64 3
		.amdhsa_fp16_overflow 0
		.amdhsa_workgroup_processor_mode 1
		.amdhsa_memory_ordered 1
		.amdhsa_forward_progress 1
		.amdhsa_inst_pref_size 20
		.amdhsa_round_robin_scheduling 0
		.amdhsa_exception_fp_ieee_invalid_op 0
		.amdhsa_exception_fp_denorm_src 0
		.amdhsa_exception_fp_ieee_div_zero 0
		.amdhsa_exception_fp_ieee_overflow 0
		.amdhsa_exception_fp_ieee_underflow 0
		.amdhsa_exception_fp_ieee_inexact 0
		.amdhsa_exception_int_div_zero 0
	.end_amdhsa_kernel
	.section	.text._ZN9rocsparseL18bsrxmvn_3x3_kernelILj256ELj8E21rocsparse_complex_numIfElifS2_S2_EEvT3_20rocsparse_direction_NS_24const_host_device_scalarIT1_EES3_PKS3_PKT2_SC_S9_PKT4_PKT5_S7_PT6_21rocsparse_index_base_b,"axG",@progbits,_ZN9rocsparseL18bsrxmvn_3x3_kernelILj256ELj8E21rocsparse_complex_numIfElifS2_S2_EEvT3_20rocsparse_direction_NS_24const_host_device_scalarIT1_EES3_PKS3_PKT2_SC_S9_PKT4_PKT5_S7_PT6_21rocsparse_index_base_b,comdat
.Lfunc_end126:
	.size	_ZN9rocsparseL18bsrxmvn_3x3_kernelILj256ELj8E21rocsparse_complex_numIfElifS2_S2_EEvT3_20rocsparse_direction_NS_24const_host_device_scalarIT1_EES3_PKS3_PKT2_SC_S9_PKT4_PKT5_S7_PT6_21rocsparse_index_base_b, .Lfunc_end126-_ZN9rocsparseL18bsrxmvn_3x3_kernelILj256ELj8E21rocsparse_complex_numIfElifS2_S2_EEvT3_20rocsparse_direction_NS_24const_host_device_scalarIT1_EES3_PKS3_PKT2_SC_S9_PKT4_PKT5_S7_PT6_21rocsparse_index_base_b
                                        ; -- End function
	.set _ZN9rocsparseL18bsrxmvn_3x3_kernelILj256ELj8E21rocsparse_complex_numIfElifS2_S2_EEvT3_20rocsparse_direction_NS_24const_host_device_scalarIT1_EES3_PKS3_PKT2_SC_S9_PKT4_PKT5_S7_PT6_21rocsparse_index_base_b.num_vgpr, 39
	.set _ZN9rocsparseL18bsrxmvn_3x3_kernelILj256ELj8E21rocsparse_complex_numIfElifS2_S2_EEvT3_20rocsparse_direction_NS_24const_host_device_scalarIT1_EES3_PKS3_PKT2_SC_S9_PKT4_PKT5_S7_PT6_21rocsparse_index_base_b.num_agpr, 0
	.set _ZN9rocsparseL18bsrxmvn_3x3_kernelILj256ELj8E21rocsparse_complex_numIfElifS2_S2_EEvT3_20rocsparse_direction_NS_24const_host_device_scalarIT1_EES3_PKS3_PKT2_SC_S9_PKT4_PKT5_S7_PT6_21rocsparse_index_base_b.numbered_sgpr, 14
	.set _ZN9rocsparseL18bsrxmvn_3x3_kernelILj256ELj8E21rocsparse_complex_numIfElifS2_S2_EEvT3_20rocsparse_direction_NS_24const_host_device_scalarIT1_EES3_PKS3_PKT2_SC_S9_PKT4_PKT5_S7_PT6_21rocsparse_index_base_b.num_named_barrier, 0
	.set _ZN9rocsparseL18bsrxmvn_3x3_kernelILj256ELj8E21rocsparse_complex_numIfElifS2_S2_EEvT3_20rocsparse_direction_NS_24const_host_device_scalarIT1_EES3_PKS3_PKT2_SC_S9_PKT4_PKT5_S7_PT6_21rocsparse_index_base_b.private_seg_size, 0
	.set _ZN9rocsparseL18bsrxmvn_3x3_kernelILj256ELj8E21rocsparse_complex_numIfElifS2_S2_EEvT3_20rocsparse_direction_NS_24const_host_device_scalarIT1_EES3_PKS3_PKT2_SC_S9_PKT4_PKT5_S7_PT6_21rocsparse_index_base_b.uses_vcc, 1
	.set _ZN9rocsparseL18bsrxmvn_3x3_kernelILj256ELj8E21rocsparse_complex_numIfElifS2_S2_EEvT3_20rocsparse_direction_NS_24const_host_device_scalarIT1_EES3_PKS3_PKT2_SC_S9_PKT4_PKT5_S7_PT6_21rocsparse_index_base_b.uses_flat_scratch, 0
	.set _ZN9rocsparseL18bsrxmvn_3x3_kernelILj256ELj8E21rocsparse_complex_numIfElifS2_S2_EEvT3_20rocsparse_direction_NS_24const_host_device_scalarIT1_EES3_PKS3_PKT2_SC_S9_PKT4_PKT5_S7_PT6_21rocsparse_index_base_b.has_dyn_sized_stack, 0
	.set _ZN9rocsparseL18bsrxmvn_3x3_kernelILj256ELj8E21rocsparse_complex_numIfElifS2_S2_EEvT3_20rocsparse_direction_NS_24const_host_device_scalarIT1_EES3_PKS3_PKT2_SC_S9_PKT4_PKT5_S7_PT6_21rocsparse_index_base_b.has_recursion, 0
	.set _ZN9rocsparseL18bsrxmvn_3x3_kernelILj256ELj8E21rocsparse_complex_numIfElifS2_S2_EEvT3_20rocsparse_direction_NS_24const_host_device_scalarIT1_EES3_PKS3_PKT2_SC_S9_PKT4_PKT5_S7_PT6_21rocsparse_index_base_b.has_indirect_call, 0
	.section	.AMDGPU.csdata,"",@progbits
; Kernel info:
; codeLenInByte = 2508
; TotalNumSgprs: 16
; NumVgprs: 39
; ScratchSize: 0
; MemoryBound: 0
; FloatMode: 240
; IeeeMode: 1
; LDSByteSize: 0 bytes/workgroup (compile time only)
; SGPRBlocks: 0
; VGPRBlocks: 4
; NumSGPRsForWavesPerEU: 16
; NumVGPRsForWavesPerEU: 39
; Occupancy: 16
; WaveLimiterHint : 1
; COMPUTE_PGM_RSRC2:SCRATCH_EN: 0
; COMPUTE_PGM_RSRC2:USER_SGPR: 2
; COMPUTE_PGM_RSRC2:TRAP_HANDLER: 0
; COMPUTE_PGM_RSRC2:TGID_X_EN: 1
; COMPUTE_PGM_RSRC2:TGID_Y_EN: 0
; COMPUTE_PGM_RSRC2:TGID_Z_EN: 0
; COMPUTE_PGM_RSRC2:TIDIG_COMP_CNT: 0
	.section	.text._ZN9rocsparseL18bsrxmvn_3x3_kernelILj256ELj16E21rocsparse_complex_numIfElifS2_S2_EEvT3_20rocsparse_direction_NS_24const_host_device_scalarIT1_EES3_PKS3_PKT2_SC_S9_PKT4_PKT5_S7_PT6_21rocsparse_index_base_b,"axG",@progbits,_ZN9rocsparseL18bsrxmvn_3x3_kernelILj256ELj16E21rocsparse_complex_numIfElifS2_S2_EEvT3_20rocsparse_direction_NS_24const_host_device_scalarIT1_EES3_PKS3_PKT2_SC_S9_PKT4_PKT5_S7_PT6_21rocsparse_index_base_b,comdat
	.globl	_ZN9rocsparseL18bsrxmvn_3x3_kernelILj256ELj16E21rocsparse_complex_numIfElifS2_S2_EEvT3_20rocsparse_direction_NS_24const_host_device_scalarIT1_EES3_PKS3_PKT2_SC_S9_PKT4_PKT5_S7_PT6_21rocsparse_index_base_b ; -- Begin function _ZN9rocsparseL18bsrxmvn_3x3_kernelILj256ELj16E21rocsparse_complex_numIfElifS2_S2_EEvT3_20rocsparse_direction_NS_24const_host_device_scalarIT1_EES3_PKS3_PKT2_SC_S9_PKT4_PKT5_S7_PT6_21rocsparse_index_base_b
	.p2align	8
	.type	_ZN9rocsparseL18bsrxmvn_3x3_kernelILj256ELj16E21rocsparse_complex_numIfElifS2_S2_EEvT3_20rocsparse_direction_NS_24const_host_device_scalarIT1_EES3_PKS3_PKT2_SC_S9_PKT4_PKT5_S7_PT6_21rocsparse_index_base_b,@function
_ZN9rocsparseL18bsrxmvn_3x3_kernelILj256ELj16E21rocsparse_complex_numIfElifS2_S2_EEvT3_20rocsparse_direction_NS_24const_host_device_scalarIT1_EES3_PKS3_PKT2_SC_S9_PKT4_PKT5_S7_PT6_21rocsparse_index_base_b: ; @_ZN9rocsparseL18bsrxmvn_3x3_kernelILj256ELj16E21rocsparse_complex_numIfElifS2_S2_EEvT3_20rocsparse_direction_NS_24const_host_device_scalarIT1_EES3_PKS3_PKT2_SC_S9_PKT4_PKT5_S7_PT6_21rocsparse_index_base_b
; %bb.0:
	s_clause 0x2
	s_load_b64 s[12:13], s[0:1], 0x58
	s_load_b64 s[2:3], s[0:1], 0x8
	;; [unrolled: 1-line block ×3, first 2 shown]
	s_add_nc_u64 s[6:7], s[0:1], 8
	s_wait_kmcnt 0x0
	s_bitcmp1_b32 s13, 0
	s_cselect_b32 s2, s6, s2
	s_cselect_b32 s3, s7, s3
	s_delay_alu instid0(SALU_CYCLE_1)
	v_dual_mov_b32 v1, s2 :: v_dual_mov_b32 v2, s3
	s_add_nc_u64 s[2:3], s[0:1], 0x48
	s_wait_alu 0xfffe
	s_cselect_b32 s2, s2, s4
	s_cselect_b32 s3, s3, s5
	flat_load_b64 v[6:7], v[1:2]
	s_wait_alu 0xfffe
	v_dual_mov_b32 v1, s2 :: v_dual_mov_b32 v2, s3
	flat_load_b64 v[4:5], v[1:2]
	s_wait_loadcnt_dscnt 0x101
	v_cmp_eq_f32_e32 vcc_lo, 0, v6
	v_cmp_eq_f32_e64 s2, 0, v7
	s_and_b32 s4, vcc_lo, s2
	s_mov_b32 s2, -1
	s_and_saveexec_b32 s3, s4
	s_cbranch_execz .LBB127_2
; %bb.1:
	s_wait_loadcnt_dscnt 0x0
	v_cmp_neq_f32_e32 vcc_lo, 1.0, v4
	v_cmp_neq_f32_e64 s2, 0, v5
	s_wait_alu 0xfffe
	s_or_b32 s2, vcc_lo, s2
	s_wait_alu 0xfffe
	s_or_not1_b32 s2, s2, exec_lo
.LBB127_2:
	s_wait_alu 0xfffe
	s_or_b32 exec_lo, exec_lo, s3
	s_and_saveexec_b32 s3, s2
	s_cbranch_execz .LBB127_8
; %bb.3:
	s_clause 0x1
	s_load_b64 s[4:5], s[0:1], 0x18
	s_load_b64 s[2:3], s[0:1], 0x0
	v_lshrrev_b32_e32 v1, 4, v0
	s_delay_alu instid0(VALU_DEP_1)
	v_lshl_or_b32 v2, ttmp9, 4, v1
	s_wait_kmcnt 0x0
	s_cmp_lg_u64 s[4:5], 0
	s_cbranch_scc0 .LBB127_9
; %bb.4:
	s_load_b32 s6, s[0:1], 0x10
	s_mov_b32 s7, 0
                                        ; implicit-def: $vgpr1
	s_wait_kmcnt 0x0
	v_cmp_gt_i32_e32 vcc_lo, s6, v2
	s_mov_b32 s6, 0
	s_and_saveexec_b32 s8, vcc_lo
	s_delay_alu instid0(SALU_CYCLE_1)
	s_xor_b32 s8, exec_lo, s8
	s_cbranch_execz .LBB127_6
; %bb.5:
	v_ashrrev_i32_e32 v3, 31, v2
	s_mov_b32 s6, exec_lo
	s_delay_alu instid0(VALU_DEP_1) | instskip(NEXT) | instid1(VALU_DEP_1)
	v_lshlrev_b64_e32 v[8:9], 2, v[2:3]
	v_add_co_u32 v8, vcc_lo, s4, v8
	s_delay_alu instid0(VALU_DEP_1)
	v_add_co_ci_u32_e64 v9, null, s5, v9, vcc_lo
	global_load_b32 v1, v[8:9], off
	s_wait_loadcnt 0x0
	v_subrev_nc_u32_e32 v1, s12, v1
.LBB127_6:
	s_or_b32 exec_lo, exec_lo, s8
	s_delay_alu instid0(SALU_CYCLE_1)
	s_and_b32 vcc_lo, exec_lo, s7
	s_wait_alu 0xfffe
	s_cbranch_vccz .LBB127_10
.LBB127_7:
	v_cmp_gt_i32_e32 vcc_lo, s2, v2
	s_and_not1_b32 s2, s6, exec_lo
	s_and_b32 s4, vcc_lo, exec_lo
	s_wait_alu 0xfffe
	s_or_b32 s6, s2, s4
	s_wait_alu 0xfffe
	s_and_b32 exec_lo, exec_lo, s6
	s_cbranch_execnz .LBB127_11
.LBB127_8:
	s_endpgm
.LBB127_9:
	s_mov_b32 s6, 0
                                        ; implicit-def: $vgpr1
	s_cbranch_execnz .LBB127_7
.LBB127_10:
	v_mov_b32_e32 v2, v1
	s_and_b32 exec_lo, exec_lo, s6
	s_cbranch_execz .LBB127_8
.LBB127_11:
	s_load_b256 s[4:11], s[0:1], 0x20
	s_delay_alu instid0(VALU_DEP_1) | instskip(SKIP_1) | instid1(VALU_DEP_2)
	v_ashrrev_i32_e32 v3, 31, v2
	v_mov_b32_e32 v18, 0
	v_lshlrev_b64_e32 v[8:9], 3, v[2:3]
	s_wait_kmcnt 0x0
	s_delay_alu instid0(VALU_DEP_1) | instskip(SKIP_1) | instid1(VALU_DEP_2)
	v_add_co_u32 v10, vcc_lo, s4, v8
	s_wait_alu 0xfffd
	v_add_co_ci_u32_e64 v11, null, s5, v9, vcc_lo
	v_add_co_u32 v1, vcc_lo, s6, v8
	s_wait_alu 0xfffd
	v_add_co_ci_u32_e64 v3, null, s7, v9, vcc_lo
	global_load_b64 v[12:13], v[10:11], off
	v_add_co_u32 v8, vcc_lo, v10, 8
	s_wait_alu 0xfffd
	v_add_co_ci_u32_e64 v9, null, 0, v11, vcc_lo
	s_cmp_eq_u64 s[6:7], 0
	s_load_b64 s[4:5], s[0:1], 0x40
	s_cselect_b32 vcc_lo, -1, 0
	s_cmp_eq_u32 s3, 1
	s_wait_alu 0xfffe
	v_dual_cndmask_b32 v9, v3, v9 :: v_dual_cndmask_b32 v8, v1, v8
	v_and_b32_e32 v3, 15, v0
	global_load_b64 v[10:11], v[8:9], off
	s_wait_loadcnt 0x1
	v_sub_co_u32 v0, vcc_lo, v12, s12
	s_wait_alu 0xfffd
	v_subrev_co_ci_u32_e64 v1, null, 0, v13, vcc_lo
	s_delay_alu instid0(VALU_DEP_2) | instskip(SKIP_1) | instid1(VALU_DEP_2)
	v_add_co_u32 v0, vcc_lo, v0, v3
	s_wait_alu 0xfffd
	v_add_co_ci_u32_e64 v1, null, 0, v1, vcc_lo
	s_delay_alu instid0(VALU_DEP_2) | instskip(SKIP_1) | instid1(VALU_DEP_1)
	v_mad_co_u64_u32 v[8:9], null, v0, 36, s[10:11]
	s_wait_loadcnt 0x0
	v_mad_co_u64_u32 v[12:13], null, v1, 36, v[9:10]
	v_sub_co_u32 v10, vcc_lo, v10, s12
	s_wait_alu 0xfffd
	v_subrev_co_ci_u32_e64 v11, null, 0, v11, vcc_lo
	s_delay_alu instid0(VALU_DEP_3) | instskip(NEXT) | instid1(VALU_DEP_2)
	v_mov_b32_e32 v9, v12
	v_cmp_lt_i64_e64 s2, v[0:1], v[10:11]
	s_cbranch_scc1 .LBB127_17
; %bb.12:
	v_dual_mov_b32 v19, 0 :: v_dual_mov_b32 v20, 0
	v_dual_mov_b32 v21, 0 :: v_dual_mov_b32 v22, 0
	v_mov_b32_e32 v23, 0
	s_and_saveexec_b32 s3, s2
	s_cbranch_execz .LBB127_16
; %bb.13:
	v_lshlrev_b64_e32 v[14:15], 2, v[0:1]
	v_dual_mov_b32 v18, 0 :: v_dual_mov_b32 v13, v1
	v_dual_mov_b32 v12, v0 :: v_dual_mov_b32 v17, v9
	;; [unrolled: 1-line block ×3, first 2 shown]
	s_delay_alu instid0(VALU_DEP_4)
	v_add_co_u32 v14, vcc_lo, s8, v14
	s_wait_alu 0xfffd
	v_add_co_ci_u32_e64 v15, null, s9, v15, vcc_lo
	v_dual_mov_b32 v20, 0 :: v_dual_mov_b32 v21, 0
	v_dual_mov_b32 v22, 0 :: v_dual_mov_b32 v23, 0
	s_mov_b32 s6, 0
.LBB127_14:                             ; =>This Inner Loop Header: Depth=1
	global_load_b32 v32, v[14:15], off
	s_clause 0x1
	global_load_b128 v[24:27], v[16:17], off offset:16
	global_load_b128 v[28:31], v[16:17], off
	s_wait_loadcnt 0x2
	v_subrev_nc_u32_e32 v32, s12, v32
	s_delay_alu instid0(VALU_DEP_1) | instskip(NEXT) | instid1(VALU_DEP_1)
	v_lshl_add_u32 v32, v32, 1, v32
	v_ashrrev_i32_e32 v33, 31, v32
	s_delay_alu instid0(VALU_DEP_1) | instskip(SKIP_1) | instid1(VALU_DEP_1)
	v_lshlrev_b64_e32 v[32:33], 3, v[32:33]
	s_wait_kmcnt 0x0
	v_add_co_u32 v36, vcc_lo, s4, v32
	s_wait_alu 0xfffd
	s_delay_alu instid0(VALU_DEP_2)
	v_add_co_ci_u32_e64 v37, null, s5, v33, vcc_lo
	s_clause 0x1
	global_load_b128 v[32:35], v[36:37], off
	global_load_b64 v[36:37], v[36:37], off offset:16
	global_load_b32 v38, v[16:17], off offset:32
	v_add_co_u32 v16, vcc_lo, 0x240, v16
	s_wait_alu 0xfffd
	v_add_co_ci_u32_e64 v17, null, 0, v17, vcc_lo
	v_add_co_u32 v12, vcc_lo, v12, 16
	s_wait_alu 0xfffd
	v_add_co_ci_u32_e64 v13, null, 0, v13, vcc_lo
	;; [unrolled: 3-line block ×3, first 2 shown]
	s_delay_alu instid0(VALU_DEP_3) | instskip(SKIP_4) | instid1(VALU_DEP_1)
	v_cmp_ge_i64_e32 vcc_lo, v[12:13], v[10:11]
	s_wait_alu 0xfffe
	s_or_b32 s6, vcc_lo, s6
	s_wait_loadcnt 0x2
	v_fmac_f32_e32 v20, 0, v32
	v_dual_fmac_f32 v19, v28, v32 :: v_dual_fmac_f32 v20, v31, v33
	s_delay_alu instid0(VALU_DEP_1) | instskip(NEXT) | instid1(VALU_DEP_1)
	v_dual_fmac_f32 v18, 0, v32 :: v_dual_fmac_f32 v19, 0x80000000, v33
	v_dual_fmac_f32 v21, v31, v32 :: v_dual_fmac_f32 v18, v28, v33
	v_fmac_f32_e32 v23, v26, v32
	s_delay_alu instid0(VALU_DEP_2) | instskip(NEXT) | instid1(VALU_DEP_4)
	v_fmac_f32_e32 v21, 0x80000000, v33
	v_fmac_f32_e32 v19, v29, v34
	;; [unrolled: 1-line block ×4, first 2 shown]
	v_dual_fmac_f32 v22, 0, v32 :: v_dual_fmac_f32 v23, 0x80000000, v33
	v_fmac_f32_e32 v21, v24, v34
	v_fmac_f32_e32 v19, 0x80000000, v35
	s_delay_alu instid0(VALU_DEP_4) | instskip(NEXT) | instid1(VALU_DEP_4)
	v_fmac_f32_e32 v18, v29, v35
	v_dual_fmac_f32 v22, v26, v33 :: v_dual_fmac_f32 v23, v27, v34
	v_fmac_f32_e32 v20, v24, v35
	v_fmac_f32_e32 v21, 0x80000000, v35
	s_wait_loadcnt 0x1
	s_delay_alu instid0(VALU_DEP_3) | instskip(SKIP_1) | instid1(VALU_DEP_3)
	v_dual_fmac_f32 v19, v30, v36 :: v_dual_fmac_f32 v22, 0, v34
	v_dual_fmac_f32 v23, 0x80000000, v35 :: v_dual_fmac_f32 v18, 0, v36
	v_fmac_f32_e32 v21, v25, v36
	s_delay_alu instid0(VALU_DEP_3) | instskip(SKIP_1) | instid1(VALU_DEP_3)
	v_dual_fmac_f32 v20, 0, v36 :: v_dual_fmac_f32 v19, 0x80000000, v37
	s_wait_loadcnt 0x0
	v_dual_fmac_f32 v22, v27, v35 :: v_dual_fmac_f32 v23, v38, v36
	v_fmac_f32_e32 v18, v30, v37
	v_fmac_f32_e32 v21, 0x80000000, v37
	;; [unrolled: 1-line block ×3, first 2 shown]
	s_delay_alu instid0(VALU_DEP_4) | instskip(NEXT) | instid1(VALU_DEP_1)
	v_dual_fmac_f32 v22, 0, v36 :: v_dual_fmac_f32 v23, 0x80000000, v37
	v_fmac_f32_e32 v22, v38, v37
	s_wait_alu 0xfffe
	s_and_not1_b32 exec_lo, exec_lo, s6
	s_cbranch_execnz .LBB127_14
; %bb.15:
	s_or_b32 exec_lo, exec_lo, s6
.LBB127_16:
	s_wait_alu 0xfffe
	s_or_b32 exec_lo, exec_lo, s3
	s_cbranch_execz .LBB127_18
	s_branch .LBB127_23
.LBB127_17:
                                        ; implicit-def: $vgpr18
                                        ; implicit-def: $vgpr19
                                        ; implicit-def: $vgpr20
                                        ; implicit-def: $vgpr21
                                        ; implicit-def: $vgpr22
                                        ; implicit-def: $vgpr23
.LBB127_18:
	v_dual_mov_b32 v18, 0 :: v_dual_mov_b32 v19, 0
	v_dual_mov_b32 v20, 0 :: v_dual_mov_b32 v21, 0
	;; [unrolled: 1-line block ×3, first 2 shown]
	s_and_saveexec_b32 s3, s2
	s_cbranch_execz .LBB127_22
; %bb.19:
	v_lshlrev_b64_e32 v[12:13], 2, v[0:1]
	v_dual_mov_b32 v18, 0 :: v_dual_mov_b32 v19, 0
	v_dual_mov_b32 v20, 0 :: v_dual_mov_b32 v21, 0
	;; [unrolled: 1-line block ×3, first 2 shown]
	s_delay_alu instid0(VALU_DEP_4)
	v_add_co_u32 v12, vcc_lo, s8, v12
	s_wait_alu 0xfffd
	v_add_co_ci_u32_e64 v13, null, s9, v13, vcc_lo
	s_mov_b32 s2, 0
.LBB127_20:                             ; =>This Inner Loop Header: Depth=1
	global_load_b32 v28, v[12:13], off
	s_clause 0x1
	global_load_b128 v[14:17], v[8:9], off offset:16
	global_load_b128 v[24:27], v[8:9], off
	s_wait_loadcnt 0x2
	v_subrev_nc_u32_e32 v28, s12, v28
	s_delay_alu instid0(VALU_DEP_1) | instskip(NEXT) | instid1(VALU_DEP_1)
	v_lshl_add_u32 v28, v28, 1, v28
	v_ashrrev_i32_e32 v29, 31, v28
	s_delay_alu instid0(VALU_DEP_1) | instskip(SKIP_1) | instid1(VALU_DEP_1)
	v_lshlrev_b64_e32 v[28:29], 3, v[28:29]
	s_wait_kmcnt 0x0
	v_add_co_u32 v32, vcc_lo, s4, v28
	s_wait_alu 0xfffd
	s_delay_alu instid0(VALU_DEP_2)
	v_add_co_ci_u32_e64 v33, null, s5, v29, vcc_lo
	s_clause 0x1
	global_load_b128 v[28:31], v[32:33], off
	global_load_b64 v[32:33], v[32:33], off offset:16
	global_load_b32 v34, v[8:9], off offset:32
	v_add_co_u32 v8, vcc_lo, 0x240, v8
	s_wait_alu 0xfffd
	v_add_co_ci_u32_e64 v9, null, 0, v9, vcc_lo
	v_add_co_u32 v0, vcc_lo, v0, 16
	s_wait_alu 0xfffd
	v_add_co_ci_u32_e64 v1, null, 0, v1, vcc_lo
	;; [unrolled: 3-line block ×3, first 2 shown]
	s_delay_alu instid0(VALU_DEP_3) | instskip(SKIP_4) | instid1(VALU_DEP_1)
	v_cmp_ge_i64_e32 vcc_lo, v[0:1], v[10:11]
	s_wait_alu 0xfffe
	s_or_b32 s2, vcc_lo, s2
	s_wait_loadcnt 0x2
	v_fmac_f32_e32 v20, 0, v28
	v_dual_fmac_f32 v19, v24, v28 :: v_dual_fmac_f32 v20, v25, v29
	s_delay_alu instid0(VALU_DEP_1) | instskip(NEXT) | instid1(VALU_DEP_1)
	v_dual_fmac_f32 v18, 0, v28 :: v_dual_fmac_f32 v19, 0x80000000, v29
	v_dual_fmac_f32 v21, v25, v28 :: v_dual_fmac_f32 v18, v24, v29
	v_fmac_f32_e32 v23, v26, v28
	s_delay_alu instid0(VALU_DEP_2) | instskip(NEXT) | instid1(VALU_DEP_4)
	v_fmac_f32_e32 v21, 0x80000000, v29
	v_fmac_f32_e32 v19, v27, v30
	;; [unrolled: 1-line block ×4, first 2 shown]
	v_dual_fmac_f32 v22, 0, v28 :: v_dual_fmac_f32 v23, 0x80000000, v29
	v_fmac_f32_e32 v21, v14, v30
	v_fmac_f32_e32 v19, 0x80000000, v31
	s_delay_alu instid0(VALU_DEP_4) | instskip(NEXT) | instid1(VALU_DEP_4)
	v_fmac_f32_e32 v18, v27, v31
	v_dual_fmac_f32 v22, v26, v29 :: v_dual_fmac_f32 v23, v15, v30
	v_fmac_f32_e32 v20, v14, v31
	v_fmac_f32_e32 v21, 0x80000000, v31
	s_wait_loadcnt 0x1
	s_delay_alu instid0(VALU_DEP_3) | instskip(SKIP_1) | instid1(VALU_DEP_3)
	v_dual_fmac_f32 v19, v16, v32 :: v_dual_fmac_f32 v22, 0, v30
	v_dual_fmac_f32 v23, 0x80000000, v31 :: v_dual_fmac_f32 v18, 0, v32
	v_fmac_f32_e32 v21, v17, v32
	s_delay_alu instid0(VALU_DEP_3) | instskip(SKIP_1) | instid1(VALU_DEP_3)
	v_dual_fmac_f32 v20, 0, v32 :: v_dual_fmac_f32 v19, 0x80000000, v33
	s_wait_loadcnt 0x0
	v_dual_fmac_f32 v22, v15, v31 :: v_dual_fmac_f32 v23, v34, v32
	v_fmac_f32_e32 v18, v16, v33
	v_fmac_f32_e32 v21, 0x80000000, v33
	;; [unrolled: 1-line block ×3, first 2 shown]
	s_delay_alu instid0(VALU_DEP_4) | instskip(NEXT) | instid1(VALU_DEP_1)
	v_dual_fmac_f32 v22, 0, v32 :: v_dual_fmac_f32 v23, 0x80000000, v33
	v_fmac_f32_e32 v22, v34, v33
	s_wait_alu 0xfffe
	s_and_not1_b32 exec_lo, exec_lo, s2
	s_cbranch_execnz .LBB127_20
; %bb.21:
	s_or_b32 exec_lo, exec_lo, s2
.LBB127_22:
	s_wait_alu 0xfffe
	s_or_b32 exec_lo, exec_lo, s3
.LBB127_23:
	v_mbcnt_lo_u32_b32 v0, -1, 0
	s_delay_alu instid0(VALU_DEP_1) | instskip(SKIP_1) | instid1(VALU_DEP_2)
	v_xor_b32_e32 v1, 8, v0
	v_xor_b32_e32 v13, 4, v0
	v_cmp_gt_i32_e32 vcc_lo, 32, v1
	s_wait_alu 0xfffd
	v_cndmask_b32_e32 v1, v0, v1, vcc_lo
	s_delay_alu instid0(VALU_DEP_3) | instskip(NEXT) | instid1(VALU_DEP_2)
	v_cmp_gt_i32_e32 vcc_lo, 32, v13
	v_lshlrev_b32_e32 v1, 2, v1
	ds_bpermute_b32 v10, v1, v21
	s_wait_dscnt 0x0
	v_add_f32_e32 v10, v21, v10
	ds_bpermute_b32 v8, v1, v19
	ds_bpermute_b32 v12, v1, v23
	s_wait_alu 0xfffd
	v_cndmask_b32_e32 v13, v0, v13, vcc_lo
	ds_bpermute_b32 v9, v1, v18
	ds_bpermute_b32 v11, v1, v20
	;; [unrolled: 1-line block ×3, first 2 shown]
	s_wait_dscnt 0x4
	v_add_f32_e32 v8, v19, v8
	s_wait_dscnt 0x3
	v_dual_add_f32 v12, v23, v12 :: v_dual_lshlrev_b32 v13, 2, v13
	s_wait_dscnt 0x2
	v_add_f32_e32 v9, v18, v9
	v_xor_b32_e32 v19, 2, v0
	s_wait_dscnt 0x0
	v_add_f32_e32 v1, v22, v1
	ds_bpermute_b32 v14, v13, v8
	v_cmp_gt_i32_e32 vcc_lo, 32, v19
	s_wait_alu 0xfffd
	v_cndmask_b32_e32 v19, v0, v19, vcc_lo
	s_wait_dscnt 0x0
	v_add_f32_e32 v8, v8, v14
	ds_bpermute_b32 v16, v13, v10
	ds_bpermute_b32 v18, v13, v12
	v_add_f32_e32 v11, v20, v11
	s_wait_dscnt 0x1
	v_dual_add_f32 v10, v10, v16 :: v_dual_lshlrev_b32 v19, 2, v19
	ds_bpermute_b32 v17, v13, v11
	s_wait_dscnt 0x1
	v_add_f32_e32 v12, v12, v18
	ds_bpermute_b32 v15, v13, v9
	ds_bpermute_b32 v13, v13, v1
	s_wait_dscnt 0x2
	v_add_f32_e32 v11, v11, v17
	ds_bpermute_b32 v17, v19, v12
	s_wait_dscnt 0x2
	v_add_f32_e32 v9, v9, v15
	s_wait_dscnt 0x1
	v_add_f32_e32 v13, v1, v13
	ds_bpermute_b32 v1, v19, v8
	ds_bpermute_b32 v15, v19, v10
	;; [unrolled: 1-line block ×5, first 2 shown]
	v_xor_b32_e32 v19, 1, v0
	s_delay_alu instid0(VALU_DEP_1) | instskip(SKIP_4) | instid1(VALU_DEP_2)
	v_cmp_gt_i32_e32 vcc_lo, 32, v19
	s_wait_alu 0xfffd
	v_cndmask_b32_e32 v0, v0, v19, vcc_lo
	v_cmp_eq_u32_e32 vcc_lo, 15, v3
	s_wait_dscnt 0x4
	v_dual_add_f32 v0, v8, v1 :: v_dual_lshlrev_b32 v19, 2, v0
	s_wait_dscnt 0x3
	v_add_f32_e32 v8, v10, v15
	s_wait_dscnt 0x1
	v_dual_add_f32 v10, v12, v17 :: v_dual_add_f32 v1, v9, v14
	v_add_f32_e32 v9, v11, v16
	s_wait_dscnt 0x0
	v_add_f32_e32 v11, v13, v18
	ds_bpermute_b32 v12, v19, v0
	ds_bpermute_b32 v14, v19, v8
	;; [unrolled: 1-line block ×6, first 2 shown]
	s_and_b32 exec_lo, exec_lo, vcc_lo
	s_cbranch_execz .LBB127_8
; %bb.24:
	s_wait_dscnt 0x3
	v_dual_add_f32 v12, v0, v12 :: v_dual_add_f32 v1, v1, v13
	s_load_b64 s[2:3], s[0:1], 0x50
	s_wait_dscnt 0x1
	v_dual_add_f32 v13, v8, v14 :: v_dual_add_f32 v14, v10, v16
	v_lshl_add_u32 v10, v2, 1, v2
	v_mul_f32_e64 v0, v1, -v7
	v_add_f32_e32 v3, v9, v15
	s_wait_dscnt 0x0
	v_add_f32_e32 v9, v11, v17
	v_mul_f32_e32 v1, v6, v1
	v_cmp_eq_f32_e32 vcc_lo, 0, v4
	v_fmac_f32_e32 v0, v6, v12
	v_mul_f32_e64 v2, v3, -v7
	v_mul_f32_e64 v8, v9, -v7
	v_mul_f32_e32 v3, v6, v3
	v_cmp_eq_f32_e64 s0, 0, v5
	s_delay_alu instid0(VALU_DEP_4) | instskip(NEXT) | instid1(VALU_DEP_4)
	v_dual_fmac_f32 v1, v7, v12 :: v_dual_fmac_f32 v2, v6, v13
	v_fmac_f32_e32 v8, v6, v14
	v_mul_f32_e32 v9, v6, v9
	v_ashrrev_i32_e32 v11, 31, v10
	v_fmac_f32_e32 v3, v7, v13
	s_and_b32 s0, vcc_lo, s0
	s_delay_alu instid0(VALU_DEP_3)
	v_fmac_f32_e32 v9, v7, v14
	s_wait_alu 0xfffe
	s_and_saveexec_b32 s1, s0
	s_wait_alu 0xfffe
	s_xor_b32 s0, exec_lo, s1
	s_cbranch_execz .LBB127_26
; %bb.25:
	v_lshlrev_b64_e32 v[4:5], 3, v[10:11]
                                        ; implicit-def: $vgpr10
	s_wait_kmcnt 0x0
	s_delay_alu instid0(VALU_DEP_1) | instskip(SKIP_1) | instid1(VALU_DEP_2)
	v_add_co_u32 v4, vcc_lo, s2, v4
	s_wait_alu 0xfffd
	v_add_co_ci_u32_e64 v5, null, s3, v5, vcc_lo
	s_clause 0x1
	global_store_b128 v[4:5], v[0:3], off
	global_store_b64 v[4:5], v[8:9], off offset:16
                                        ; implicit-def: $vgpr4_vgpr5
                                        ; implicit-def: $vgpr0
                                        ; implicit-def: $vgpr8
.LBB127_26:
	s_wait_alu 0xfffe
	s_and_not1_saveexec_b32 s0, s0
	s_cbranch_execz .LBB127_8
; %bb.27:
	v_lshlrev_b64_e32 v[6:7], 3, v[10:11]
	s_wait_kmcnt 0x0
	s_delay_alu instid0(VALU_DEP_1) | instskip(SKIP_1) | instid1(VALU_DEP_2)
	v_add_co_u32 v6, vcc_lo, s2, v6
	s_wait_alu 0xfffd
	v_add_co_ci_u32_e64 v7, null, s3, v7, vcc_lo
	s_clause 0x1
	global_load_b128 v[10:13], v[6:7], off
	global_load_b64 v[14:15], v[6:7], off offset:16
	s_wait_loadcnt 0x1
	v_dual_fmac_f32 v0, v4, v10 :: v_dual_fmac_f32 v3, v5, v12
	v_dual_fmac_f32 v1, v5, v10 :: v_dual_fmac_f32 v2, v4, v12
	s_wait_loadcnt 0x0
	v_fmac_f32_e32 v8, v4, v14
	v_fmac_f32_e32 v9, v5, v14
	v_fma_f32 v0, -v5, v11, v0
	v_fmac_f32_e32 v1, v4, v11
	v_fma_f32 v2, -v5, v13, v2
	;; [unrolled: 2-line block ×3, first 2 shown]
	v_fmac_f32_e32 v9, v4, v15
	s_clause 0x1
	global_store_b128 v[6:7], v[0:3], off
	global_store_b64 v[6:7], v[8:9], off offset:16
	s_endpgm
	.section	.rodata,"a",@progbits
	.p2align	6, 0x0
	.amdhsa_kernel _ZN9rocsparseL18bsrxmvn_3x3_kernelILj256ELj16E21rocsparse_complex_numIfElifS2_S2_EEvT3_20rocsparse_direction_NS_24const_host_device_scalarIT1_EES3_PKS3_PKT2_SC_S9_PKT4_PKT5_S7_PT6_21rocsparse_index_base_b
		.amdhsa_group_segment_fixed_size 0
		.amdhsa_private_segment_fixed_size 0
		.amdhsa_kernarg_size 96
		.amdhsa_user_sgpr_count 2
		.amdhsa_user_sgpr_dispatch_ptr 0
		.amdhsa_user_sgpr_queue_ptr 0
		.amdhsa_user_sgpr_kernarg_segment_ptr 1
		.amdhsa_user_sgpr_dispatch_id 0
		.amdhsa_user_sgpr_private_segment_size 0
		.amdhsa_wavefront_size32 1
		.amdhsa_uses_dynamic_stack 0
		.amdhsa_enable_private_segment 0
		.amdhsa_system_sgpr_workgroup_id_x 1
		.amdhsa_system_sgpr_workgroup_id_y 0
		.amdhsa_system_sgpr_workgroup_id_z 0
		.amdhsa_system_sgpr_workgroup_info 0
		.amdhsa_system_vgpr_workitem_id 0
		.amdhsa_next_free_vgpr 39
		.amdhsa_next_free_sgpr 14
		.amdhsa_reserve_vcc 1
		.amdhsa_float_round_mode_32 0
		.amdhsa_float_round_mode_16_64 0
		.amdhsa_float_denorm_mode_32 3
		.amdhsa_float_denorm_mode_16_64 3
		.amdhsa_fp16_overflow 0
		.amdhsa_workgroup_processor_mode 1
		.amdhsa_memory_ordered 1
		.amdhsa_forward_progress 1
		.amdhsa_inst_pref_size 21
		.amdhsa_round_robin_scheduling 0
		.amdhsa_exception_fp_ieee_invalid_op 0
		.amdhsa_exception_fp_denorm_src 0
		.amdhsa_exception_fp_ieee_div_zero 0
		.amdhsa_exception_fp_ieee_overflow 0
		.amdhsa_exception_fp_ieee_underflow 0
		.amdhsa_exception_fp_ieee_inexact 0
		.amdhsa_exception_int_div_zero 0
	.end_amdhsa_kernel
	.section	.text._ZN9rocsparseL18bsrxmvn_3x3_kernelILj256ELj16E21rocsparse_complex_numIfElifS2_S2_EEvT3_20rocsparse_direction_NS_24const_host_device_scalarIT1_EES3_PKS3_PKT2_SC_S9_PKT4_PKT5_S7_PT6_21rocsparse_index_base_b,"axG",@progbits,_ZN9rocsparseL18bsrxmvn_3x3_kernelILj256ELj16E21rocsparse_complex_numIfElifS2_S2_EEvT3_20rocsparse_direction_NS_24const_host_device_scalarIT1_EES3_PKS3_PKT2_SC_S9_PKT4_PKT5_S7_PT6_21rocsparse_index_base_b,comdat
.Lfunc_end127:
	.size	_ZN9rocsparseL18bsrxmvn_3x3_kernelILj256ELj16E21rocsparse_complex_numIfElifS2_S2_EEvT3_20rocsparse_direction_NS_24const_host_device_scalarIT1_EES3_PKS3_PKT2_SC_S9_PKT4_PKT5_S7_PT6_21rocsparse_index_base_b, .Lfunc_end127-_ZN9rocsparseL18bsrxmvn_3x3_kernelILj256ELj16E21rocsparse_complex_numIfElifS2_S2_EEvT3_20rocsparse_direction_NS_24const_host_device_scalarIT1_EES3_PKS3_PKT2_SC_S9_PKT4_PKT5_S7_PT6_21rocsparse_index_base_b
                                        ; -- End function
	.set _ZN9rocsparseL18bsrxmvn_3x3_kernelILj256ELj16E21rocsparse_complex_numIfElifS2_S2_EEvT3_20rocsparse_direction_NS_24const_host_device_scalarIT1_EES3_PKS3_PKT2_SC_S9_PKT4_PKT5_S7_PT6_21rocsparse_index_base_b.num_vgpr, 39
	.set _ZN9rocsparseL18bsrxmvn_3x3_kernelILj256ELj16E21rocsparse_complex_numIfElifS2_S2_EEvT3_20rocsparse_direction_NS_24const_host_device_scalarIT1_EES3_PKS3_PKT2_SC_S9_PKT4_PKT5_S7_PT6_21rocsparse_index_base_b.num_agpr, 0
	.set _ZN9rocsparseL18bsrxmvn_3x3_kernelILj256ELj16E21rocsparse_complex_numIfElifS2_S2_EEvT3_20rocsparse_direction_NS_24const_host_device_scalarIT1_EES3_PKS3_PKT2_SC_S9_PKT4_PKT5_S7_PT6_21rocsparse_index_base_b.numbered_sgpr, 14
	.set _ZN9rocsparseL18bsrxmvn_3x3_kernelILj256ELj16E21rocsparse_complex_numIfElifS2_S2_EEvT3_20rocsparse_direction_NS_24const_host_device_scalarIT1_EES3_PKS3_PKT2_SC_S9_PKT4_PKT5_S7_PT6_21rocsparse_index_base_b.num_named_barrier, 0
	.set _ZN9rocsparseL18bsrxmvn_3x3_kernelILj256ELj16E21rocsparse_complex_numIfElifS2_S2_EEvT3_20rocsparse_direction_NS_24const_host_device_scalarIT1_EES3_PKS3_PKT2_SC_S9_PKT4_PKT5_S7_PT6_21rocsparse_index_base_b.private_seg_size, 0
	.set _ZN9rocsparseL18bsrxmvn_3x3_kernelILj256ELj16E21rocsparse_complex_numIfElifS2_S2_EEvT3_20rocsparse_direction_NS_24const_host_device_scalarIT1_EES3_PKS3_PKT2_SC_S9_PKT4_PKT5_S7_PT6_21rocsparse_index_base_b.uses_vcc, 1
	.set _ZN9rocsparseL18bsrxmvn_3x3_kernelILj256ELj16E21rocsparse_complex_numIfElifS2_S2_EEvT3_20rocsparse_direction_NS_24const_host_device_scalarIT1_EES3_PKS3_PKT2_SC_S9_PKT4_PKT5_S7_PT6_21rocsparse_index_base_b.uses_flat_scratch, 0
	.set _ZN9rocsparseL18bsrxmvn_3x3_kernelILj256ELj16E21rocsparse_complex_numIfElifS2_S2_EEvT3_20rocsparse_direction_NS_24const_host_device_scalarIT1_EES3_PKS3_PKT2_SC_S9_PKT4_PKT5_S7_PT6_21rocsparse_index_base_b.has_dyn_sized_stack, 0
	.set _ZN9rocsparseL18bsrxmvn_3x3_kernelILj256ELj16E21rocsparse_complex_numIfElifS2_S2_EEvT3_20rocsparse_direction_NS_24const_host_device_scalarIT1_EES3_PKS3_PKT2_SC_S9_PKT4_PKT5_S7_PT6_21rocsparse_index_base_b.has_recursion, 0
	.set _ZN9rocsparseL18bsrxmvn_3x3_kernelILj256ELj16E21rocsparse_complex_numIfElifS2_S2_EEvT3_20rocsparse_direction_NS_24const_host_device_scalarIT1_EES3_PKS3_PKT2_SC_S9_PKT4_PKT5_S7_PT6_21rocsparse_index_base_b.has_indirect_call, 0
	.section	.AMDGPU.csdata,"",@progbits
; Kernel info:
; codeLenInByte = 2624
; TotalNumSgprs: 16
; NumVgprs: 39
; ScratchSize: 0
; MemoryBound: 0
; FloatMode: 240
; IeeeMode: 1
; LDSByteSize: 0 bytes/workgroup (compile time only)
; SGPRBlocks: 0
; VGPRBlocks: 4
; NumSGPRsForWavesPerEU: 16
; NumVGPRsForWavesPerEU: 39
; Occupancy: 16
; WaveLimiterHint : 1
; COMPUTE_PGM_RSRC2:SCRATCH_EN: 0
; COMPUTE_PGM_RSRC2:USER_SGPR: 2
; COMPUTE_PGM_RSRC2:TRAP_HANDLER: 0
; COMPUTE_PGM_RSRC2:TGID_X_EN: 1
; COMPUTE_PGM_RSRC2:TGID_Y_EN: 0
; COMPUTE_PGM_RSRC2:TGID_Z_EN: 0
; COMPUTE_PGM_RSRC2:TIDIG_COMP_CNT: 0
	.section	.text._ZN9rocsparseL18bsrxmvn_3x3_kernelILj256ELj32E21rocsparse_complex_numIfElifS2_S2_EEvT3_20rocsparse_direction_NS_24const_host_device_scalarIT1_EES3_PKS3_PKT2_SC_S9_PKT4_PKT5_S7_PT6_21rocsparse_index_base_b,"axG",@progbits,_ZN9rocsparseL18bsrxmvn_3x3_kernelILj256ELj32E21rocsparse_complex_numIfElifS2_S2_EEvT3_20rocsparse_direction_NS_24const_host_device_scalarIT1_EES3_PKS3_PKT2_SC_S9_PKT4_PKT5_S7_PT6_21rocsparse_index_base_b,comdat
	.globl	_ZN9rocsparseL18bsrxmvn_3x3_kernelILj256ELj32E21rocsparse_complex_numIfElifS2_S2_EEvT3_20rocsparse_direction_NS_24const_host_device_scalarIT1_EES3_PKS3_PKT2_SC_S9_PKT4_PKT5_S7_PT6_21rocsparse_index_base_b ; -- Begin function _ZN9rocsparseL18bsrxmvn_3x3_kernelILj256ELj32E21rocsparse_complex_numIfElifS2_S2_EEvT3_20rocsparse_direction_NS_24const_host_device_scalarIT1_EES3_PKS3_PKT2_SC_S9_PKT4_PKT5_S7_PT6_21rocsparse_index_base_b
	.p2align	8
	.type	_ZN9rocsparseL18bsrxmvn_3x3_kernelILj256ELj32E21rocsparse_complex_numIfElifS2_S2_EEvT3_20rocsparse_direction_NS_24const_host_device_scalarIT1_EES3_PKS3_PKT2_SC_S9_PKT4_PKT5_S7_PT6_21rocsparse_index_base_b,@function
_ZN9rocsparseL18bsrxmvn_3x3_kernelILj256ELj32E21rocsparse_complex_numIfElifS2_S2_EEvT3_20rocsparse_direction_NS_24const_host_device_scalarIT1_EES3_PKS3_PKT2_SC_S9_PKT4_PKT5_S7_PT6_21rocsparse_index_base_b: ; @_ZN9rocsparseL18bsrxmvn_3x3_kernelILj256ELj32E21rocsparse_complex_numIfElifS2_S2_EEvT3_20rocsparse_direction_NS_24const_host_device_scalarIT1_EES3_PKS3_PKT2_SC_S9_PKT4_PKT5_S7_PT6_21rocsparse_index_base_b
; %bb.0:
	s_clause 0x2
	s_load_b64 s[12:13], s[0:1], 0x58
	s_load_b64 s[2:3], s[0:1], 0x8
	;; [unrolled: 1-line block ×3, first 2 shown]
	s_add_nc_u64 s[6:7], s[0:1], 8
	s_wait_kmcnt 0x0
	s_bitcmp1_b32 s13, 0
	s_cselect_b32 s2, s6, s2
	s_cselect_b32 s3, s7, s3
	s_delay_alu instid0(SALU_CYCLE_1)
	v_dual_mov_b32 v1, s2 :: v_dual_mov_b32 v2, s3
	s_add_nc_u64 s[2:3], s[0:1], 0x48
	s_wait_alu 0xfffe
	s_cselect_b32 s2, s2, s4
	s_cselect_b32 s3, s3, s5
	flat_load_b64 v[6:7], v[1:2]
	s_wait_alu 0xfffe
	v_dual_mov_b32 v1, s2 :: v_dual_mov_b32 v2, s3
	flat_load_b64 v[4:5], v[1:2]
	s_wait_loadcnt_dscnt 0x101
	v_cmp_eq_f32_e32 vcc_lo, 0, v6
	v_cmp_eq_f32_e64 s2, 0, v7
	s_and_b32 s4, vcc_lo, s2
	s_mov_b32 s2, -1
	s_and_saveexec_b32 s3, s4
	s_cbranch_execz .LBB128_2
; %bb.1:
	s_wait_loadcnt_dscnt 0x0
	v_cmp_neq_f32_e32 vcc_lo, 1.0, v4
	v_cmp_neq_f32_e64 s2, 0, v5
	s_wait_alu 0xfffe
	s_or_b32 s2, vcc_lo, s2
	s_wait_alu 0xfffe
	s_or_not1_b32 s2, s2, exec_lo
.LBB128_2:
	s_wait_alu 0xfffe
	s_or_b32 exec_lo, exec_lo, s3
	s_and_saveexec_b32 s3, s2
	s_cbranch_execz .LBB128_8
; %bb.3:
	s_clause 0x1
	s_load_b64 s[4:5], s[0:1], 0x18
	s_load_b64 s[2:3], s[0:1], 0x0
	v_lshrrev_b32_e32 v1, 5, v0
	s_delay_alu instid0(VALU_DEP_1)
	v_lshl_or_b32 v2, ttmp9, 3, v1
	s_wait_kmcnt 0x0
	s_cmp_lg_u64 s[4:5], 0
	s_cbranch_scc0 .LBB128_9
; %bb.4:
	s_load_b32 s6, s[0:1], 0x10
	s_mov_b32 s7, 0
                                        ; implicit-def: $vgpr1
	s_wait_kmcnt 0x0
	v_cmp_gt_i32_e32 vcc_lo, s6, v2
	s_mov_b32 s6, 0
	s_and_saveexec_b32 s8, vcc_lo
	s_delay_alu instid0(SALU_CYCLE_1)
	s_xor_b32 s8, exec_lo, s8
	s_cbranch_execz .LBB128_6
; %bb.5:
	v_ashrrev_i32_e32 v3, 31, v2
	s_mov_b32 s6, exec_lo
	s_delay_alu instid0(VALU_DEP_1) | instskip(NEXT) | instid1(VALU_DEP_1)
	v_lshlrev_b64_e32 v[8:9], 2, v[2:3]
	v_add_co_u32 v8, vcc_lo, s4, v8
	s_delay_alu instid0(VALU_DEP_1)
	v_add_co_ci_u32_e64 v9, null, s5, v9, vcc_lo
	global_load_b32 v1, v[8:9], off
	s_wait_loadcnt 0x0
	v_subrev_nc_u32_e32 v1, s12, v1
.LBB128_6:
	s_or_b32 exec_lo, exec_lo, s8
	s_delay_alu instid0(SALU_CYCLE_1)
	s_and_b32 vcc_lo, exec_lo, s7
	s_wait_alu 0xfffe
	s_cbranch_vccz .LBB128_10
.LBB128_7:
	v_cmp_gt_i32_e32 vcc_lo, s2, v2
	s_and_not1_b32 s2, s6, exec_lo
	s_and_b32 s4, vcc_lo, exec_lo
	s_wait_alu 0xfffe
	s_or_b32 s6, s2, s4
	s_wait_alu 0xfffe
	s_and_b32 exec_lo, exec_lo, s6
	s_cbranch_execnz .LBB128_11
.LBB128_8:
	s_endpgm
.LBB128_9:
	s_mov_b32 s6, 0
                                        ; implicit-def: $vgpr1
	s_cbranch_execnz .LBB128_7
.LBB128_10:
	v_mov_b32_e32 v2, v1
	s_and_b32 exec_lo, exec_lo, s6
	s_cbranch_execz .LBB128_8
.LBB128_11:
	s_load_b256 s[4:11], s[0:1], 0x20
	s_delay_alu instid0(VALU_DEP_1) | instskip(SKIP_1) | instid1(VALU_DEP_2)
	v_ashrrev_i32_e32 v3, 31, v2
	v_mov_b32_e32 v18, 0
	v_lshlrev_b64_e32 v[8:9], 3, v[2:3]
	s_wait_kmcnt 0x0
	s_delay_alu instid0(VALU_DEP_1) | instskip(SKIP_1) | instid1(VALU_DEP_2)
	v_add_co_u32 v10, vcc_lo, s4, v8
	s_wait_alu 0xfffd
	v_add_co_ci_u32_e64 v11, null, s5, v9, vcc_lo
	v_add_co_u32 v1, vcc_lo, s6, v8
	s_wait_alu 0xfffd
	v_add_co_ci_u32_e64 v3, null, s7, v9, vcc_lo
	global_load_b64 v[12:13], v[10:11], off
	v_add_co_u32 v8, vcc_lo, v10, 8
	s_wait_alu 0xfffd
	v_add_co_ci_u32_e64 v9, null, 0, v11, vcc_lo
	s_cmp_eq_u64 s[6:7], 0
	s_load_b64 s[4:5], s[0:1], 0x40
	s_cselect_b32 vcc_lo, -1, 0
	s_cmp_eq_u32 s3, 1
	s_wait_alu 0xfffe
	v_dual_cndmask_b32 v9, v3, v9 :: v_dual_cndmask_b32 v8, v1, v8
	v_and_b32_e32 v3, 31, v0
	global_load_b64 v[10:11], v[8:9], off
	s_wait_loadcnt 0x1
	v_sub_co_u32 v0, vcc_lo, v12, s12
	s_wait_alu 0xfffd
	v_subrev_co_ci_u32_e64 v1, null, 0, v13, vcc_lo
	s_delay_alu instid0(VALU_DEP_2) | instskip(SKIP_1) | instid1(VALU_DEP_2)
	v_add_co_u32 v0, vcc_lo, v0, v3
	s_wait_alu 0xfffd
	v_add_co_ci_u32_e64 v1, null, 0, v1, vcc_lo
	s_delay_alu instid0(VALU_DEP_2) | instskip(SKIP_1) | instid1(VALU_DEP_1)
	v_mad_co_u64_u32 v[8:9], null, v0, 36, s[10:11]
	s_wait_loadcnt 0x0
	v_mad_co_u64_u32 v[12:13], null, v1, 36, v[9:10]
	v_sub_co_u32 v10, vcc_lo, v10, s12
	s_wait_alu 0xfffd
	v_subrev_co_ci_u32_e64 v11, null, 0, v11, vcc_lo
	s_delay_alu instid0(VALU_DEP_3) | instskip(NEXT) | instid1(VALU_DEP_2)
	v_mov_b32_e32 v9, v12
	v_cmp_lt_i64_e64 s2, v[0:1], v[10:11]
	s_cbranch_scc1 .LBB128_17
; %bb.12:
	v_dual_mov_b32 v19, 0 :: v_dual_mov_b32 v20, 0
	v_dual_mov_b32 v21, 0 :: v_dual_mov_b32 v22, 0
	v_mov_b32_e32 v23, 0
	s_and_saveexec_b32 s3, s2
	s_cbranch_execz .LBB128_16
; %bb.13:
	v_lshlrev_b64_e32 v[14:15], 2, v[0:1]
	v_dual_mov_b32 v18, 0 :: v_dual_mov_b32 v13, v1
	v_dual_mov_b32 v12, v0 :: v_dual_mov_b32 v17, v9
	;; [unrolled: 1-line block ×3, first 2 shown]
	s_delay_alu instid0(VALU_DEP_4)
	v_add_co_u32 v14, vcc_lo, s8, v14
	s_wait_alu 0xfffd
	v_add_co_ci_u32_e64 v15, null, s9, v15, vcc_lo
	v_dual_mov_b32 v20, 0 :: v_dual_mov_b32 v21, 0
	v_dual_mov_b32 v22, 0 :: v_dual_mov_b32 v23, 0
	s_mov_b32 s6, 0
.LBB128_14:                             ; =>This Inner Loop Header: Depth=1
	global_load_b32 v32, v[14:15], off
	s_clause 0x1
	global_load_b128 v[24:27], v[16:17], off offset:16
	global_load_b128 v[28:31], v[16:17], off
	s_wait_loadcnt 0x2
	v_subrev_nc_u32_e32 v32, s12, v32
	s_delay_alu instid0(VALU_DEP_1) | instskip(NEXT) | instid1(VALU_DEP_1)
	v_lshl_add_u32 v32, v32, 1, v32
	v_ashrrev_i32_e32 v33, 31, v32
	s_delay_alu instid0(VALU_DEP_1) | instskip(SKIP_1) | instid1(VALU_DEP_1)
	v_lshlrev_b64_e32 v[32:33], 3, v[32:33]
	s_wait_kmcnt 0x0
	v_add_co_u32 v36, vcc_lo, s4, v32
	s_wait_alu 0xfffd
	s_delay_alu instid0(VALU_DEP_2)
	v_add_co_ci_u32_e64 v37, null, s5, v33, vcc_lo
	s_clause 0x1
	global_load_b128 v[32:35], v[36:37], off
	global_load_b64 v[36:37], v[36:37], off offset:16
	global_load_b32 v38, v[16:17], off offset:32
	v_add_co_u32 v16, vcc_lo, 0x480, v16
	s_wait_alu 0xfffd
	v_add_co_ci_u32_e64 v17, null, 0, v17, vcc_lo
	v_add_co_u32 v12, vcc_lo, v12, 32
	s_wait_alu 0xfffd
	v_add_co_ci_u32_e64 v13, null, 0, v13, vcc_lo
	;; [unrolled: 3-line block ×3, first 2 shown]
	s_delay_alu instid0(VALU_DEP_3) | instskip(SKIP_4) | instid1(VALU_DEP_1)
	v_cmp_ge_i64_e32 vcc_lo, v[12:13], v[10:11]
	s_wait_alu 0xfffe
	s_or_b32 s6, vcc_lo, s6
	s_wait_loadcnt 0x2
	v_fmac_f32_e32 v20, 0, v32
	v_dual_fmac_f32 v19, v28, v32 :: v_dual_fmac_f32 v20, v31, v33
	s_delay_alu instid0(VALU_DEP_1) | instskip(NEXT) | instid1(VALU_DEP_1)
	v_dual_fmac_f32 v18, 0, v32 :: v_dual_fmac_f32 v19, 0x80000000, v33
	v_dual_fmac_f32 v21, v31, v32 :: v_dual_fmac_f32 v18, v28, v33
	v_fmac_f32_e32 v23, v26, v32
	s_delay_alu instid0(VALU_DEP_2) | instskip(NEXT) | instid1(VALU_DEP_4)
	v_fmac_f32_e32 v21, 0x80000000, v33
	v_fmac_f32_e32 v19, v29, v34
	;; [unrolled: 1-line block ×4, first 2 shown]
	v_dual_fmac_f32 v22, 0, v32 :: v_dual_fmac_f32 v23, 0x80000000, v33
	v_fmac_f32_e32 v21, v24, v34
	v_fmac_f32_e32 v19, 0x80000000, v35
	s_delay_alu instid0(VALU_DEP_4) | instskip(NEXT) | instid1(VALU_DEP_4)
	v_fmac_f32_e32 v18, v29, v35
	v_dual_fmac_f32 v22, v26, v33 :: v_dual_fmac_f32 v23, v27, v34
	v_fmac_f32_e32 v20, v24, v35
	v_fmac_f32_e32 v21, 0x80000000, v35
	s_wait_loadcnt 0x1
	s_delay_alu instid0(VALU_DEP_3) | instskip(SKIP_1) | instid1(VALU_DEP_3)
	v_dual_fmac_f32 v19, v30, v36 :: v_dual_fmac_f32 v22, 0, v34
	v_dual_fmac_f32 v23, 0x80000000, v35 :: v_dual_fmac_f32 v18, 0, v36
	v_fmac_f32_e32 v21, v25, v36
	s_delay_alu instid0(VALU_DEP_3) | instskip(SKIP_1) | instid1(VALU_DEP_3)
	v_dual_fmac_f32 v20, 0, v36 :: v_dual_fmac_f32 v19, 0x80000000, v37
	s_wait_loadcnt 0x0
	v_dual_fmac_f32 v22, v27, v35 :: v_dual_fmac_f32 v23, v38, v36
	v_fmac_f32_e32 v18, v30, v37
	v_fmac_f32_e32 v21, 0x80000000, v37
	;; [unrolled: 1-line block ×3, first 2 shown]
	s_delay_alu instid0(VALU_DEP_4) | instskip(NEXT) | instid1(VALU_DEP_1)
	v_dual_fmac_f32 v22, 0, v36 :: v_dual_fmac_f32 v23, 0x80000000, v37
	v_fmac_f32_e32 v22, v38, v37
	s_wait_alu 0xfffe
	s_and_not1_b32 exec_lo, exec_lo, s6
	s_cbranch_execnz .LBB128_14
; %bb.15:
	s_or_b32 exec_lo, exec_lo, s6
.LBB128_16:
	s_wait_alu 0xfffe
	s_or_b32 exec_lo, exec_lo, s3
	s_cbranch_execz .LBB128_18
	s_branch .LBB128_23
.LBB128_17:
                                        ; implicit-def: $vgpr18
                                        ; implicit-def: $vgpr19
                                        ; implicit-def: $vgpr20
                                        ; implicit-def: $vgpr21
                                        ; implicit-def: $vgpr22
                                        ; implicit-def: $vgpr23
.LBB128_18:
	v_dual_mov_b32 v18, 0 :: v_dual_mov_b32 v19, 0
	v_dual_mov_b32 v20, 0 :: v_dual_mov_b32 v21, 0
	;; [unrolled: 1-line block ×3, first 2 shown]
	s_and_saveexec_b32 s3, s2
	s_cbranch_execz .LBB128_22
; %bb.19:
	v_lshlrev_b64_e32 v[12:13], 2, v[0:1]
	v_dual_mov_b32 v18, 0 :: v_dual_mov_b32 v19, 0
	v_dual_mov_b32 v20, 0 :: v_dual_mov_b32 v21, 0
	;; [unrolled: 1-line block ×3, first 2 shown]
	s_delay_alu instid0(VALU_DEP_4)
	v_add_co_u32 v12, vcc_lo, s8, v12
	s_wait_alu 0xfffd
	v_add_co_ci_u32_e64 v13, null, s9, v13, vcc_lo
	s_mov_b32 s2, 0
.LBB128_20:                             ; =>This Inner Loop Header: Depth=1
	global_load_b32 v28, v[12:13], off
	s_clause 0x1
	global_load_b128 v[14:17], v[8:9], off offset:16
	global_load_b128 v[24:27], v[8:9], off
	s_wait_loadcnt 0x2
	v_subrev_nc_u32_e32 v28, s12, v28
	s_delay_alu instid0(VALU_DEP_1) | instskip(NEXT) | instid1(VALU_DEP_1)
	v_lshl_add_u32 v28, v28, 1, v28
	v_ashrrev_i32_e32 v29, 31, v28
	s_delay_alu instid0(VALU_DEP_1) | instskip(SKIP_1) | instid1(VALU_DEP_1)
	v_lshlrev_b64_e32 v[28:29], 3, v[28:29]
	s_wait_kmcnt 0x0
	v_add_co_u32 v32, vcc_lo, s4, v28
	s_wait_alu 0xfffd
	s_delay_alu instid0(VALU_DEP_2)
	v_add_co_ci_u32_e64 v33, null, s5, v29, vcc_lo
	s_clause 0x1
	global_load_b128 v[28:31], v[32:33], off
	global_load_b64 v[32:33], v[32:33], off offset:16
	global_load_b32 v34, v[8:9], off offset:32
	v_add_co_u32 v8, vcc_lo, 0x480, v8
	s_wait_alu 0xfffd
	v_add_co_ci_u32_e64 v9, null, 0, v9, vcc_lo
	v_add_co_u32 v0, vcc_lo, v0, 32
	s_wait_alu 0xfffd
	v_add_co_ci_u32_e64 v1, null, 0, v1, vcc_lo
	;; [unrolled: 3-line block ×3, first 2 shown]
	s_delay_alu instid0(VALU_DEP_3) | instskip(SKIP_4) | instid1(VALU_DEP_1)
	v_cmp_ge_i64_e32 vcc_lo, v[0:1], v[10:11]
	s_wait_alu 0xfffe
	s_or_b32 s2, vcc_lo, s2
	s_wait_loadcnt 0x2
	v_fmac_f32_e32 v20, 0, v28
	v_dual_fmac_f32 v19, v24, v28 :: v_dual_fmac_f32 v20, v25, v29
	s_delay_alu instid0(VALU_DEP_1) | instskip(NEXT) | instid1(VALU_DEP_1)
	v_dual_fmac_f32 v18, 0, v28 :: v_dual_fmac_f32 v19, 0x80000000, v29
	v_dual_fmac_f32 v21, v25, v28 :: v_dual_fmac_f32 v18, v24, v29
	v_fmac_f32_e32 v23, v26, v28
	s_delay_alu instid0(VALU_DEP_2) | instskip(NEXT) | instid1(VALU_DEP_4)
	v_fmac_f32_e32 v21, 0x80000000, v29
	v_fmac_f32_e32 v19, v27, v30
	;; [unrolled: 1-line block ×4, first 2 shown]
	v_dual_fmac_f32 v22, 0, v28 :: v_dual_fmac_f32 v23, 0x80000000, v29
	v_fmac_f32_e32 v21, v14, v30
	v_fmac_f32_e32 v19, 0x80000000, v31
	s_delay_alu instid0(VALU_DEP_4) | instskip(NEXT) | instid1(VALU_DEP_4)
	v_fmac_f32_e32 v18, v27, v31
	v_dual_fmac_f32 v22, v26, v29 :: v_dual_fmac_f32 v23, v15, v30
	v_fmac_f32_e32 v20, v14, v31
	v_fmac_f32_e32 v21, 0x80000000, v31
	s_wait_loadcnt 0x1
	s_delay_alu instid0(VALU_DEP_3) | instskip(SKIP_1) | instid1(VALU_DEP_3)
	v_dual_fmac_f32 v19, v16, v32 :: v_dual_fmac_f32 v22, 0, v30
	v_dual_fmac_f32 v23, 0x80000000, v31 :: v_dual_fmac_f32 v18, 0, v32
	v_fmac_f32_e32 v21, v17, v32
	s_delay_alu instid0(VALU_DEP_3) | instskip(SKIP_1) | instid1(VALU_DEP_3)
	v_dual_fmac_f32 v20, 0, v32 :: v_dual_fmac_f32 v19, 0x80000000, v33
	s_wait_loadcnt 0x0
	v_dual_fmac_f32 v22, v15, v31 :: v_dual_fmac_f32 v23, v34, v32
	v_fmac_f32_e32 v18, v16, v33
	v_fmac_f32_e32 v21, 0x80000000, v33
	v_fmac_f32_e32 v20, v17, v33
	s_delay_alu instid0(VALU_DEP_4) | instskip(NEXT) | instid1(VALU_DEP_1)
	v_dual_fmac_f32 v22, 0, v32 :: v_dual_fmac_f32 v23, 0x80000000, v33
	v_fmac_f32_e32 v22, v34, v33
	s_wait_alu 0xfffe
	s_and_not1_b32 exec_lo, exec_lo, s2
	s_cbranch_execnz .LBB128_20
; %bb.21:
	s_or_b32 exec_lo, exec_lo, s2
.LBB128_22:
	s_wait_alu 0xfffe
	s_or_b32 exec_lo, exec_lo, s3
.LBB128_23:
	v_mbcnt_lo_u32_b32 v0, -1, 0
	s_delay_alu instid0(VALU_DEP_1) | instskip(SKIP_1) | instid1(VALU_DEP_2)
	v_xor_b32_e32 v1, 16, v0
	v_xor_b32_e32 v13, 8, v0
	v_cmp_gt_i32_e32 vcc_lo, 32, v1
	s_wait_alu 0xfffd
	v_cndmask_b32_e32 v1, v0, v1, vcc_lo
	s_delay_alu instid0(VALU_DEP_3) | instskip(NEXT) | instid1(VALU_DEP_2)
	v_cmp_gt_i32_e32 vcc_lo, 32, v13
	v_lshlrev_b32_e32 v1, 2, v1
	ds_bpermute_b32 v10, v1, v21
	s_wait_dscnt 0x0
	v_add_f32_e32 v10, v21, v10
	ds_bpermute_b32 v8, v1, v19
	ds_bpermute_b32 v12, v1, v23
	s_wait_alu 0xfffd
	v_cndmask_b32_e32 v13, v0, v13, vcc_lo
	ds_bpermute_b32 v9, v1, v18
	ds_bpermute_b32 v11, v1, v20
	;; [unrolled: 1-line block ×3, first 2 shown]
	s_wait_dscnt 0x4
	v_add_f32_e32 v8, v19, v8
	s_wait_dscnt 0x3
	v_dual_add_f32 v12, v23, v12 :: v_dual_lshlrev_b32 v13, 2, v13
	s_wait_dscnt 0x2
	v_add_f32_e32 v9, v18, v9
	v_xor_b32_e32 v19, 4, v0
	s_wait_dscnt 0x0
	v_add_f32_e32 v1, v22, v1
	ds_bpermute_b32 v14, v13, v8
	v_cmp_gt_i32_e32 vcc_lo, 32, v19
	s_wait_alu 0xfffd
	v_cndmask_b32_e32 v19, v0, v19, vcc_lo
	s_wait_dscnt 0x0
	v_add_f32_e32 v8, v8, v14
	ds_bpermute_b32 v16, v13, v10
	ds_bpermute_b32 v18, v13, v12
	v_add_f32_e32 v11, v20, v11
	s_wait_dscnt 0x1
	v_dual_add_f32 v10, v10, v16 :: v_dual_lshlrev_b32 v19, 2, v19
	ds_bpermute_b32 v17, v13, v11
	s_wait_dscnt 0x1
	v_add_f32_e32 v12, v12, v18
	ds_bpermute_b32 v15, v13, v9
	ds_bpermute_b32 v13, v13, v1
	s_wait_dscnt 0x2
	v_add_f32_e32 v11, v11, v17
	s_wait_dscnt 0x0
	v_add_f32_e32 v1, v1, v13
	ds_bpermute_b32 v13, v19, v8
	s_wait_dscnt 0x0
	v_add_f32_e32 v8, v8, v13
	ds_bpermute_b32 v17, v19, v12
	v_add_f32_e32 v9, v9, v15
	ds_bpermute_b32 v15, v19, v10
	ds_bpermute_b32 v18, v19, v1
	s_wait_dscnt 0x2
	v_add_f32_e32 v12, v12, v17
	ds_bpermute_b32 v14, v19, v9
	s_wait_dscnt 0x2
	v_add_f32_e32 v10, v10, v15
	ds_bpermute_b32 v16, v19, v11
	v_xor_b32_e32 v19, 2, v0
	s_wait_dscnt 0x2
	v_add_f32_e32 v13, v1, v18
	s_delay_alu instid0(VALU_DEP_2) | instskip(SKIP_2) | instid1(VALU_DEP_1)
	v_cmp_gt_i32_e32 vcc_lo, 32, v19
	s_wait_alu 0xfffd
	v_cndmask_b32_e32 v19, v0, v19, vcc_lo
	v_lshlrev_b32_e32 v19, 2, v19
	s_wait_dscnt 0x0
	v_add_f32_e32 v11, v11, v16
	ds_bpermute_b32 v17, v19, v12
	v_add_f32_e32 v9, v9, v14
	ds_bpermute_b32 v1, v19, v8
	ds_bpermute_b32 v15, v19, v10
	;; [unrolled: 1-line block ×5, first 2 shown]
	v_xor_b32_e32 v19, 1, v0
	s_delay_alu instid0(VALU_DEP_1) | instskip(SKIP_4) | instid1(VALU_DEP_2)
	v_cmp_gt_i32_e32 vcc_lo, 32, v19
	s_wait_alu 0xfffd
	v_cndmask_b32_e32 v0, v0, v19, vcc_lo
	v_cmp_eq_u32_e32 vcc_lo, 31, v3
	s_wait_dscnt 0x4
	v_dual_add_f32 v0, v8, v1 :: v_dual_lshlrev_b32 v19, 2, v0
	s_wait_dscnt 0x3
	v_add_f32_e32 v8, v10, v15
	s_wait_dscnt 0x0
	v_dual_add_f32 v10, v12, v17 :: v_dual_add_f32 v1, v9, v14
	v_add_f32_e32 v9, v11, v16
	v_add_f32_e32 v11, v13, v18
	ds_bpermute_b32 v12, v19, v0
	ds_bpermute_b32 v14, v19, v8
	;; [unrolled: 1-line block ×6, first 2 shown]
	s_and_b32 exec_lo, exec_lo, vcc_lo
	s_cbranch_execz .LBB128_8
; %bb.24:
	s_wait_dscnt 0x3
	v_dual_add_f32 v12, v0, v12 :: v_dual_add_f32 v1, v1, v13
	s_load_b64 s[2:3], s[0:1], 0x50
	s_wait_dscnt 0x1
	v_dual_add_f32 v13, v8, v14 :: v_dual_add_f32 v14, v10, v16
	v_lshl_add_u32 v10, v2, 1, v2
	v_mul_f32_e64 v0, v1, -v7
	v_add_f32_e32 v3, v9, v15
	s_wait_dscnt 0x0
	v_add_f32_e32 v9, v11, v17
	v_mul_f32_e32 v1, v6, v1
	v_cmp_eq_f32_e32 vcc_lo, 0, v4
	v_fmac_f32_e32 v0, v6, v12
	v_mul_f32_e64 v2, v3, -v7
	v_mul_f32_e64 v8, v9, -v7
	v_mul_f32_e32 v3, v6, v3
	v_cmp_eq_f32_e64 s0, 0, v5
	s_delay_alu instid0(VALU_DEP_4) | instskip(NEXT) | instid1(VALU_DEP_4)
	v_dual_fmac_f32 v1, v7, v12 :: v_dual_fmac_f32 v2, v6, v13
	v_fmac_f32_e32 v8, v6, v14
	v_mul_f32_e32 v9, v6, v9
	v_ashrrev_i32_e32 v11, 31, v10
	v_fmac_f32_e32 v3, v7, v13
	s_and_b32 s0, vcc_lo, s0
	s_delay_alu instid0(VALU_DEP_3)
	v_fmac_f32_e32 v9, v7, v14
	s_wait_alu 0xfffe
	s_and_saveexec_b32 s1, s0
	s_wait_alu 0xfffe
	s_xor_b32 s0, exec_lo, s1
	s_cbranch_execz .LBB128_26
; %bb.25:
	v_lshlrev_b64_e32 v[4:5], 3, v[10:11]
                                        ; implicit-def: $vgpr10
	s_wait_kmcnt 0x0
	s_delay_alu instid0(VALU_DEP_1) | instskip(SKIP_1) | instid1(VALU_DEP_2)
	v_add_co_u32 v4, vcc_lo, s2, v4
	s_wait_alu 0xfffd
	v_add_co_ci_u32_e64 v5, null, s3, v5, vcc_lo
	s_clause 0x1
	global_store_b128 v[4:5], v[0:3], off
	global_store_b64 v[4:5], v[8:9], off offset:16
                                        ; implicit-def: $vgpr4_vgpr5
                                        ; implicit-def: $vgpr0
                                        ; implicit-def: $vgpr8
.LBB128_26:
	s_wait_alu 0xfffe
	s_and_not1_saveexec_b32 s0, s0
	s_cbranch_execz .LBB128_8
; %bb.27:
	v_lshlrev_b64_e32 v[6:7], 3, v[10:11]
	s_wait_kmcnt 0x0
	s_delay_alu instid0(VALU_DEP_1) | instskip(SKIP_1) | instid1(VALU_DEP_2)
	v_add_co_u32 v6, vcc_lo, s2, v6
	s_wait_alu 0xfffd
	v_add_co_ci_u32_e64 v7, null, s3, v7, vcc_lo
	s_clause 0x1
	global_load_b128 v[10:13], v[6:7], off
	global_load_b64 v[14:15], v[6:7], off offset:16
	s_wait_loadcnt 0x1
	v_dual_fmac_f32 v0, v4, v10 :: v_dual_fmac_f32 v3, v5, v12
	v_dual_fmac_f32 v1, v5, v10 :: v_dual_fmac_f32 v2, v4, v12
	s_wait_loadcnt 0x0
	v_fmac_f32_e32 v8, v4, v14
	v_fmac_f32_e32 v9, v5, v14
	v_fma_f32 v0, -v5, v11, v0
	v_fmac_f32_e32 v1, v4, v11
	v_fma_f32 v2, -v5, v13, v2
	;; [unrolled: 2-line block ×3, first 2 shown]
	v_fmac_f32_e32 v9, v4, v15
	s_clause 0x1
	global_store_b128 v[6:7], v[0:3], off
	global_store_b64 v[6:7], v[8:9], off offset:16
	s_endpgm
	.section	.rodata,"a",@progbits
	.p2align	6, 0x0
	.amdhsa_kernel _ZN9rocsparseL18bsrxmvn_3x3_kernelILj256ELj32E21rocsparse_complex_numIfElifS2_S2_EEvT3_20rocsparse_direction_NS_24const_host_device_scalarIT1_EES3_PKS3_PKT2_SC_S9_PKT4_PKT5_S7_PT6_21rocsparse_index_base_b
		.amdhsa_group_segment_fixed_size 0
		.amdhsa_private_segment_fixed_size 0
		.amdhsa_kernarg_size 96
		.amdhsa_user_sgpr_count 2
		.amdhsa_user_sgpr_dispatch_ptr 0
		.amdhsa_user_sgpr_queue_ptr 0
		.amdhsa_user_sgpr_kernarg_segment_ptr 1
		.amdhsa_user_sgpr_dispatch_id 0
		.amdhsa_user_sgpr_private_segment_size 0
		.amdhsa_wavefront_size32 1
		.amdhsa_uses_dynamic_stack 0
		.amdhsa_enable_private_segment 0
		.amdhsa_system_sgpr_workgroup_id_x 1
		.amdhsa_system_sgpr_workgroup_id_y 0
		.amdhsa_system_sgpr_workgroup_id_z 0
		.amdhsa_system_sgpr_workgroup_info 0
		.amdhsa_system_vgpr_workitem_id 0
		.amdhsa_next_free_vgpr 39
		.amdhsa_next_free_sgpr 14
		.amdhsa_reserve_vcc 1
		.amdhsa_float_round_mode_32 0
		.amdhsa_float_round_mode_16_64 0
		.amdhsa_float_denorm_mode_32 3
		.amdhsa_float_denorm_mode_16_64 3
		.amdhsa_fp16_overflow 0
		.amdhsa_workgroup_processor_mode 1
		.amdhsa_memory_ordered 1
		.amdhsa_forward_progress 1
		.amdhsa_inst_pref_size 22
		.amdhsa_round_robin_scheduling 0
		.amdhsa_exception_fp_ieee_invalid_op 0
		.amdhsa_exception_fp_denorm_src 0
		.amdhsa_exception_fp_ieee_div_zero 0
		.amdhsa_exception_fp_ieee_overflow 0
		.amdhsa_exception_fp_ieee_underflow 0
		.amdhsa_exception_fp_ieee_inexact 0
		.amdhsa_exception_int_div_zero 0
	.end_amdhsa_kernel
	.section	.text._ZN9rocsparseL18bsrxmvn_3x3_kernelILj256ELj32E21rocsparse_complex_numIfElifS2_S2_EEvT3_20rocsparse_direction_NS_24const_host_device_scalarIT1_EES3_PKS3_PKT2_SC_S9_PKT4_PKT5_S7_PT6_21rocsparse_index_base_b,"axG",@progbits,_ZN9rocsparseL18bsrxmvn_3x3_kernelILj256ELj32E21rocsparse_complex_numIfElifS2_S2_EEvT3_20rocsparse_direction_NS_24const_host_device_scalarIT1_EES3_PKS3_PKT2_SC_S9_PKT4_PKT5_S7_PT6_21rocsparse_index_base_b,comdat
.Lfunc_end128:
	.size	_ZN9rocsparseL18bsrxmvn_3x3_kernelILj256ELj32E21rocsparse_complex_numIfElifS2_S2_EEvT3_20rocsparse_direction_NS_24const_host_device_scalarIT1_EES3_PKS3_PKT2_SC_S9_PKT4_PKT5_S7_PT6_21rocsparse_index_base_b, .Lfunc_end128-_ZN9rocsparseL18bsrxmvn_3x3_kernelILj256ELj32E21rocsparse_complex_numIfElifS2_S2_EEvT3_20rocsparse_direction_NS_24const_host_device_scalarIT1_EES3_PKS3_PKT2_SC_S9_PKT4_PKT5_S7_PT6_21rocsparse_index_base_b
                                        ; -- End function
	.set _ZN9rocsparseL18bsrxmvn_3x3_kernelILj256ELj32E21rocsparse_complex_numIfElifS2_S2_EEvT3_20rocsparse_direction_NS_24const_host_device_scalarIT1_EES3_PKS3_PKT2_SC_S9_PKT4_PKT5_S7_PT6_21rocsparse_index_base_b.num_vgpr, 39
	.set _ZN9rocsparseL18bsrxmvn_3x3_kernelILj256ELj32E21rocsparse_complex_numIfElifS2_S2_EEvT3_20rocsparse_direction_NS_24const_host_device_scalarIT1_EES3_PKS3_PKT2_SC_S9_PKT4_PKT5_S7_PT6_21rocsparse_index_base_b.num_agpr, 0
	.set _ZN9rocsparseL18bsrxmvn_3x3_kernelILj256ELj32E21rocsparse_complex_numIfElifS2_S2_EEvT3_20rocsparse_direction_NS_24const_host_device_scalarIT1_EES3_PKS3_PKT2_SC_S9_PKT4_PKT5_S7_PT6_21rocsparse_index_base_b.numbered_sgpr, 14
	.set _ZN9rocsparseL18bsrxmvn_3x3_kernelILj256ELj32E21rocsparse_complex_numIfElifS2_S2_EEvT3_20rocsparse_direction_NS_24const_host_device_scalarIT1_EES3_PKS3_PKT2_SC_S9_PKT4_PKT5_S7_PT6_21rocsparse_index_base_b.num_named_barrier, 0
	.set _ZN9rocsparseL18bsrxmvn_3x3_kernelILj256ELj32E21rocsparse_complex_numIfElifS2_S2_EEvT3_20rocsparse_direction_NS_24const_host_device_scalarIT1_EES3_PKS3_PKT2_SC_S9_PKT4_PKT5_S7_PT6_21rocsparse_index_base_b.private_seg_size, 0
	.set _ZN9rocsparseL18bsrxmvn_3x3_kernelILj256ELj32E21rocsparse_complex_numIfElifS2_S2_EEvT3_20rocsparse_direction_NS_24const_host_device_scalarIT1_EES3_PKS3_PKT2_SC_S9_PKT4_PKT5_S7_PT6_21rocsparse_index_base_b.uses_vcc, 1
	.set _ZN9rocsparseL18bsrxmvn_3x3_kernelILj256ELj32E21rocsparse_complex_numIfElifS2_S2_EEvT3_20rocsparse_direction_NS_24const_host_device_scalarIT1_EES3_PKS3_PKT2_SC_S9_PKT4_PKT5_S7_PT6_21rocsparse_index_base_b.uses_flat_scratch, 0
	.set _ZN9rocsparseL18bsrxmvn_3x3_kernelILj256ELj32E21rocsparse_complex_numIfElifS2_S2_EEvT3_20rocsparse_direction_NS_24const_host_device_scalarIT1_EES3_PKS3_PKT2_SC_S9_PKT4_PKT5_S7_PT6_21rocsparse_index_base_b.has_dyn_sized_stack, 0
	.set _ZN9rocsparseL18bsrxmvn_3x3_kernelILj256ELj32E21rocsparse_complex_numIfElifS2_S2_EEvT3_20rocsparse_direction_NS_24const_host_device_scalarIT1_EES3_PKS3_PKT2_SC_S9_PKT4_PKT5_S7_PT6_21rocsparse_index_base_b.has_recursion, 0
	.set _ZN9rocsparseL18bsrxmvn_3x3_kernelILj256ELj32E21rocsparse_complex_numIfElifS2_S2_EEvT3_20rocsparse_direction_NS_24const_host_device_scalarIT1_EES3_PKS3_PKT2_SC_S9_PKT4_PKT5_S7_PT6_21rocsparse_index_base_b.has_indirect_call, 0
	.section	.AMDGPU.csdata,"",@progbits
; Kernel info:
; codeLenInByte = 2740
; TotalNumSgprs: 16
; NumVgprs: 39
; ScratchSize: 0
; MemoryBound: 0
; FloatMode: 240
; IeeeMode: 1
; LDSByteSize: 0 bytes/workgroup (compile time only)
; SGPRBlocks: 0
; VGPRBlocks: 4
; NumSGPRsForWavesPerEU: 16
; NumVGPRsForWavesPerEU: 39
; Occupancy: 16
; WaveLimiterHint : 1
; COMPUTE_PGM_RSRC2:SCRATCH_EN: 0
; COMPUTE_PGM_RSRC2:USER_SGPR: 2
; COMPUTE_PGM_RSRC2:TRAP_HANDLER: 0
; COMPUTE_PGM_RSRC2:TGID_X_EN: 1
; COMPUTE_PGM_RSRC2:TGID_Y_EN: 0
; COMPUTE_PGM_RSRC2:TGID_Z_EN: 0
; COMPUTE_PGM_RSRC2:TIDIG_COMP_CNT: 0
	.section	.text._ZN9rocsparseL18bsrxmvn_3x3_kernelILj256ELj64E21rocsparse_complex_numIfElifS2_S2_EEvT3_20rocsparse_direction_NS_24const_host_device_scalarIT1_EES3_PKS3_PKT2_SC_S9_PKT4_PKT5_S7_PT6_21rocsparse_index_base_b,"axG",@progbits,_ZN9rocsparseL18bsrxmvn_3x3_kernelILj256ELj64E21rocsparse_complex_numIfElifS2_S2_EEvT3_20rocsparse_direction_NS_24const_host_device_scalarIT1_EES3_PKS3_PKT2_SC_S9_PKT4_PKT5_S7_PT6_21rocsparse_index_base_b,comdat
	.globl	_ZN9rocsparseL18bsrxmvn_3x3_kernelILj256ELj64E21rocsparse_complex_numIfElifS2_S2_EEvT3_20rocsparse_direction_NS_24const_host_device_scalarIT1_EES3_PKS3_PKT2_SC_S9_PKT4_PKT5_S7_PT6_21rocsparse_index_base_b ; -- Begin function _ZN9rocsparseL18bsrxmvn_3x3_kernelILj256ELj64E21rocsparse_complex_numIfElifS2_S2_EEvT3_20rocsparse_direction_NS_24const_host_device_scalarIT1_EES3_PKS3_PKT2_SC_S9_PKT4_PKT5_S7_PT6_21rocsparse_index_base_b
	.p2align	8
	.type	_ZN9rocsparseL18bsrxmvn_3x3_kernelILj256ELj64E21rocsparse_complex_numIfElifS2_S2_EEvT3_20rocsparse_direction_NS_24const_host_device_scalarIT1_EES3_PKS3_PKT2_SC_S9_PKT4_PKT5_S7_PT6_21rocsparse_index_base_b,@function
_ZN9rocsparseL18bsrxmvn_3x3_kernelILj256ELj64E21rocsparse_complex_numIfElifS2_S2_EEvT3_20rocsparse_direction_NS_24const_host_device_scalarIT1_EES3_PKS3_PKT2_SC_S9_PKT4_PKT5_S7_PT6_21rocsparse_index_base_b: ; @_ZN9rocsparseL18bsrxmvn_3x3_kernelILj256ELj64E21rocsparse_complex_numIfElifS2_S2_EEvT3_20rocsparse_direction_NS_24const_host_device_scalarIT1_EES3_PKS3_PKT2_SC_S9_PKT4_PKT5_S7_PT6_21rocsparse_index_base_b
; %bb.0:
	s_clause 0x2
	s_load_b64 s[12:13], s[0:1], 0x58
	s_load_b64 s[2:3], s[0:1], 0x8
	;; [unrolled: 1-line block ×3, first 2 shown]
	s_add_nc_u64 s[6:7], s[0:1], 8
	s_wait_kmcnt 0x0
	s_bitcmp1_b32 s13, 0
	s_cselect_b32 s2, s6, s2
	s_cselect_b32 s3, s7, s3
	s_delay_alu instid0(SALU_CYCLE_1)
	v_dual_mov_b32 v1, s2 :: v_dual_mov_b32 v2, s3
	s_add_nc_u64 s[2:3], s[0:1], 0x48
	s_wait_alu 0xfffe
	s_cselect_b32 s2, s2, s4
	s_cselect_b32 s3, s3, s5
	flat_load_b64 v[6:7], v[1:2]
	s_wait_alu 0xfffe
	v_dual_mov_b32 v1, s2 :: v_dual_mov_b32 v2, s3
	flat_load_b64 v[4:5], v[1:2]
	s_wait_loadcnt_dscnt 0x101
	v_cmp_eq_f32_e32 vcc_lo, 0, v6
	v_cmp_eq_f32_e64 s2, 0, v7
	s_and_b32 s4, vcc_lo, s2
	s_mov_b32 s2, -1
	s_and_saveexec_b32 s3, s4
	s_cbranch_execz .LBB129_2
; %bb.1:
	s_wait_loadcnt_dscnt 0x0
	v_cmp_neq_f32_e32 vcc_lo, 1.0, v4
	v_cmp_neq_f32_e64 s2, 0, v5
	s_wait_alu 0xfffe
	s_or_b32 s2, vcc_lo, s2
	s_wait_alu 0xfffe
	s_or_not1_b32 s2, s2, exec_lo
.LBB129_2:
	s_wait_alu 0xfffe
	s_or_b32 exec_lo, exec_lo, s3
	s_and_saveexec_b32 s3, s2
	s_cbranch_execz .LBB129_8
; %bb.3:
	s_clause 0x1
	s_load_b64 s[4:5], s[0:1], 0x18
	s_load_b64 s[2:3], s[0:1], 0x0
	v_lshrrev_b32_e32 v1, 6, v0
	s_delay_alu instid0(VALU_DEP_1)
	v_lshl_or_b32 v2, ttmp9, 2, v1
	s_wait_kmcnt 0x0
	s_cmp_lg_u64 s[4:5], 0
	s_cbranch_scc0 .LBB129_9
; %bb.4:
	s_load_b32 s6, s[0:1], 0x10
	s_mov_b32 s7, 0
                                        ; implicit-def: $vgpr1
	s_wait_kmcnt 0x0
	v_cmp_gt_i32_e32 vcc_lo, s6, v2
	s_mov_b32 s6, 0
	s_and_saveexec_b32 s8, vcc_lo
	s_delay_alu instid0(SALU_CYCLE_1)
	s_xor_b32 s8, exec_lo, s8
	s_cbranch_execz .LBB129_6
; %bb.5:
	v_ashrrev_i32_e32 v3, 31, v2
	s_mov_b32 s6, exec_lo
	s_delay_alu instid0(VALU_DEP_1) | instskip(NEXT) | instid1(VALU_DEP_1)
	v_lshlrev_b64_e32 v[8:9], 2, v[2:3]
	v_add_co_u32 v8, vcc_lo, s4, v8
	s_delay_alu instid0(VALU_DEP_1)
	v_add_co_ci_u32_e64 v9, null, s5, v9, vcc_lo
	global_load_b32 v1, v[8:9], off
	s_wait_loadcnt 0x0
	v_subrev_nc_u32_e32 v1, s12, v1
.LBB129_6:
	s_or_b32 exec_lo, exec_lo, s8
	s_delay_alu instid0(SALU_CYCLE_1)
	s_and_b32 vcc_lo, exec_lo, s7
	s_wait_alu 0xfffe
	s_cbranch_vccz .LBB129_10
.LBB129_7:
	v_cmp_gt_i32_e32 vcc_lo, s2, v2
	s_and_not1_b32 s2, s6, exec_lo
	s_and_b32 s4, vcc_lo, exec_lo
	s_wait_alu 0xfffe
	s_or_b32 s6, s2, s4
	s_wait_alu 0xfffe
	s_and_b32 exec_lo, exec_lo, s6
	s_cbranch_execnz .LBB129_11
.LBB129_8:
	s_endpgm
.LBB129_9:
	s_mov_b32 s6, 0
                                        ; implicit-def: $vgpr1
	s_cbranch_execnz .LBB129_7
.LBB129_10:
	v_mov_b32_e32 v2, v1
	s_and_b32 exec_lo, exec_lo, s6
	s_cbranch_execz .LBB129_8
.LBB129_11:
	s_load_b256 s[4:11], s[0:1], 0x20
	s_delay_alu instid0(VALU_DEP_1) | instskip(SKIP_1) | instid1(VALU_DEP_2)
	v_ashrrev_i32_e32 v3, 31, v2
	v_mov_b32_e32 v18, 0
	v_lshlrev_b64_e32 v[8:9], 3, v[2:3]
	s_wait_kmcnt 0x0
	s_delay_alu instid0(VALU_DEP_1) | instskip(SKIP_1) | instid1(VALU_DEP_2)
	v_add_co_u32 v10, vcc_lo, s4, v8
	s_wait_alu 0xfffd
	v_add_co_ci_u32_e64 v11, null, s5, v9, vcc_lo
	v_add_co_u32 v1, vcc_lo, s6, v8
	s_wait_alu 0xfffd
	v_add_co_ci_u32_e64 v3, null, s7, v9, vcc_lo
	global_load_b64 v[12:13], v[10:11], off
	v_add_co_u32 v8, vcc_lo, v10, 8
	s_wait_alu 0xfffd
	v_add_co_ci_u32_e64 v9, null, 0, v11, vcc_lo
	s_cmp_eq_u64 s[6:7], 0
	s_load_b64 s[4:5], s[0:1], 0x40
	s_cselect_b32 vcc_lo, -1, 0
	s_cmp_eq_u32 s3, 1
	s_wait_alu 0xfffe
	v_dual_cndmask_b32 v9, v3, v9 :: v_dual_cndmask_b32 v8, v1, v8
	v_and_b32_e32 v3, 63, v0
	global_load_b64 v[10:11], v[8:9], off
	s_wait_loadcnt 0x1
	v_sub_co_u32 v0, vcc_lo, v12, s12
	s_wait_alu 0xfffd
	v_subrev_co_ci_u32_e64 v1, null, 0, v13, vcc_lo
	s_delay_alu instid0(VALU_DEP_2) | instskip(SKIP_1) | instid1(VALU_DEP_2)
	v_add_co_u32 v0, vcc_lo, v0, v3
	s_wait_alu 0xfffd
	v_add_co_ci_u32_e64 v1, null, 0, v1, vcc_lo
	s_delay_alu instid0(VALU_DEP_2) | instskip(SKIP_1) | instid1(VALU_DEP_1)
	v_mad_co_u64_u32 v[8:9], null, v0, 36, s[10:11]
	s_wait_loadcnt 0x0
	v_mad_co_u64_u32 v[12:13], null, v1, 36, v[9:10]
	v_sub_co_u32 v10, vcc_lo, v10, s12
	s_wait_alu 0xfffd
	v_subrev_co_ci_u32_e64 v11, null, 0, v11, vcc_lo
	s_delay_alu instid0(VALU_DEP_3) | instskip(NEXT) | instid1(VALU_DEP_2)
	v_mov_b32_e32 v9, v12
	v_cmp_lt_i64_e64 s2, v[0:1], v[10:11]
	s_cbranch_scc1 .LBB129_17
; %bb.12:
	v_dual_mov_b32 v19, 0 :: v_dual_mov_b32 v20, 0
	v_dual_mov_b32 v21, 0 :: v_dual_mov_b32 v22, 0
	v_mov_b32_e32 v23, 0
	s_and_saveexec_b32 s3, s2
	s_cbranch_execz .LBB129_16
; %bb.13:
	v_lshlrev_b64_e32 v[14:15], 2, v[0:1]
	v_dual_mov_b32 v18, 0 :: v_dual_mov_b32 v13, v1
	v_dual_mov_b32 v12, v0 :: v_dual_mov_b32 v17, v9
	;; [unrolled: 1-line block ×3, first 2 shown]
	s_delay_alu instid0(VALU_DEP_4)
	v_add_co_u32 v14, vcc_lo, s8, v14
	s_wait_alu 0xfffd
	v_add_co_ci_u32_e64 v15, null, s9, v15, vcc_lo
	v_dual_mov_b32 v20, 0 :: v_dual_mov_b32 v21, 0
	v_dual_mov_b32 v22, 0 :: v_dual_mov_b32 v23, 0
	s_mov_b32 s6, 0
.LBB129_14:                             ; =>This Inner Loop Header: Depth=1
	global_load_b32 v32, v[14:15], off
	s_clause 0x1
	global_load_b128 v[24:27], v[16:17], off offset:16
	global_load_b128 v[28:31], v[16:17], off
	s_wait_loadcnt 0x2
	v_subrev_nc_u32_e32 v32, s12, v32
	s_delay_alu instid0(VALU_DEP_1) | instskip(NEXT) | instid1(VALU_DEP_1)
	v_lshl_add_u32 v32, v32, 1, v32
	v_ashrrev_i32_e32 v33, 31, v32
	s_delay_alu instid0(VALU_DEP_1) | instskip(SKIP_1) | instid1(VALU_DEP_1)
	v_lshlrev_b64_e32 v[32:33], 3, v[32:33]
	s_wait_kmcnt 0x0
	v_add_co_u32 v36, vcc_lo, s4, v32
	s_wait_alu 0xfffd
	s_delay_alu instid0(VALU_DEP_2)
	v_add_co_ci_u32_e64 v37, null, s5, v33, vcc_lo
	s_clause 0x1
	global_load_b128 v[32:35], v[36:37], off
	global_load_b64 v[36:37], v[36:37], off offset:16
	global_load_b32 v38, v[16:17], off offset:32
	v_add_co_u32 v16, vcc_lo, 0x900, v16
	s_wait_alu 0xfffd
	v_add_co_ci_u32_e64 v17, null, 0, v17, vcc_lo
	v_add_co_u32 v12, vcc_lo, v12, 64
	s_wait_alu 0xfffd
	v_add_co_ci_u32_e64 v13, null, 0, v13, vcc_lo
	;; [unrolled: 3-line block ×3, first 2 shown]
	s_delay_alu instid0(VALU_DEP_3) | instskip(SKIP_4) | instid1(VALU_DEP_1)
	v_cmp_ge_i64_e32 vcc_lo, v[12:13], v[10:11]
	s_wait_alu 0xfffe
	s_or_b32 s6, vcc_lo, s6
	s_wait_loadcnt 0x2
	v_fmac_f32_e32 v20, 0, v32
	v_dual_fmac_f32 v19, v28, v32 :: v_dual_fmac_f32 v20, v31, v33
	s_delay_alu instid0(VALU_DEP_1) | instskip(NEXT) | instid1(VALU_DEP_1)
	v_dual_fmac_f32 v18, 0, v32 :: v_dual_fmac_f32 v19, 0x80000000, v33
	v_dual_fmac_f32 v21, v31, v32 :: v_dual_fmac_f32 v18, v28, v33
	v_fmac_f32_e32 v23, v26, v32
	s_delay_alu instid0(VALU_DEP_2) | instskip(NEXT) | instid1(VALU_DEP_4)
	v_fmac_f32_e32 v21, 0x80000000, v33
	v_fmac_f32_e32 v19, v29, v34
	;; [unrolled: 1-line block ×4, first 2 shown]
	v_dual_fmac_f32 v22, 0, v32 :: v_dual_fmac_f32 v23, 0x80000000, v33
	v_fmac_f32_e32 v21, v24, v34
	v_fmac_f32_e32 v19, 0x80000000, v35
	s_delay_alu instid0(VALU_DEP_4) | instskip(NEXT) | instid1(VALU_DEP_4)
	v_fmac_f32_e32 v18, v29, v35
	v_dual_fmac_f32 v22, v26, v33 :: v_dual_fmac_f32 v23, v27, v34
	v_fmac_f32_e32 v20, v24, v35
	v_fmac_f32_e32 v21, 0x80000000, v35
	s_wait_loadcnt 0x1
	s_delay_alu instid0(VALU_DEP_3) | instskip(SKIP_1) | instid1(VALU_DEP_3)
	v_dual_fmac_f32 v19, v30, v36 :: v_dual_fmac_f32 v22, 0, v34
	v_dual_fmac_f32 v23, 0x80000000, v35 :: v_dual_fmac_f32 v18, 0, v36
	v_fmac_f32_e32 v21, v25, v36
	s_delay_alu instid0(VALU_DEP_3) | instskip(SKIP_1) | instid1(VALU_DEP_3)
	v_dual_fmac_f32 v20, 0, v36 :: v_dual_fmac_f32 v19, 0x80000000, v37
	s_wait_loadcnt 0x0
	v_dual_fmac_f32 v22, v27, v35 :: v_dual_fmac_f32 v23, v38, v36
	v_fmac_f32_e32 v18, v30, v37
	v_fmac_f32_e32 v21, 0x80000000, v37
	;; [unrolled: 1-line block ×3, first 2 shown]
	s_delay_alu instid0(VALU_DEP_4) | instskip(NEXT) | instid1(VALU_DEP_1)
	v_dual_fmac_f32 v22, 0, v36 :: v_dual_fmac_f32 v23, 0x80000000, v37
	v_fmac_f32_e32 v22, v38, v37
	s_wait_alu 0xfffe
	s_and_not1_b32 exec_lo, exec_lo, s6
	s_cbranch_execnz .LBB129_14
; %bb.15:
	s_or_b32 exec_lo, exec_lo, s6
.LBB129_16:
	s_wait_alu 0xfffe
	s_or_b32 exec_lo, exec_lo, s3
	s_cbranch_execz .LBB129_18
	s_branch .LBB129_23
.LBB129_17:
                                        ; implicit-def: $vgpr18
                                        ; implicit-def: $vgpr19
                                        ; implicit-def: $vgpr20
                                        ; implicit-def: $vgpr21
                                        ; implicit-def: $vgpr22
                                        ; implicit-def: $vgpr23
.LBB129_18:
	v_dual_mov_b32 v18, 0 :: v_dual_mov_b32 v19, 0
	v_dual_mov_b32 v20, 0 :: v_dual_mov_b32 v21, 0
	;; [unrolled: 1-line block ×3, first 2 shown]
	s_and_saveexec_b32 s3, s2
	s_cbranch_execz .LBB129_22
; %bb.19:
	v_lshlrev_b64_e32 v[12:13], 2, v[0:1]
	v_dual_mov_b32 v18, 0 :: v_dual_mov_b32 v19, 0
	v_dual_mov_b32 v20, 0 :: v_dual_mov_b32 v21, 0
	v_dual_mov_b32 v22, 0 :: v_dual_mov_b32 v23, 0
	s_delay_alu instid0(VALU_DEP_4)
	v_add_co_u32 v12, vcc_lo, s8, v12
	s_wait_alu 0xfffd
	v_add_co_ci_u32_e64 v13, null, s9, v13, vcc_lo
	s_mov_b32 s2, 0
.LBB129_20:                             ; =>This Inner Loop Header: Depth=1
	global_load_b32 v28, v[12:13], off
	s_clause 0x1
	global_load_b128 v[14:17], v[8:9], off offset:16
	global_load_b128 v[24:27], v[8:9], off
	s_wait_loadcnt 0x2
	v_subrev_nc_u32_e32 v28, s12, v28
	s_delay_alu instid0(VALU_DEP_1) | instskip(NEXT) | instid1(VALU_DEP_1)
	v_lshl_add_u32 v28, v28, 1, v28
	v_ashrrev_i32_e32 v29, 31, v28
	s_delay_alu instid0(VALU_DEP_1) | instskip(SKIP_1) | instid1(VALU_DEP_1)
	v_lshlrev_b64_e32 v[28:29], 3, v[28:29]
	s_wait_kmcnt 0x0
	v_add_co_u32 v32, vcc_lo, s4, v28
	s_wait_alu 0xfffd
	s_delay_alu instid0(VALU_DEP_2)
	v_add_co_ci_u32_e64 v33, null, s5, v29, vcc_lo
	s_clause 0x1
	global_load_b128 v[28:31], v[32:33], off
	global_load_b64 v[32:33], v[32:33], off offset:16
	global_load_b32 v34, v[8:9], off offset:32
	v_add_co_u32 v8, vcc_lo, 0x900, v8
	s_wait_alu 0xfffd
	v_add_co_ci_u32_e64 v9, null, 0, v9, vcc_lo
	v_add_co_u32 v0, vcc_lo, v0, 64
	s_wait_alu 0xfffd
	v_add_co_ci_u32_e64 v1, null, 0, v1, vcc_lo
	v_add_co_u32 v12, vcc_lo, 0x100, v12
	s_wait_alu 0xfffd
	v_add_co_ci_u32_e64 v13, null, 0, v13, vcc_lo
	s_delay_alu instid0(VALU_DEP_3) | instskip(SKIP_4) | instid1(VALU_DEP_1)
	v_cmp_ge_i64_e32 vcc_lo, v[0:1], v[10:11]
	s_wait_alu 0xfffe
	s_or_b32 s2, vcc_lo, s2
	s_wait_loadcnt 0x2
	v_fmac_f32_e32 v20, 0, v28
	v_dual_fmac_f32 v19, v24, v28 :: v_dual_fmac_f32 v20, v25, v29
	s_delay_alu instid0(VALU_DEP_1) | instskip(NEXT) | instid1(VALU_DEP_1)
	v_dual_fmac_f32 v18, 0, v28 :: v_dual_fmac_f32 v19, 0x80000000, v29
	v_dual_fmac_f32 v21, v25, v28 :: v_dual_fmac_f32 v18, v24, v29
	v_fmac_f32_e32 v23, v26, v28
	s_delay_alu instid0(VALU_DEP_2) | instskip(NEXT) | instid1(VALU_DEP_4)
	v_fmac_f32_e32 v21, 0x80000000, v29
	v_fmac_f32_e32 v19, v27, v30
	;; [unrolled: 1-line block ×4, first 2 shown]
	v_dual_fmac_f32 v22, 0, v28 :: v_dual_fmac_f32 v23, 0x80000000, v29
	v_fmac_f32_e32 v21, v14, v30
	v_fmac_f32_e32 v19, 0x80000000, v31
	s_delay_alu instid0(VALU_DEP_4) | instskip(NEXT) | instid1(VALU_DEP_4)
	v_fmac_f32_e32 v18, v27, v31
	v_dual_fmac_f32 v22, v26, v29 :: v_dual_fmac_f32 v23, v15, v30
	v_fmac_f32_e32 v20, v14, v31
	v_fmac_f32_e32 v21, 0x80000000, v31
	s_wait_loadcnt 0x1
	s_delay_alu instid0(VALU_DEP_3) | instskip(SKIP_1) | instid1(VALU_DEP_3)
	v_dual_fmac_f32 v19, v16, v32 :: v_dual_fmac_f32 v22, 0, v30
	v_dual_fmac_f32 v23, 0x80000000, v31 :: v_dual_fmac_f32 v18, 0, v32
	v_fmac_f32_e32 v21, v17, v32
	s_delay_alu instid0(VALU_DEP_3) | instskip(SKIP_1) | instid1(VALU_DEP_3)
	v_dual_fmac_f32 v20, 0, v32 :: v_dual_fmac_f32 v19, 0x80000000, v33
	s_wait_loadcnt 0x0
	v_dual_fmac_f32 v22, v15, v31 :: v_dual_fmac_f32 v23, v34, v32
	v_fmac_f32_e32 v18, v16, v33
	v_fmac_f32_e32 v21, 0x80000000, v33
	;; [unrolled: 1-line block ×3, first 2 shown]
	s_delay_alu instid0(VALU_DEP_4) | instskip(NEXT) | instid1(VALU_DEP_1)
	v_dual_fmac_f32 v22, 0, v32 :: v_dual_fmac_f32 v23, 0x80000000, v33
	v_fmac_f32_e32 v22, v34, v33
	s_wait_alu 0xfffe
	s_and_not1_b32 exec_lo, exec_lo, s2
	s_cbranch_execnz .LBB129_20
; %bb.21:
	s_or_b32 exec_lo, exec_lo, s2
.LBB129_22:
	s_wait_alu 0xfffe
	s_or_b32 exec_lo, exec_lo, s3
.LBB129_23:
	v_mbcnt_lo_u32_b32 v0, -1, 0
	s_delay_alu instid0(VALU_DEP_1) | instskip(SKIP_1) | instid1(VALU_DEP_2)
	v_or_b32_e32 v1, 32, v0
	v_xor_b32_e32 v13, 16, v0
	v_cmp_gt_i32_e32 vcc_lo, 32, v1
	s_wait_alu 0xfffd
	v_cndmask_b32_e32 v1, v0, v1, vcc_lo
	s_delay_alu instid0(VALU_DEP_3) | instskip(NEXT) | instid1(VALU_DEP_2)
	v_cmp_gt_i32_e32 vcc_lo, 32, v13
	v_lshlrev_b32_e32 v1, 2, v1
	ds_bpermute_b32 v10, v1, v21
	s_wait_dscnt 0x0
	v_add_f32_e32 v10, v21, v10
	ds_bpermute_b32 v8, v1, v19
	ds_bpermute_b32 v12, v1, v23
	s_wait_alu 0xfffd
	v_cndmask_b32_e32 v13, v0, v13, vcc_lo
	ds_bpermute_b32 v9, v1, v18
	ds_bpermute_b32 v11, v1, v20
	;; [unrolled: 1-line block ×3, first 2 shown]
	s_wait_dscnt 0x4
	v_add_f32_e32 v8, v19, v8
	s_wait_dscnt 0x3
	v_dual_add_f32 v12, v23, v12 :: v_dual_lshlrev_b32 v13, 2, v13
	s_wait_dscnt 0x2
	v_add_f32_e32 v9, v18, v9
	v_xor_b32_e32 v19, 8, v0
	s_wait_dscnt 0x0
	v_add_f32_e32 v1, v22, v1
	ds_bpermute_b32 v14, v13, v8
	v_cmp_gt_i32_e32 vcc_lo, 32, v19
	s_wait_alu 0xfffd
	v_cndmask_b32_e32 v19, v0, v19, vcc_lo
	s_wait_dscnt 0x0
	v_add_f32_e32 v8, v8, v14
	ds_bpermute_b32 v16, v13, v10
	ds_bpermute_b32 v18, v13, v12
	v_add_f32_e32 v11, v20, v11
	s_wait_dscnt 0x1
	v_dual_add_f32 v10, v10, v16 :: v_dual_lshlrev_b32 v19, 2, v19
	ds_bpermute_b32 v17, v13, v11
	s_wait_dscnt 0x1
	v_add_f32_e32 v12, v12, v18
	ds_bpermute_b32 v15, v13, v9
	ds_bpermute_b32 v13, v13, v1
	s_wait_dscnt 0x2
	v_add_f32_e32 v11, v11, v17
	s_wait_dscnt 0x0
	v_add_f32_e32 v1, v1, v13
	ds_bpermute_b32 v13, v19, v8
	s_wait_dscnt 0x0
	v_add_f32_e32 v8, v8, v13
	ds_bpermute_b32 v17, v19, v12
	v_add_f32_e32 v9, v9, v15
	ds_bpermute_b32 v15, v19, v10
	ds_bpermute_b32 v18, v19, v1
	s_wait_dscnt 0x2
	v_add_f32_e32 v12, v12, v17
	ds_bpermute_b32 v14, v19, v9
	s_wait_dscnt 0x2
	v_add_f32_e32 v10, v10, v15
	ds_bpermute_b32 v16, v19, v11
	v_xor_b32_e32 v19, 4, v0
	s_delay_alu instid0(VALU_DEP_1) | instskip(SKIP_2) | instid1(VALU_DEP_1)
	v_cmp_gt_i32_e32 vcc_lo, 32, v19
	s_wait_alu 0xfffd
	v_cndmask_b32_e32 v19, v0, v19, vcc_lo
	v_lshlrev_b32_e32 v19, 2, v19
	ds_bpermute_b32 v13, v19, v8
	s_wait_dscnt 0x0
	v_add_f32_e32 v8, v8, v13
	ds_bpermute_b32 v15, v19, v10
	ds_bpermute_b32 v17, v19, v12
	v_add_f32_e32 v9, v9, v14
	v_add_f32_e32 v11, v11, v16
	ds_bpermute_b32 v16, v19, v11
	s_wait_dscnt 0x2
	v_dual_add_f32 v10, v10, v15 :: v_dual_add_f32 v1, v1, v18
	s_wait_dscnt 0x1
	v_add_f32_e32 v12, v12, v17
	ds_bpermute_b32 v14, v19, v9
	ds_bpermute_b32 v18, v19, v1
	v_xor_b32_e32 v19, 2, v0
	s_wait_dscnt 0x2
	v_add_f32_e32 v11, v11, v16
	s_delay_alu instid0(VALU_DEP_2) | instskip(SKIP_2) | instid1(VALU_DEP_1)
	v_cmp_gt_i32_e32 vcc_lo, 32, v19
	s_wait_alu 0xfffd
	v_cndmask_b32_e32 v19, v0, v19, vcc_lo
	v_lshlrev_b32_e32 v19, 2, v19
	s_wait_dscnt 0x1
	v_add_f32_e32 v9, v9, v14
	s_wait_dscnt 0x0
	v_add_f32_e32 v13, v1, v18
	ds_bpermute_b32 v1, v19, v8
	ds_bpermute_b32 v14, v19, v9
	;; [unrolled: 1-line block ×6, first 2 shown]
	v_xor_b32_e32 v19, 1, v0
	s_delay_alu instid0(VALU_DEP_1) | instskip(SKIP_4) | instid1(VALU_DEP_2)
	v_cmp_gt_i32_e32 vcc_lo, 32, v19
	s_wait_alu 0xfffd
	v_cndmask_b32_e32 v0, v0, v19, vcc_lo
	v_cmp_eq_u32_e32 vcc_lo, 63, v3
	s_wait_dscnt 0x5
	v_dual_add_f32 v0, v8, v1 :: v_dual_lshlrev_b32 v19, 2, v0
	s_wait_dscnt 0x3
	v_dual_add_f32 v1, v9, v14 :: v_dual_add_f32 v8, v10, v15
	s_wait_dscnt 0x1
	v_dual_add_f32 v9, v11, v16 :: v_dual_add_f32 v10, v12, v17
	s_wait_dscnt 0x0
	v_add_f32_e32 v11, v13, v18
	ds_bpermute_b32 v12, v19, v0
	ds_bpermute_b32 v13, v19, v1
	;; [unrolled: 1-line block ×6, first 2 shown]
	s_and_b32 exec_lo, exec_lo, vcc_lo
	s_cbranch_execz .LBB129_8
; %bb.24:
	s_wait_dscnt 0x4
	v_dual_add_f32 v12, v0, v12 :: v_dual_add_f32 v1, v1, v13
	s_load_b64 s[2:3], s[0:1], 0x50
	s_wait_dscnt 0x1
	v_dual_add_f32 v13, v8, v14 :: v_dual_add_f32 v14, v10, v16
	v_lshl_add_u32 v10, v2, 1, v2
	v_mul_f32_e64 v0, v1, -v7
	v_add_f32_e32 v3, v9, v15
	s_wait_dscnt 0x0
	v_add_f32_e32 v9, v11, v17
	v_mul_f32_e32 v1, v6, v1
	v_cmp_eq_f32_e32 vcc_lo, 0, v4
	v_fmac_f32_e32 v0, v6, v12
	v_mul_f32_e64 v2, v3, -v7
	v_mul_f32_e64 v8, v9, -v7
	v_mul_f32_e32 v3, v6, v3
	v_cmp_eq_f32_e64 s0, 0, v5
	s_delay_alu instid0(VALU_DEP_4) | instskip(NEXT) | instid1(VALU_DEP_4)
	v_dual_fmac_f32 v1, v7, v12 :: v_dual_fmac_f32 v2, v6, v13
	v_fmac_f32_e32 v8, v6, v14
	v_mul_f32_e32 v9, v6, v9
	v_ashrrev_i32_e32 v11, 31, v10
	v_fmac_f32_e32 v3, v7, v13
	s_and_b32 s0, vcc_lo, s0
	s_delay_alu instid0(VALU_DEP_3)
	v_fmac_f32_e32 v9, v7, v14
	s_wait_alu 0xfffe
	s_and_saveexec_b32 s1, s0
	s_wait_alu 0xfffe
	s_xor_b32 s0, exec_lo, s1
	s_cbranch_execz .LBB129_26
; %bb.25:
	v_lshlrev_b64_e32 v[4:5], 3, v[10:11]
                                        ; implicit-def: $vgpr10
	s_wait_kmcnt 0x0
	s_delay_alu instid0(VALU_DEP_1) | instskip(SKIP_1) | instid1(VALU_DEP_2)
	v_add_co_u32 v4, vcc_lo, s2, v4
	s_wait_alu 0xfffd
	v_add_co_ci_u32_e64 v5, null, s3, v5, vcc_lo
	s_clause 0x1
	global_store_b128 v[4:5], v[0:3], off
	global_store_b64 v[4:5], v[8:9], off offset:16
                                        ; implicit-def: $vgpr4_vgpr5
                                        ; implicit-def: $vgpr0
                                        ; implicit-def: $vgpr8
.LBB129_26:
	s_wait_alu 0xfffe
	s_and_not1_saveexec_b32 s0, s0
	s_cbranch_execz .LBB129_8
; %bb.27:
	v_lshlrev_b64_e32 v[6:7], 3, v[10:11]
	s_wait_kmcnt 0x0
	s_delay_alu instid0(VALU_DEP_1) | instskip(SKIP_1) | instid1(VALU_DEP_2)
	v_add_co_u32 v6, vcc_lo, s2, v6
	s_wait_alu 0xfffd
	v_add_co_ci_u32_e64 v7, null, s3, v7, vcc_lo
	s_clause 0x1
	global_load_b128 v[10:13], v[6:7], off
	global_load_b64 v[14:15], v[6:7], off offset:16
	s_wait_loadcnt 0x1
	v_dual_fmac_f32 v0, v4, v10 :: v_dual_fmac_f32 v3, v5, v12
	v_dual_fmac_f32 v1, v5, v10 :: v_dual_fmac_f32 v2, v4, v12
	s_wait_loadcnt 0x0
	v_fmac_f32_e32 v8, v4, v14
	v_fmac_f32_e32 v9, v5, v14
	v_fma_f32 v0, -v5, v11, v0
	v_fmac_f32_e32 v1, v4, v11
	v_fma_f32 v2, -v5, v13, v2
	;; [unrolled: 2-line block ×3, first 2 shown]
	v_fmac_f32_e32 v9, v4, v15
	s_clause 0x1
	global_store_b128 v[6:7], v[0:3], off
	global_store_b64 v[6:7], v[8:9], off offset:16
	s_endpgm
	.section	.rodata,"a",@progbits
	.p2align	6, 0x0
	.amdhsa_kernel _ZN9rocsparseL18bsrxmvn_3x3_kernelILj256ELj64E21rocsparse_complex_numIfElifS2_S2_EEvT3_20rocsparse_direction_NS_24const_host_device_scalarIT1_EES3_PKS3_PKT2_SC_S9_PKT4_PKT5_S7_PT6_21rocsparse_index_base_b
		.amdhsa_group_segment_fixed_size 0
		.amdhsa_private_segment_fixed_size 0
		.amdhsa_kernarg_size 96
		.amdhsa_user_sgpr_count 2
		.amdhsa_user_sgpr_dispatch_ptr 0
		.amdhsa_user_sgpr_queue_ptr 0
		.amdhsa_user_sgpr_kernarg_segment_ptr 1
		.amdhsa_user_sgpr_dispatch_id 0
		.amdhsa_user_sgpr_private_segment_size 0
		.amdhsa_wavefront_size32 1
		.amdhsa_uses_dynamic_stack 0
		.amdhsa_enable_private_segment 0
		.amdhsa_system_sgpr_workgroup_id_x 1
		.amdhsa_system_sgpr_workgroup_id_y 0
		.amdhsa_system_sgpr_workgroup_id_z 0
		.amdhsa_system_sgpr_workgroup_info 0
		.amdhsa_system_vgpr_workitem_id 0
		.amdhsa_next_free_vgpr 39
		.amdhsa_next_free_sgpr 14
		.amdhsa_reserve_vcc 1
		.amdhsa_float_round_mode_32 0
		.amdhsa_float_round_mode_16_64 0
		.amdhsa_float_denorm_mode_32 3
		.amdhsa_float_denorm_mode_16_64 3
		.amdhsa_fp16_overflow 0
		.amdhsa_workgroup_processor_mode 1
		.amdhsa_memory_ordered 1
		.amdhsa_forward_progress 1
		.amdhsa_inst_pref_size 23
		.amdhsa_round_robin_scheduling 0
		.amdhsa_exception_fp_ieee_invalid_op 0
		.amdhsa_exception_fp_denorm_src 0
		.amdhsa_exception_fp_ieee_div_zero 0
		.amdhsa_exception_fp_ieee_overflow 0
		.amdhsa_exception_fp_ieee_underflow 0
		.amdhsa_exception_fp_ieee_inexact 0
		.amdhsa_exception_int_div_zero 0
	.end_amdhsa_kernel
	.section	.text._ZN9rocsparseL18bsrxmvn_3x3_kernelILj256ELj64E21rocsparse_complex_numIfElifS2_S2_EEvT3_20rocsparse_direction_NS_24const_host_device_scalarIT1_EES3_PKS3_PKT2_SC_S9_PKT4_PKT5_S7_PT6_21rocsparse_index_base_b,"axG",@progbits,_ZN9rocsparseL18bsrxmvn_3x3_kernelILj256ELj64E21rocsparse_complex_numIfElifS2_S2_EEvT3_20rocsparse_direction_NS_24const_host_device_scalarIT1_EES3_PKS3_PKT2_SC_S9_PKT4_PKT5_S7_PT6_21rocsparse_index_base_b,comdat
.Lfunc_end129:
	.size	_ZN9rocsparseL18bsrxmvn_3x3_kernelILj256ELj64E21rocsparse_complex_numIfElifS2_S2_EEvT3_20rocsparse_direction_NS_24const_host_device_scalarIT1_EES3_PKS3_PKT2_SC_S9_PKT4_PKT5_S7_PT6_21rocsparse_index_base_b, .Lfunc_end129-_ZN9rocsparseL18bsrxmvn_3x3_kernelILj256ELj64E21rocsparse_complex_numIfElifS2_S2_EEvT3_20rocsparse_direction_NS_24const_host_device_scalarIT1_EES3_PKS3_PKT2_SC_S9_PKT4_PKT5_S7_PT6_21rocsparse_index_base_b
                                        ; -- End function
	.set _ZN9rocsparseL18bsrxmvn_3x3_kernelILj256ELj64E21rocsparse_complex_numIfElifS2_S2_EEvT3_20rocsparse_direction_NS_24const_host_device_scalarIT1_EES3_PKS3_PKT2_SC_S9_PKT4_PKT5_S7_PT6_21rocsparse_index_base_b.num_vgpr, 39
	.set _ZN9rocsparseL18bsrxmvn_3x3_kernelILj256ELj64E21rocsparse_complex_numIfElifS2_S2_EEvT3_20rocsparse_direction_NS_24const_host_device_scalarIT1_EES3_PKS3_PKT2_SC_S9_PKT4_PKT5_S7_PT6_21rocsparse_index_base_b.num_agpr, 0
	.set _ZN9rocsparseL18bsrxmvn_3x3_kernelILj256ELj64E21rocsparse_complex_numIfElifS2_S2_EEvT3_20rocsparse_direction_NS_24const_host_device_scalarIT1_EES3_PKS3_PKT2_SC_S9_PKT4_PKT5_S7_PT6_21rocsparse_index_base_b.numbered_sgpr, 14
	.set _ZN9rocsparseL18bsrxmvn_3x3_kernelILj256ELj64E21rocsparse_complex_numIfElifS2_S2_EEvT3_20rocsparse_direction_NS_24const_host_device_scalarIT1_EES3_PKS3_PKT2_SC_S9_PKT4_PKT5_S7_PT6_21rocsparse_index_base_b.num_named_barrier, 0
	.set _ZN9rocsparseL18bsrxmvn_3x3_kernelILj256ELj64E21rocsparse_complex_numIfElifS2_S2_EEvT3_20rocsparse_direction_NS_24const_host_device_scalarIT1_EES3_PKS3_PKT2_SC_S9_PKT4_PKT5_S7_PT6_21rocsparse_index_base_b.private_seg_size, 0
	.set _ZN9rocsparseL18bsrxmvn_3x3_kernelILj256ELj64E21rocsparse_complex_numIfElifS2_S2_EEvT3_20rocsparse_direction_NS_24const_host_device_scalarIT1_EES3_PKS3_PKT2_SC_S9_PKT4_PKT5_S7_PT6_21rocsparse_index_base_b.uses_vcc, 1
	.set _ZN9rocsparseL18bsrxmvn_3x3_kernelILj256ELj64E21rocsparse_complex_numIfElifS2_S2_EEvT3_20rocsparse_direction_NS_24const_host_device_scalarIT1_EES3_PKS3_PKT2_SC_S9_PKT4_PKT5_S7_PT6_21rocsparse_index_base_b.uses_flat_scratch, 0
	.set _ZN9rocsparseL18bsrxmvn_3x3_kernelILj256ELj64E21rocsparse_complex_numIfElifS2_S2_EEvT3_20rocsparse_direction_NS_24const_host_device_scalarIT1_EES3_PKS3_PKT2_SC_S9_PKT4_PKT5_S7_PT6_21rocsparse_index_base_b.has_dyn_sized_stack, 0
	.set _ZN9rocsparseL18bsrxmvn_3x3_kernelILj256ELj64E21rocsparse_complex_numIfElifS2_S2_EEvT3_20rocsparse_direction_NS_24const_host_device_scalarIT1_EES3_PKS3_PKT2_SC_S9_PKT4_PKT5_S7_PT6_21rocsparse_index_base_b.has_recursion, 0
	.set _ZN9rocsparseL18bsrxmvn_3x3_kernelILj256ELj64E21rocsparse_complex_numIfElifS2_S2_EEvT3_20rocsparse_direction_NS_24const_host_device_scalarIT1_EES3_PKS3_PKT2_SC_S9_PKT4_PKT5_S7_PT6_21rocsparse_index_base_b.has_indirect_call, 0
	.section	.AMDGPU.csdata,"",@progbits
; Kernel info:
; codeLenInByte = 2856
; TotalNumSgprs: 16
; NumVgprs: 39
; ScratchSize: 0
; MemoryBound: 0
; FloatMode: 240
; IeeeMode: 1
; LDSByteSize: 0 bytes/workgroup (compile time only)
; SGPRBlocks: 0
; VGPRBlocks: 4
; NumSGPRsForWavesPerEU: 16
; NumVGPRsForWavesPerEU: 39
; Occupancy: 16
; WaveLimiterHint : 1
; COMPUTE_PGM_RSRC2:SCRATCH_EN: 0
; COMPUTE_PGM_RSRC2:USER_SGPR: 2
; COMPUTE_PGM_RSRC2:TRAP_HANDLER: 0
; COMPUTE_PGM_RSRC2:TGID_X_EN: 1
; COMPUTE_PGM_RSRC2:TGID_Y_EN: 0
; COMPUTE_PGM_RSRC2:TGID_Z_EN: 0
; COMPUTE_PGM_RSRC2:TIDIG_COMP_CNT: 0
	.section	.text._ZN9rocsparseL18bsrxmvn_3x3_kernelILj256ELj4E21rocsparse_complex_numIfEllfS2_S2_EEvT3_20rocsparse_direction_NS_24const_host_device_scalarIT1_EES3_PKS3_PKT2_SC_S9_PKT4_PKT5_S7_PT6_21rocsparse_index_base_b,"axG",@progbits,_ZN9rocsparseL18bsrxmvn_3x3_kernelILj256ELj4E21rocsparse_complex_numIfEllfS2_S2_EEvT3_20rocsparse_direction_NS_24const_host_device_scalarIT1_EES3_PKS3_PKT2_SC_S9_PKT4_PKT5_S7_PT6_21rocsparse_index_base_b,comdat
	.globl	_ZN9rocsparseL18bsrxmvn_3x3_kernelILj256ELj4E21rocsparse_complex_numIfEllfS2_S2_EEvT3_20rocsparse_direction_NS_24const_host_device_scalarIT1_EES3_PKS3_PKT2_SC_S9_PKT4_PKT5_S7_PT6_21rocsparse_index_base_b ; -- Begin function _ZN9rocsparseL18bsrxmvn_3x3_kernelILj256ELj4E21rocsparse_complex_numIfEllfS2_S2_EEvT3_20rocsparse_direction_NS_24const_host_device_scalarIT1_EES3_PKS3_PKT2_SC_S9_PKT4_PKT5_S7_PT6_21rocsparse_index_base_b
	.p2align	8
	.type	_ZN9rocsparseL18bsrxmvn_3x3_kernelILj256ELj4E21rocsparse_complex_numIfEllfS2_S2_EEvT3_20rocsparse_direction_NS_24const_host_device_scalarIT1_EES3_PKS3_PKT2_SC_S9_PKT4_PKT5_S7_PT6_21rocsparse_index_base_b,@function
_ZN9rocsparseL18bsrxmvn_3x3_kernelILj256ELj4E21rocsparse_complex_numIfEllfS2_S2_EEvT3_20rocsparse_direction_NS_24const_host_device_scalarIT1_EES3_PKS3_PKT2_SC_S9_PKT4_PKT5_S7_PT6_21rocsparse_index_base_b: ; @_ZN9rocsparseL18bsrxmvn_3x3_kernelILj256ELj4E21rocsparse_complex_numIfEllfS2_S2_EEvT3_20rocsparse_direction_NS_24const_host_device_scalarIT1_EES3_PKS3_PKT2_SC_S9_PKT4_PKT5_S7_PT6_21rocsparse_index_base_b
; %bb.0:
	s_clause 0x2
	s_load_b64 s[8:9], s[0:1], 0x60
	s_load_b128 s[4:7], s[0:1], 0x10
	s_load_b64 s[2:3], s[0:1], 0x50
	s_add_nc_u64 s[10:11], s[0:1], 16
	s_wait_kmcnt 0x0
	s_bitcmp1_b32 s9, 0
	s_cselect_b32 s4, s10, s4
	s_cselect_b32 s5, s11, s5
	s_delay_alu instid0(SALU_CYCLE_1)
	v_dual_mov_b32 v1, s4 :: v_dual_mov_b32 v2, s5
	s_add_nc_u64 s[4:5], s[0:1], 0x50
	s_wait_alu 0xfffe
	s_cselect_b32 s2, s4, s2
	s_cselect_b32 s3, s5, s3
	flat_load_b64 v[6:7], v[1:2]
	v_dual_mov_b32 v1, s2 :: v_dual_mov_b32 v2, s3
	flat_load_b64 v[4:5], v[1:2]
	s_wait_loadcnt_dscnt 0x101
	v_cmp_eq_f32_e32 vcc_lo, 0, v6
	v_cmp_eq_f32_e64 s2, 0, v7
	s_and_b32 s4, vcc_lo, s2
	s_mov_b32 s2, -1
	s_wait_alu 0xfffe
	s_and_saveexec_b32 s3, s4
	s_cbranch_execz .LBB130_2
; %bb.1:
	s_wait_loadcnt_dscnt 0x0
	v_cmp_neq_f32_e32 vcc_lo, 1.0, v4
	v_cmp_neq_f32_e64 s2, 0, v5
	s_or_b32 s2, vcc_lo, s2
	s_wait_alu 0xfffe
	s_or_not1_b32 s2, s2, exec_lo
.LBB130_2:
	s_wait_alu 0xfffe
	s_or_b32 exec_lo, exec_lo, s3
	s_and_saveexec_b32 s3, s2
	s_cbranch_execz .LBB130_8
; %bb.3:
	s_load_b64 s[2:3], s[0:1], 0x20
	v_lshrrev_b32_e32 v1, 2, v0
	v_mov_b32_e32 v11, 0
	s_delay_alu instid0(VALU_DEP_2)
	v_lshl_or_b32 v10, ttmp9, 6, v1
	s_wait_kmcnt 0x0
	s_cmp_lg_u64 s[2:3], 0
	s_cbranch_scc0 .LBB130_9
; %bb.4:
	s_delay_alu instid0(VALU_DEP_1)
	v_cmp_gt_i64_e32 vcc_lo, s[6:7], v[10:11]
	s_mov_b32 s5, 0
	s_mov_b32 s4, 0
                                        ; implicit-def: $vgpr8_vgpr9
                                        ; implicit-def: $vgpr1_vgpr2
	s_and_saveexec_b32 s6, vcc_lo
	s_wait_alu 0xfffe
	s_xor_b32 s6, exec_lo, s6
	s_cbranch_execz .LBB130_6
; %bb.5:
	v_lshlrev_b64_e32 v[1:2], 3, v[10:11]
	s_mov_b32 s9, 0
	s_mov_b32 s4, exec_lo
	s_delay_alu instid0(VALU_DEP_1) | instskip(NEXT) | instid1(VALU_DEP_1)
	v_add_co_u32 v1, vcc_lo, s2, v1
	v_add_co_ci_u32_e64 v2, null, s3, v2, vcc_lo
	global_load_b64 v[1:2], v[1:2], off
	s_wait_loadcnt 0x0
	v_sub_co_u32 v8, vcc_lo, v1, s8
	s_wait_alu 0xfffd
	v_subrev_co_ci_u32_e64 v9, null, 0, v2, vcc_lo
	v_dual_mov_b32 v1, s8 :: v_dual_mov_b32 v2, s9
.LBB130_6:
	s_wait_alu 0xfffe
	s_or_b32 exec_lo, exec_lo, s6
	s_delay_alu instid0(SALU_CYCLE_1)
	s_and_b32 vcc_lo, exec_lo, s5
	s_wait_alu 0xfffe
	s_cbranch_vccnz .LBB130_10
.LBB130_7:
	s_wait_alu 0xfffe
	s_and_b32 exec_lo, exec_lo, s4
	s_cbranch_execnz .LBB130_13
.LBB130_8:
	s_endpgm
.LBB130_9:
	s_mov_b32 s4, 0
                                        ; implicit-def: $vgpr8_vgpr9
                                        ; implicit-def: $vgpr1_vgpr2
	s_cbranch_execz .LBB130_7
.LBB130_10:
	s_load_b64 s[2:3], s[0:1], 0x0
	s_wait_kmcnt 0x0
	v_cmp_gt_i64_e32 vcc_lo, s[2:3], v[10:11]
	s_and_saveexec_b32 s2, vcc_lo
; %bb.11:
	s_mov_b32 s9, 0
	s_or_b32 s4, s4, exec_lo
; %bb.12:
	s_wait_alu 0xfffe
	s_or_b32 exec_lo, exec_lo, s2
	v_dual_mov_b32 v1, s8 :: v_dual_mov_b32 v2, s9
	v_dual_mov_b32 v8, v10 :: v_dual_mov_b32 v9, v11
	s_and_b32 exec_lo, exec_lo, s4
	s_cbranch_execz .LBB130_8
.LBB130_13:
	s_load_b256 s[4:11], s[0:1], 0x28
	s_delay_alu instid0(VALU_DEP_1) | instskip(SKIP_2) | instid1(VALU_DEP_2)
	v_lshlrev_b64_e32 v[10:11], 3, v[8:9]
	v_and_b32_e32 v0, 3, v0
	s_wait_kmcnt 0x0
	v_add_co_u32 v12, vcc_lo, s4, v10
	s_wait_alu 0xfffd
	s_delay_alu instid0(VALU_DEP_3)
	v_add_co_ci_u32_e64 v13, null, s5, v11, vcc_lo
	v_add_co_u32 v3, vcc_lo, s6, v10
	s_wait_alu 0xfffd
	v_add_co_ci_u32_e64 v10, null, s7, v11, vcc_lo
	global_load_b64 v[14:15], v[12:13], off
	v_add_co_u32 v12, vcc_lo, v12, 8
	s_wait_alu 0xfffd
	v_add_co_ci_u32_e64 v11, null, 0, v13, vcc_lo
	s_cmp_eq_u64 s[6:7], 0
	s_cselect_b32 vcc_lo, -1, 0
	s_wait_alu 0xfffe
	v_dual_cndmask_b32 v11, v10, v11 :: v_dual_cndmask_b32 v10, v3, v12
	global_load_b64 v[16:17], v[10:11], off
	s_clause 0x1
	s_load_b32 s3, s[0:1], 0x8
	s_load_b64 s[4:5], s[0:1], 0x48
	s_wait_kmcnt 0x0
	s_cmp_eq_u32 s3, 1
	s_wait_loadcnt 0x1
	v_sub_co_u32 v3, vcc_lo, v14, v1
	s_wait_alu 0xfffd
	v_sub_co_ci_u32_e64 v11, null, v15, v2, vcc_lo
	s_delay_alu instid0(VALU_DEP_2) | instskip(SKIP_1) | instid1(VALU_DEP_2)
	v_add_co_u32 v10, vcc_lo, v3, v0
	s_wait_alu 0xfffd
	v_add_co_ci_u32_e64 v11, null, 0, v11, vcc_lo
	s_delay_alu instid0(VALU_DEP_2) | instskip(NEXT) | instid1(VALU_DEP_1)
	v_mad_co_u64_u32 v[12:13], null, v10, 36, s[10:11]
	v_mov_b32_e32 v3, v13
	s_wait_dscnt 0x0
	s_delay_alu instid0(VALU_DEP_1)
	v_mad_co_u64_u32 v[13:14], null, v11, 36, v[3:4]
	s_wait_loadcnt 0x0
	v_sub_co_u32 v14, vcc_lo, v16, v1
	s_wait_alu 0xfffd
	v_sub_co_ci_u32_e64 v15, null, v17, v2, vcc_lo
	v_mov_b32_e32 v3, 0
	s_delay_alu instid0(VALU_DEP_2)
	v_cmp_lt_i64_e64 s2, v[10:11], v[14:15]
	s_cbranch_scc1 .LBB130_19
; %bb.14:
	v_dual_mov_b32 v22, 0 :: v_dual_mov_b32 v23, 0
	v_dual_mov_b32 v24, 0 :: v_dual_mov_b32 v25, 0
	v_mov_b32_e32 v26, 0
	s_and_saveexec_b32 s3, s2
	s_cbranch_execz .LBB130_18
; %bb.15:
	v_lshlrev_b64_e32 v[18:19], 3, v[10:11]
	v_mov_b32_e32 v17, v11
	v_dual_mov_b32 v21, v13 :: v_dual_mov_b32 v22, 0
	v_dual_mov_b32 v3, 0 :: v_dual_mov_b32 v16, v10
	s_delay_alu instid0(VALU_DEP_4)
	v_add_co_u32 v18, vcc_lo, s8, v18
	s_wait_alu 0xfffd
	v_add_co_ci_u32_e64 v19, null, s9, v19, vcc_lo
	v_dual_mov_b32 v20, v12 :: v_dual_mov_b32 v23, 0
	v_dual_mov_b32 v24, 0 :: v_dual_mov_b32 v25, 0
	v_mov_b32_e32 v26, 0
	s_mov_b32 s6, 0
.LBB130_16:                             ; =>This Inner Loop Header: Depth=1
	global_load_b64 v[35:36], v[18:19], off
	s_clause 0x1
	global_load_b128 v[27:30], v[20:21], off offset:16
	global_load_b128 v[31:34], v[20:21], off
	s_wait_loadcnt 0x2
	v_sub_co_u32 v35, vcc_lo, v35, v1
	s_wait_alu 0xfffd
	v_sub_co_ci_u32_e64 v36, null, v36, v2, vcc_lo
	s_delay_alu instid0(VALU_DEP_2) | instskip(NEXT) | instid1(VALU_DEP_1)
	v_mad_co_u64_u32 v[39:40], null, v35, 24, s[4:5]
	v_mov_b32_e32 v35, v40
	s_delay_alu instid0(VALU_DEP_1) | instskip(NEXT) | instid1(VALU_DEP_1)
	v_mad_co_u64_u32 v[35:36], null, v36, 24, v[35:36]
	v_mov_b32_e32 v40, v35
	s_clause 0x1
	global_load_b128 v[35:38], v[39:40], off
	global_load_b64 v[39:40], v[39:40], off offset:16
	global_load_b32 v41, v[20:21], off offset:32
	v_add_co_u32 v20, vcc_lo, 0x90, v20
	s_wait_alu 0xfffd
	v_add_co_ci_u32_e64 v21, null, 0, v21, vcc_lo
	v_add_co_u32 v16, vcc_lo, v16, 4
	s_wait_alu 0xfffd
	v_add_co_ci_u32_e64 v17, null, 0, v17, vcc_lo
	;; [unrolled: 3-line block ×3, first 2 shown]
	s_delay_alu instid0(VALU_DEP_3) | instskip(SKIP_4) | instid1(VALU_DEP_1)
	v_cmp_ge_i64_e32 vcc_lo, v[16:17], v[14:15]
	s_wait_alu 0xfffe
	s_or_b32 s6, vcc_lo, s6
	s_wait_loadcnt 0x2
	v_fmac_f32_e32 v3, 0, v35
	v_dual_fmac_f32 v24, v34, v35 :: v_dual_fmac_f32 v3, v31, v36
	s_delay_alu instid0(VALU_DEP_1) | instskip(SKIP_1) | instid1(VALU_DEP_3)
	v_dual_fmac_f32 v23, 0, v35 :: v_dual_fmac_f32 v24, 0x80000000, v36
	v_fmac_f32_e32 v22, v31, v35
	v_dual_fmac_f32 v26, v29, v35 :: v_dual_fmac_f32 v3, 0, v37
	v_fmac_f32_e32 v25, 0, v35
	s_delay_alu instid0(VALU_DEP_4) | instskip(NEXT) | instid1(VALU_DEP_4)
	v_fmac_f32_e32 v23, v34, v36
	v_fmac_f32_e32 v22, 0x80000000, v36
	s_delay_alu instid0(VALU_DEP_4) | instskip(SKIP_1) | instid1(VALU_DEP_3)
	v_fmac_f32_e32 v26, 0x80000000, v36
	v_dual_fmac_f32 v24, v27, v37 :: v_dual_fmac_f32 v3, v32, v38
	v_dual_fmac_f32 v25, v29, v36 :: v_dual_fmac_f32 v22, v32, v37
	s_delay_alu instid0(VALU_DEP_2) | instskip(SKIP_1) | instid1(VALU_DEP_3)
	v_dual_fmac_f32 v23, 0, v37 :: v_dual_fmac_f32 v24, 0x80000000, v38
	s_wait_loadcnt 0x1
	v_fmac_f32_e32 v3, 0, v39
	s_delay_alu instid0(VALU_DEP_3) | instskip(NEXT) | instid1(VALU_DEP_3)
	v_dual_fmac_f32 v25, 0, v37 :: v_dual_fmac_f32 v22, 0x80000000, v38
	v_dual_fmac_f32 v26, v30, v37 :: v_dual_fmac_f32 v23, v27, v38
	s_delay_alu instid0(VALU_DEP_3) | instskip(NEXT) | instid1(VALU_DEP_3)
	v_dual_fmac_f32 v24, v28, v39 :: v_dual_fmac_f32 v3, v33, v40
	v_dual_fmac_f32 v25, v30, v38 :: v_dual_fmac_f32 v22, v33, v39
	s_delay_alu instid0(VALU_DEP_3) | instskip(NEXT) | instid1(VALU_DEP_2)
	v_dual_fmac_f32 v26, 0x80000000, v38 :: v_dual_fmac_f32 v23, 0, v39
	v_dual_fmac_f32 v24, 0x80000000, v40 :: v_dual_fmac_f32 v25, 0, v39
	s_delay_alu instid0(VALU_DEP_3) | instskip(SKIP_1) | instid1(VALU_DEP_3)
	v_fmac_f32_e32 v22, 0x80000000, v40
	s_wait_loadcnt 0x0
	v_dual_fmac_f32 v26, v41, v39 :: v_dual_fmac_f32 v23, v28, v40
	s_delay_alu instid0(VALU_DEP_3) | instskip(NEXT) | instid1(VALU_DEP_2)
	v_fmac_f32_e32 v25, v41, v40
	v_fmac_f32_e32 v26, 0x80000000, v40
	s_wait_alu 0xfffe
	s_and_not1_b32 exec_lo, exec_lo, s6
	s_cbranch_execnz .LBB130_16
; %bb.17:
	s_or_b32 exec_lo, exec_lo, s6
.LBB130_18:
	s_wait_alu 0xfffe
	s_or_b32 exec_lo, exec_lo, s3
	s_cbranch_execz .LBB130_20
	s_branch .LBB130_25
.LBB130_19:
                                        ; implicit-def: $vgpr3
                                        ; implicit-def: $vgpr22
                                        ; implicit-def: $vgpr23
                                        ; implicit-def: $vgpr24
                                        ; implicit-def: $vgpr25
                                        ; implicit-def: $vgpr26
.LBB130_20:
	v_dual_mov_b32 v3, 0 :: v_dual_mov_b32 v22, 0
	v_dual_mov_b32 v23, 0 :: v_dual_mov_b32 v24, 0
	;; [unrolled: 1-line block ×3, first 2 shown]
	s_and_saveexec_b32 s3, s2
	s_cbranch_execz .LBB130_24
; %bb.21:
	v_lshlrev_b64_e32 v[16:17], 3, v[10:11]
	v_dual_mov_b32 v3, 0 :: v_dual_mov_b32 v22, 0
	v_dual_mov_b32 v23, 0 :: v_dual_mov_b32 v24, 0
	v_dual_mov_b32 v25, 0 :: v_dual_mov_b32 v26, 0
	s_delay_alu instid0(VALU_DEP_4)
	v_add_co_u32 v16, vcc_lo, s8, v16
	s_wait_alu 0xfffd
	v_add_co_ci_u32_e64 v17, null, s9, v17, vcc_lo
	s_mov_b32 s2, 0
.LBB130_22:                             ; =>This Inner Loop Header: Depth=1
	global_load_b64 v[31:32], v[16:17], off
	s_clause 0x1
	global_load_b128 v[18:21], v[12:13], off offset:16
	global_load_b128 v[27:30], v[12:13], off
	s_wait_loadcnt 0x2
	v_sub_co_u32 v31, vcc_lo, v31, v1
	s_wait_alu 0xfffd
	v_sub_co_ci_u32_e64 v32, null, v32, v2, vcc_lo
	s_delay_alu instid0(VALU_DEP_2) | instskip(NEXT) | instid1(VALU_DEP_1)
	v_mad_co_u64_u32 v[35:36], null, v31, 24, s[4:5]
	v_mov_b32_e32 v31, v36
	s_delay_alu instid0(VALU_DEP_1) | instskip(NEXT) | instid1(VALU_DEP_1)
	v_mad_co_u64_u32 v[31:32], null, v32, 24, v[31:32]
	v_mov_b32_e32 v36, v31
	s_clause 0x1
	global_load_b128 v[31:34], v[35:36], off
	global_load_b64 v[35:36], v[35:36], off offset:16
	global_load_b32 v37, v[12:13], off offset:32
	v_add_co_u32 v12, vcc_lo, 0x90, v12
	s_wait_alu 0xfffd
	v_add_co_ci_u32_e64 v13, null, 0, v13, vcc_lo
	v_add_co_u32 v10, vcc_lo, v10, 4
	s_wait_alu 0xfffd
	v_add_co_ci_u32_e64 v11, null, 0, v11, vcc_lo
	;; [unrolled: 3-line block ×3, first 2 shown]
	s_delay_alu instid0(VALU_DEP_3) | instskip(SKIP_4) | instid1(VALU_DEP_1)
	v_cmp_ge_i64_e32 vcc_lo, v[10:11], v[14:15]
	s_wait_alu 0xfffe
	s_or_b32 s2, vcc_lo, s2
	s_wait_loadcnt 0x2
	v_fmac_f32_e32 v3, 0, v31
	v_dual_fmac_f32 v24, v28, v31 :: v_dual_fmac_f32 v3, v27, v32
	s_delay_alu instid0(VALU_DEP_1) | instskip(SKIP_1) | instid1(VALU_DEP_3)
	v_dual_fmac_f32 v23, 0, v31 :: v_dual_fmac_f32 v24, 0x80000000, v32
	v_fmac_f32_e32 v22, v27, v31
	v_dual_fmac_f32 v26, v29, v31 :: v_dual_fmac_f32 v3, 0, v33
	v_fmac_f32_e32 v25, 0, v31
	s_delay_alu instid0(VALU_DEP_4) | instskip(NEXT) | instid1(VALU_DEP_4)
	v_fmac_f32_e32 v23, v28, v32
	v_fmac_f32_e32 v22, 0x80000000, v32
	s_delay_alu instid0(VALU_DEP_4) | instskip(NEXT) | instid1(VALU_DEP_2)
	v_dual_fmac_f32 v26, 0x80000000, v32 :: v_dual_fmac_f32 v3, v30, v34
	v_dual_fmac_f32 v25, v29, v32 :: v_dual_fmac_f32 v22, v30, v33
	s_delay_alu instid0(VALU_DEP_4) | instskip(NEXT) | instid1(VALU_DEP_3)
	v_fmac_f32_e32 v23, 0, v33
	v_fmac_f32_e32 v26, v19, v33
	s_delay_alu instid0(VALU_DEP_3)
	v_fmac_f32_e32 v25, 0, v33
	v_fmac_f32_e32 v24, v18, v33
	;; [unrolled: 1-line block ×4, first 2 shown]
	s_wait_loadcnt 0x1
	v_dual_fmac_f32 v26, 0x80000000, v34 :: v_dual_fmac_f32 v3, 0, v35
	v_fmac_f32_e32 v25, v19, v34
	v_fmac_f32_e32 v24, 0x80000000, v34
	;; [unrolled: 1-line block ×4, first 2 shown]
	s_wait_loadcnt 0x0
	v_dual_fmac_f32 v26, v37, v35 :: v_dual_fmac_f32 v3, v20, v36
	v_fmac_f32_e32 v24, v21, v35
	v_dual_fmac_f32 v25, 0, v35 :: v_dual_fmac_f32 v22, 0x80000000, v36
	v_fmac_f32_e32 v23, v21, v36
	s_delay_alu instid0(VALU_DEP_4) | instskip(NEXT) | instid1(VALU_DEP_4)
	v_fmac_f32_e32 v26, 0x80000000, v36
	v_fmac_f32_e32 v24, 0x80000000, v36
	s_delay_alu instid0(VALU_DEP_4)
	v_fmac_f32_e32 v25, v37, v36
	s_wait_alu 0xfffe
	s_and_not1_b32 exec_lo, exec_lo, s2
	s_cbranch_execnz .LBB130_22
; %bb.23:
	s_or_b32 exec_lo, exec_lo, s2
.LBB130_24:
	s_wait_alu 0xfffe
	s_or_b32 exec_lo, exec_lo, s3
.LBB130_25:
	v_mbcnt_lo_u32_b32 v1, -1, 0
	s_delay_alu instid0(VALU_DEP_1) | instskip(NEXT) | instid1(VALU_DEP_1)
	v_xor_b32_e32 v2, 2, v1
	v_cmp_gt_i32_e32 vcc_lo, 32, v2
	s_wait_alu 0xfffd
	v_cndmask_b32_e32 v2, v1, v2, vcc_lo
	s_delay_alu instid0(VALU_DEP_1)
	v_lshlrev_b32_e32 v2, 2, v2
	ds_bpermute_b32 v10, v2, v22
	ds_bpermute_b32 v11, v2, v3
	;; [unrolled: 1-line block ×6, first 2 shown]
	v_xor_b32_e32 v2, 1, v1
	s_delay_alu instid0(VALU_DEP_1)
	v_cmp_gt_i32_e32 vcc_lo, 32, v2
	s_wait_alu 0xfffd
	v_cndmask_b32_e32 v1, v1, v2, vcc_lo
	v_cmp_eq_u32_e32 vcc_lo, 3, v0
	s_wait_dscnt 0x4
	v_add_f32_e32 v2, v3, v11
	s_delay_alu instid0(VALU_DEP_3)
	v_dual_add_f32 v1, v22, v10 :: v_dual_lshlrev_b32 v18, 2, v1
	s_wait_dscnt 0x2
	v_dual_add_f32 v3, v24, v12 :: v_dual_add_f32 v10, v23, v13
	s_wait_dscnt 0x0
	v_dual_add_f32 v11, v26, v14 :: v_dual_add_f32 v12, v25, v15
	ds_bpermute_b32 v13, v18, v1
	ds_bpermute_b32 v14, v18, v2
	;; [unrolled: 1-line block ×6, first 2 shown]
	s_and_b32 exec_lo, exec_lo, vcc_lo
	s_cbranch_execz .LBB130_8
; %bb.26:
	s_load_b64 s[2:3], s[0:1], 0x58
	s_wait_dscnt 0x5
	v_add_f32_e32 v13, v1, v13
	s_wait_dscnt 0x3
	v_dual_add_f32 v1, v2, v14 :: v_dual_add_f32 v14, v3, v15
	s_wait_dscnt 0x2
	v_add_f32_e32 v3, v10, v16
	v_cmp_eq_f32_e32 vcc_lo, 0, v4
	v_cmp_eq_f32_e64 s0, 0, v5
	v_mul_f32_e64 v0, v1, -v7
	v_mul_f32_e32 v1, v6, v1
	v_mul_f32_e64 v2, v3, -v7
	s_wait_dscnt 0x1
	v_add_f32_e32 v15, v11, v17
	s_wait_dscnt 0x0
	v_dual_add_f32 v11, v12, v18 :: v_dual_fmac_f32 v0, v6, v13
	v_mul_f32_e32 v3, v6, v3
	v_fmac_f32_e32 v2, v6, v14
	s_and_b32 s0, vcc_lo, s0
	s_delay_alu instid0(VALU_DEP_3) | instskip(SKIP_2) | instid1(VALU_DEP_3)
	v_mul_f32_e64 v10, v11, -v7
	v_mul_f32_e32 v11, v6, v11
	v_fmac_f32_e32 v1, v7, v13
	v_dual_fmac_f32 v3, v7, v14 :: v_dual_fmac_f32 v10, v6, v15
	s_delay_alu instid0(VALU_DEP_3)
	v_fmac_f32_e32 v11, v7, v15
	s_wait_alu 0xfffe
	s_and_saveexec_b32 s1, s0
	s_wait_alu 0xfffe
	s_xor_b32 s0, exec_lo, s1
	s_cbranch_execz .LBB130_28
; %bb.27:
	s_wait_kmcnt 0x0
	v_mad_co_u64_u32 v[4:5], null, v8, 24, s[2:3]
	s_delay_alu instid0(VALU_DEP_1)
	v_mad_co_u64_u32 v[5:6], null, v9, 24, v[5:6]
                                        ; implicit-def: $vgpr8_vgpr9
	s_clause 0x1
	global_store_b128 v[4:5], v[0:3], off
	global_store_b64 v[4:5], v[10:11], off offset:16
                                        ; implicit-def: $vgpr4_vgpr5
                                        ; implicit-def: $vgpr0
                                        ; implicit-def: $vgpr10
.LBB130_28:
	s_wait_alu 0xfffe
	s_and_not1_saveexec_b32 s0, s0
	s_cbranch_execz .LBB130_8
; %bb.29:
	s_wait_kmcnt 0x0
	v_mad_co_u64_u32 v[12:13], null, v8, 24, s[2:3]
	s_delay_alu instid0(VALU_DEP_1) | instskip(NEXT) | instid1(VALU_DEP_1)
	v_mov_b32_e32 v6, v13
	v_mad_co_u64_u32 v[6:7], null, v9, 24, v[6:7]
	s_delay_alu instid0(VALU_DEP_1)
	v_mov_b32_e32 v13, v6
	s_clause 0x1
	global_load_b128 v[6:9], v[12:13], off
	global_load_b64 v[14:15], v[12:13], off offset:16
	s_wait_loadcnt 0x1
	v_fmac_f32_e32 v0, v4, v6
	v_dual_fmac_f32 v1, v5, v6 :: v_dual_fmac_f32 v2, v4, v8
	s_wait_loadcnt 0x0
	v_dual_fmac_f32 v3, v5, v8 :: v_dual_fmac_f32 v10, v4, v14
	v_fmac_f32_e32 v11, v5, v14
	v_fma_f32 v0, -v5, v7, v0
	v_fmac_f32_e32 v1, v4, v7
	v_fma_f32 v2, -v5, v9, v2
	;; [unrolled: 2-line block ×3, first 2 shown]
	v_fmac_f32_e32 v11, v4, v15
	s_clause 0x1
	global_store_b128 v[12:13], v[0:3], off
	global_store_b64 v[12:13], v[10:11], off offset:16
	s_endpgm
	.section	.rodata,"a",@progbits
	.p2align	6, 0x0
	.amdhsa_kernel _ZN9rocsparseL18bsrxmvn_3x3_kernelILj256ELj4E21rocsparse_complex_numIfEllfS2_S2_EEvT3_20rocsparse_direction_NS_24const_host_device_scalarIT1_EES3_PKS3_PKT2_SC_S9_PKT4_PKT5_S7_PT6_21rocsparse_index_base_b
		.amdhsa_group_segment_fixed_size 0
		.amdhsa_private_segment_fixed_size 0
		.amdhsa_kernarg_size 104
		.amdhsa_user_sgpr_count 2
		.amdhsa_user_sgpr_dispatch_ptr 0
		.amdhsa_user_sgpr_queue_ptr 0
		.amdhsa_user_sgpr_kernarg_segment_ptr 1
		.amdhsa_user_sgpr_dispatch_id 0
		.amdhsa_user_sgpr_private_segment_size 0
		.amdhsa_wavefront_size32 1
		.amdhsa_uses_dynamic_stack 0
		.amdhsa_enable_private_segment 0
		.amdhsa_system_sgpr_workgroup_id_x 1
		.amdhsa_system_sgpr_workgroup_id_y 0
		.amdhsa_system_sgpr_workgroup_id_z 0
		.amdhsa_system_sgpr_workgroup_info 0
		.amdhsa_system_vgpr_workitem_id 0
		.amdhsa_next_free_vgpr 42
		.amdhsa_next_free_sgpr 12
		.amdhsa_reserve_vcc 1
		.amdhsa_float_round_mode_32 0
		.amdhsa_float_round_mode_16_64 0
		.amdhsa_float_denorm_mode_32 3
		.amdhsa_float_denorm_mode_16_64 3
		.amdhsa_fp16_overflow 0
		.amdhsa_workgroup_processor_mode 1
		.amdhsa_memory_ordered 1
		.amdhsa_forward_progress 1
		.amdhsa_inst_pref_size 20
		.amdhsa_round_robin_scheduling 0
		.amdhsa_exception_fp_ieee_invalid_op 0
		.amdhsa_exception_fp_denorm_src 0
		.amdhsa_exception_fp_ieee_div_zero 0
		.amdhsa_exception_fp_ieee_overflow 0
		.amdhsa_exception_fp_ieee_underflow 0
		.amdhsa_exception_fp_ieee_inexact 0
		.amdhsa_exception_int_div_zero 0
	.end_amdhsa_kernel
	.section	.text._ZN9rocsparseL18bsrxmvn_3x3_kernelILj256ELj4E21rocsparse_complex_numIfEllfS2_S2_EEvT3_20rocsparse_direction_NS_24const_host_device_scalarIT1_EES3_PKS3_PKT2_SC_S9_PKT4_PKT5_S7_PT6_21rocsparse_index_base_b,"axG",@progbits,_ZN9rocsparseL18bsrxmvn_3x3_kernelILj256ELj4E21rocsparse_complex_numIfEllfS2_S2_EEvT3_20rocsparse_direction_NS_24const_host_device_scalarIT1_EES3_PKS3_PKT2_SC_S9_PKT4_PKT5_S7_PT6_21rocsparse_index_base_b,comdat
.Lfunc_end130:
	.size	_ZN9rocsparseL18bsrxmvn_3x3_kernelILj256ELj4E21rocsparse_complex_numIfEllfS2_S2_EEvT3_20rocsparse_direction_NS_24const_host_device_scalarIT1_EES3_PKS3_PKT2_SC_S9_PKT4_PKT5_S7_PT6_21rocsparse_index_base_b, .Lfunc_end130-_ZN9rocsparseL18bsrxmvn_3x3_kernelILj256ELj4E21rocsparse_complex_numIfEllfS2_S2_EEvT3_20rocsparse_direction_NS_24const_host_device_scalarIT1_EES3_PKS3_PKT2_SC_S9_PKT4_PKT5_S7_PT6_21rocsparse_index_base_b
                                        ; -- End function
	.set _ZN9rocsparseL18bsrxmvn_3x3_kernelILj256ELj4E21rocsparse_complex_numIfEllfS2_S2_EEvT3_20rocsparse_direction_NS_24const_host_device_scalarIT1_EES3_PKS3_PKT2_SC_S9_PKT4_PKT5_S7_PT6_21rocsparse_index_base_b.num_vgpr, 42
	.set _ZN9rocsparseL18bsrxmvn_3x3_kernelILj256ELj4E21rocsparse_complex_numIfEllfS2_S2_EEvT3_20rocsparse_direction_NS_24const_host_device_scalarIT1_EES3_PKS3_PKT2_SC_S9_PKT4_PKT5_S7_PT6_21rocsparse_index_base_b.num_agpr, 0
	.set _ZN9rocsparseL18bsrxmvn_3x3_kernelILj256ELj4E21rocsparse_complex_numIfEllfS2_S2_EEvT3_20rocsparse_direction_NS_24const_host_device_scalarIT1_EES3_PKS3_PKT2_SC_S9_PKT4_PKT5_S7_PT6_21rocsparse_index_base_b.numbered_sgpr, 12
	.set _ZN9rocsparseL18bsrxmvn_3x3_kernelILj256ELj4E21rocsparse_complex_numIfEllfS2_S2_EEvT3_20rocsparse_direction_NS_24const_host_device_scalarIT1_EES3_PKS3_PKT2_SC_S9_PKT4_PKT5_S7_PT6_21rocsparse_index_base_b.num_named_barrier, 0
	.set _ZN9rocsparseL18bsrxmvn_3x3_kernelILj256ELj4E21rocsparse_complex_numIfEllfS2_S2_EEvT3_20rocsparse_direction_NS_24const_host_device_scalarIT1_EES3_PKS3_PKT2_SC_S9_PKT4_PKT5_S7_PT6_21rocsparse_index_base_b.private_seg_size, 0
	.set _ZN9rocsparseL18bsrxmvn_3x3_kernelILj256ELj4E21rocsparse_complex_numIfEllfS2_S2_EEvT3_20rocsparse_direction_NS_24const_host_device_scalarIT1_EES3_PKS3_PKT2_SC_S9_PKT4_PKT5_S7_PT6_21rocsparse_index_base_b.uses_vcc, 1
	.set _ZN9rocsparseL18bsrxmvn_3x3_kernelILj256ELj4E21rocsparse_complex_numIfEllfS2_S2_EEvT3_20rocsparse_direction_NS_24const_host_device_scalarIT1_EES3_PKS3_PKT2_SC_S9_PKT4_PKT5_S7_PT6_21rocsparse_index_base_b.uses_flat_scratch, 0
	.set _ZN9rocsparseL18bsrxmvn_3x3_kernelILj256ELj4E21rocsparse_complex_numIfEllfS2_S2_EEvT3_20rocsparse_direction_NS_24const_host_device_scalarIT1_EES3_PKS3_PKT2_SC_S9_PKT4_PKT5_S7_PT6_21rocsparse_index_base_b.has_dyn_sized_stack, 0
	.set _ZN9rocsparseL18bsrxmvn_3x3_kernelILj256ELj4E21rocsparse_complex_numIfEllfS2_S2_EEvT3_20rocsparse_direction_NS_24const_host_device_scalarIT1_EES3_PKS3_PKT2_SC_S9_PKT4_PKT5_S7_PT6_21rocsparse_index_base_b.has_recursion, 0
	.set _ZN9rocsparseL18bsrxmvn_3x3_kernelILj256ELj4E21rocsparse_complex_numIfEllfS2_S2_EEvT3_20rocsparse_direction_NS_24const_host_device_scalarIT1_EES3_PKS3_PKT2_SC_S9_PKT4_PKT5_S7_PT6_21rocsparse_index_base_b.has_indirect_call, 0
	.section	.AMDGPU.csdata,"",@progbits
; Kernel info:
; codeLenInByte = 2448
; TotalNumSgprs: 14
; NumVgprs: 42
; ScratchSize: 0
; MemoryBound: 0
; FloatMode: 240
; IeeeMode: 1
; LDSByteSize: 0 bytes/workgroup (compile time only)
; SGPRBlocks: 0
; VGPRBlocks: 5
; NumSGPRsForWavesPerEU: 14
; NumVGPRsForWavesPerEU: 42
; Occupancy: 16
; WaveLimiterHint : 1
; COMPUTE_PGM_RSRC2:SCRATCH_EN: 0
; COMPUTE_PGM_RSRC2:USER_SGPR: 2
; COMPUTE_PGM_RSRC2:TRAP_HANDLER: 0
; COMPUTE_PGM_RSRC2:TGID_X_EN: 1
; COMPUTE_PGM_RSRC2:TGID_Y_EN: 0
; COMPUTE_PGM_RSRC2:TGID_Z_EN: 0
; COMPUTE_PGM_RSRC2:TIDIG_COMP_CNT: 0
	.section	.text._ZN9rocsparseL18bsrxmvn_3x3_kernelILj256ELj8E21rocsparse_complex_numIfEllfS2_S2_EEvT3_20rocsparse_direction_NS_24const_host_device_scalarIT1_EES3_PKS3_PKT2_SC_S9_PKT4_PKT5_S7_PT6_21rocsparse_index_base_b,"axG",@progbits,_ZN9rocsparseL18bsrxmvn_3x3_kernelILj256ELj8E21rocsparse_complex_numIfEllfS2_S2_EEvT3_20rocsparse_direction_NS_24const_host_device_scalarIT1_EES3_PKS3_PKT2_SC_S9_PKT4_PKT5_S7_PT6_21rocsparse_index_base_b,comdat
	.globl	_ZN9rocsparseL18bsrxmvn_3x3_kernelILj256ELj8E21rocsparse_complex_numIfEllfS2_S2_EEvT3_20rocsparse_direction_NS_24const_host_device_scalarIT1_EES3_PKS3_PKT2_SC_S9_PKT4_PKT5_S7_PT6_21rocsparse_index_base_b ; -- Begin function _ZN9rocsparseL18bsrxmvn_3x3_kernelILj256ELj8E21rocsparse_complex_numIfEllfS2_S2_EEvT3_20rocsparse_direction_NS_24const_host_device_scalarIT1_EES3_PKS3_PKT2_SC_S9_PKT4_PKT5_S7_PT6_21rocsparse_index_base_b
	.p2align	8
	.type	_ZN9rocsparseL18bsrxmvn_3x3_kernelILj256ELj8E21rocsparse_complex_numIfEllfS2_S2_EEvT3_20rocsparse_direction_NS_24const_host_device_scalarIT1_EES3_PKS3_PKT2_SC_S9_PKT4_PKT5_S7_PT6_21rocsparse_index_base_b,@function
_ZN9rocsparseL18bsrxmvn_3x3_kernelILj256ELj8E21rocsparse_complex_numIfEllfS2_S2_EEvT3_20rocsparse_direction_NS_24const_host_device_scalarIT1_EES3_PKS3_PKT2_SC_S9_PKT4_PKT5_S7_PT6_21rocsparse_index_base_b: ; @_ZN9rocsparseL18bsrxmvn_3x3_kernelILj256ELj8E21rocsparse_complex_numIfEllfS2_S2_EEvT3_20rocsparse_direction_NS_24const_host_device_scalarIT1_EES3_PKS3_PKT2_SC_S9_PKT4_PKT5_S7_PT6_21rocsparse_index_base_b
; %bb.0:
	s_clause 0x2
	s_load_b64 s[8:9], s[0:1], 0x60
	s_load_b128 s[4:7], s[0:1], 0x10
	s_load_b64 s[2:3], s[0:1], 0x50
	s_add_nc_u64 s[10:11], s[0:1], 16
	s_wait_kmcnt 0x0
	s_bitcmp1_b32 s9, 0
	s_cselect_b32 s4, s10, s4
	s_cselect_b32 s5, s11, s5
	s_delay_alu instid0(SALU_CYCLE_1)
	v_dual_mov_b32 v1, s4 :: v_dual_mov_b32 v2, s5
	s_add_nc_u64 s[4:5], s[0:1], 0x50
	s_wait_alu 0xfffe
	s_cselect_b32 s2, s4, s2
	s_cselect_b32 s3, s5, s3
	flat_load_b64 v[6:7], v[1:2]
	v_dual_mov_b32 v1, s2 :: v_dual_mov_b32 v2, s3
	flat_load_b64 v[4:5], v[1:2]
	s_wait_loadcnt_dscnt 0x101
	v_cmp_eq_f32_e32 vcc_lo, 0, v6
	v_cmp_eq_f32_e64 s2, 0, v7
	s_and_b32 s4, vcc_lo, s2
	s_mov_b32 s2, -1
	s_wait_alu 0xfffe
	s_and_saveexec_b32 s3, s4
	s_cbranch_execz .LBB131_2
; %bb.1:
	s_wait_loadcnt_dscnt 0x0
	v_cmp_neq_f32_e32 vcc_lo, 1.0, v4
	v_cmp_neq_f32_e64 s2, 0, v5
	s_or_b32 s2, vcc_lo, s2
	s_wait_alu 0xfffe
	s_or_not1_b32 s2, s2, exec_lo
.LBB131_2:
	s_wait_alu 0xfffe
	s_or_b32 exec_lo, exec_lo, s3
	s_and_saveexec_b32 s3, s2
	s_cbranch_execz .LBB131_8
; %bb.3:
	s_load_b64 s[2:3], s[0:1], 0x20
	v_lshrrev_b32_e32 v1, 3, v0
	v_mov_b32_e32 v11, 0
	s_delay_alu instid0(VALU_DEP_2)
	v_lshl_or_b32 v10, ttmp9, 5, v1
	s_wait_kmcnt 0x0
	s_cmp_lg_u64 s[2:3], 0
	s_cbranch_scc0 .LBB131_9
; %bb.4:
	s_delay_alu instid0(VALU_DEP_1)
	v_cmp_gt_i64_e32 vcc_lo, s[6:7], v[10:11]
	s_mov_b32 s5, 0
	s_mov_b32 s4, 0
                                        ; implicit-def: $vgpr8_vgpr9
                                        ; implicit-def: $vgpr1_vgpr2
	s_and_saveexec_b32 s6, vcc_lo
	s_wait_alu 0xfffe
	s_xor_b32 s6, exec_lo, s6
	s_cbranch_execz .LBB131_6
; %bb.5:
	v_lshlrev_b64_e32 v[1:2], 3, v[10:11]
	s_mov_b32 s9, 0
	s_mov_b32 s4, exec_lo
	s_delay_alu instid0(VALU_DEP_1) | instskip(NEXT) | instid1(VALU_DEP_1)
	v_add_co_u32 v1, vcc_lo, s2, v1
	v_add_co_ci_u32_e64 v2, null, s3, v2, vcc_lo
	global_load_b64 v[1:2], v[1:2], off
	s_wait_loadcnt 0x0
	v_sub_co_u32 v8, vcc_lo, v1, s8
	s_wait_alu 0xfffd
	v_subrev_co_ci_u32_e64 v9, null, 0, v2, vcc_lo
	v_dual_mov_b32 v1, s8 :: v_dual_mov_b32 v2, s9
.LBB131_6:
	s_wait_alu 0xfffe
	s_or_b32 exec_lo, exec_lo, s6
	s_delay_alu instid0(SALU_CYCLE_1)
	s_and_b32 vcc_lo, exec_lo, s5
	s_wait_alu 0xfffe
	s_cbranch_vccnz .LBB131_10
.LBB131_7:
	s_wait_alu 0xfffe
	s_and_b32 exec_lo, exec_lo, s4
	s_cbranch_execnz .LBB131_13
.LBB131_8:
	s_endpgm
.LBB131_9:
	s_mov_b32 s4, 0
                                        ; implicit-def: $vgpr8_vgpr9
                                        ; implicit-def: $vgpr1_vgpr2
	s_cbranch_execz .LBB131_7
.LBB131_10:
	s_load_b64 s[2:3], s[0:1], 0x0
	s_wait_kmcnt 0x0
	v_cmp_gt_i64_e32 vcc_lo, s[2:3], v[10:11]
	s_and_saveexec_b32 s2, vcc_lo
; %bb.11:
	s_mov_b32 s9, 0
	s_or_b32 s4, s4, exec_lo
; %bb.12:
	s_wait_alu 0xfffe
	s_or_b32 exec_lo, exec_lo, s2
	v_dual_mov_b32 v1, s8 :: v_dual_mov_b32 v2, s9
	v_dual_mov_b32 v8, v10 :: v_dual_mov_b32 v9, v11
	s_and_b32 exec_lo, exec_lo, s4
	s_cbranch_execz .LBB131_8
.LBB131_13:
	s_load_b256 s[4:11], s[0:1], 0x28
	s_delay_alu instid0(VALU_DEP_1) | instskip(SKIP_2) | instid1(VALU_DEP_2)
	v_lshlrev_b64_e32 v[10:11], 3, v[8:9]
	v_and_b32_e32 v0, 7, v0
	s_wait_kmcnt 0x0
	v_add_co_u32 v12, vcc_lo, s4, v10
	s_wait_alu 0xfffd
	s_delay_alu instid0(VALU_DEP_3)
	v_add_co_ci_u32_e64 v13, null, s5, v11, vcc_lo
	v_add_co_u32 v3, vcc_lo, s6, v10
	s_wait_alu 0xfffd
	v_add_co_ci_u32_e64 v10, null, s7, v11, vcc_lo
	global_load_b64 v[14:15], v[12:13], off
	v_add_co_u32 v12, vcc_lo, v12, 8
	s_wait_alu 0xfffd
	v_add_co_ci_u32_e64 v11, null, 0, v13, vcc_lo
	s_cmp_eq_u64 s[6:7], 0
	s_cselect_b32 vcc_lo, -1, 0
	s_wait_alu 0xfffe
	v_dual_cndmask_b32 v11, v10, v11 :: v_dual_cndmask_b32 v10, v3, v12
	global_load_b64 v[16:17], v[10:11], off
	s_clause 0x1
	s_load_b32 s3, s[0:1], 0x8
	s_load_b64 s[4:5], s[0:1], 0x48
	s_wait_kmcnt 0x0
	s_cmp_eq_u32 s3, 1
	s_wait_loadcnt 0x1
	v_sub_co_u32 v3, vcc_lo, v14, v1
	s_wait_alu 0xfffd
	v_sub_co_ci_u32_e64 v11, null, v15, v2, vcc_lo
	s_delay_alu instid0(VALU_DEP_2) | instskip(SKIP_1) | instid1(VALU_DEP_2)
	v_add_co_u32 v10, vcc_lo, v3, v0
	s_wait_alu 0xfffd
	v_add_co_ci_u32_e64 v11, null, 0, v11, vcc_lo
	s_delay_alu instid0(VALU_DEP_2) | instskip(NEXT) | instid1(VALU_DEP_1)
	v_mad_co_u64_u32 v[12:13], null, v10, 36, s[10:11]
	v_mov_b32_e32 v3, v13
	s_wait_dscnt 0x0
	s_delay_alu instid0(VALU_DEP_1)
	v_mad_co_u64_u32 v[13:14], null, v11, 36, v[3:4]
	s_wait_loadcnt 0x0
	v_sub_co_u32 v14, vcc_lo, v16, v1
	s_wait_alu 0xfffd
	v_sub_co_ci_u32_e64 v15, null, v17, v2, vcc_lo
	v_mov_b32_e32 v3, 0
	s_delay_alu instid0(VALU_DEP_2)
	v_cmp_lt_i64_e64 s2, v[10:11], v[14:15]
	s_cbranch_scc1 .LBB131_19
; %bb.14:
	v_dual_mov_b32 v22, 0 :: v_dual_mov_b32 v23, 0
	v_dual_mov_b32 v24, 0 :: v_dual_mov_b32 v25, 0
	v_mov_b32_e32 v26, 0
	s_and_saveexec_b32 s3, s2
	s_cbranch_execz .LBB131_18
; %bb.15:
	v_lshlrev_b64_e32 v[18:19], 3, v[10:11]
	v_mov_b32_e32 v17, v11
	v_dual_mov_b32 v21, v13 :: v_dual_mov_b32 v22, 0
	v_dual_mov_b32 v3, 0 :: v_dual_mov_b32 v16, v10
	s_delay_alu instid0(VALU_DEP_4)
	v_add_co_u32 v18, vcc_lo, s8, v18
	s_wait_alu 0xfffd
	v_add_co_ci_u32_e64 v19, null, s9, v19, vcc_lo
	v_dual_mov_b32 v20, v12 :: v_dual_mov_b32 v23, 0
	v_dual_mov_b32 v24, 0 :: v_dual_mov_b32 v25, 0
	v_mov_b32_e32 v26, 0
	s_mov_b32 s6, 0
.LBB131_16:                             ; =>This Inner Loop Header: Depth=1
	global_load_b64 v[35:36], v[18:19], off
	s_clause 0x1
	global_load_b128 v[27:30], v[20:21], off offset:16
	global_load_b128 v[31:34], v[20:21], off
	s_wait_loadcnt 0x2
	v_sub_co_u32 v35, vcc_lo, v35, v1
	s_wait_alu 0xfffd
	v_sub_co_ci_u32_e64 v36, null, v36, v2, vcc_lo
	s_delay_alu instid0(VALU_DEP_2) | instskip(NEXT) | instid1(VALU_DEP_1)
	v_mad_co_u64_u32 v[39:40], null, v35, 24, s[4:5]
	v_mov_b32_e32 v35, v40
	s_delay_alu instid0(VALU_DEP_1) | instskip(NEXT) | instid1(VALU_DEP_1)
	v_mad_co_u64_u32 v[35:36], null, v36, 24, v[35:36]
	v_mov_b32_e32 v40, v35
	s_clause 0x1
	global_load_b128 v[35:38], v[39:40], off
	global_load_b64 v[39:40], v[39:40], off offset:16
	global_load_b32 v41, v[20:21], off offset:32
	v_add_co_u32 v20, vcc_lo, 0x120, v20
	s_wait_alu 0xfffd
	v_add_co_ci_u32_e64 v21, null, 0, v21, vcc_lo
	v_add_co_u32 v16, vcc_lo, v16, 8
	s_wait_alu 0xfffd
	v_add_co_ci_u32_e64 v17, null, 0, v17, vcc_lo
	;; [unrolled: 3-line block ×3, first 2 shown]
	s_delay_alu instid0(VALU_DEP_3) | instskip(SKIP_4) | instid1(VALU_DEP_1)
	v_cmp_ge_i64_e32 vcc_lo, v[16:17], v[14:15]
	s_wait_alu 0xfffe
	s_or_b32 s6, vcc_lo, s6
	s_wait_loadcnt 0x2
	v_fmac_f32_e32 v3, 0, v35
	v_dual_fmac_f32 v24, v34, v35 :: v_dual_fmac_f32 v3, v31, v36
	s_delay_alu instid0(VALU_DEP_1) | instskip(SKIP_1) | instid1(VALU_DEP_3)
	v_dual_fmac_f32 v23, 0, v35 :: v_dual_fmac_f32 v24, 0x80000000, v36
	v_fmac_f32_e32 v22, v31, v35
	v_dual_fmac_f32 v26, v29, v35 :: v_dual_fmac_f32 v3, 0, v37
	v_fmac_f32_e32 v25, 0, v35
	s_delay_alu instid0(VALU_DEP_4) | instskip(NEXT) | instid1(VALU_DEP_4)
	v_fmac_f32_e32 v23, v34, v36
	v_fmac_f32_e32 v22, 0x80000000, v36
	s_delay_alu instid0(VALU_DEP_4) | instskip(SKIP_1) | instid1(VALU_DEP_3)
	v_fmac_f32_e32 v26, 0x80000000, v36
	v_dual_fmac_f32 v24, v27, v37 :: v_dual_fmac_f32 v3, v32, v38
	v_dual_fmac_f32 v25, v29, v36 :: v_dual_fmac_f32 v22, v32, v37
	s_delay_alu instid0(VALU_DEP_2) | instskip(SKIP_1) | instid1(VALU_DEP_3)
	v_dual_fmac_f32 v23, 0, v37 :: v_dual_fmac_f32 v24, 0x80000000, v38
	s_wait_loadcnt 0x1
	v_fmac_f32_e32 v3, 0, v39
	s_delay_alu instid0(VALU_DEP_3) | instskip(NEXT) | instid1(VALU_DEP_3)
	v_dual_fmac_f32 v25, 0, v37 :: v_dual_fmac_f32 v22, 0x80000000, v38
	v_dual_fmac_f32 v26, v30, v37 :: v_dual_fmac_f32 v23, v27, v38
	s_delay_alu instid0(VALU_DEP_3) | instskip(NEXT) | instid1(VALU_DEP_3)
	v_dual_fmac_f32 v24, v28, v39 :: v_dual_fmac_f32 v3, v33, v40
	v_dual_fmac_f32 v25, v30, v38 :: v_dual_fmac_f32 v22, v33, v39
	s_delay_alu instid0(VALU_DEP_3) | instskip(NEXT) | instid1(VALU_DEP_2)
	v_dual_fmac_f32 v26, 0x80000000, v38 :: v_dual_fmac_f32 v23, 0, v39
	v_dual_fmac_f32 v24, 0x80000000, v40 :: v_dual_fmac_f32 v25, 0, v39
	s_delay_alu instid0(VALU_DEP_3) | instskip(SKIP_1) | instid1(VALU_DEP_3)
	v_fmac_f32_e32 v22, 0x80000000, v40
	s_wait_loadcnt 0x0
	v_dual_fmac_f32 v26, v41, v39 :: v_dual_fmac_f32 v23, v28, v40
	s_delay_alu instid0(VALU_DEP_3) | instskip(NEXT) | instid1(VALU_DEP_2)
	v_fmac_f32_e32 v25, v41, v40
	v_fmac_f32_e32 v26, 0x80000000, v40
	s_wait_alu 0xfffe
	s_and_not1_b32 exec_lo, exec_lo, s6
	s_cbranch_execnz .LBB131_16
; %bb.17:
	s_or_b32 exec_lo, exec_lo, s6
.LBB131_18:
	s_wait_alu 0xfffe
	s_or_b32 exec_lo, exec_lo, s3
	s_cbranch_execz .LBB131_20
	s_branch .LBB131_25
.LBB131_19:
                                        ; implicit-def: $vgpr3
                                        ; implicit-def: $vgpr22
                                        ; implicit-def: $vgpr23
                                        ; implicit-def: $vgpr24
                                        ; implicit-def: $vgpr25
                                        ; implicit-def: $vgpr26
.LBB131_20:
	v_dual_mov_b32 v3, 0 :: v_dual_mov_b32 v22, 0
	v_dual_mov_b32 v23, 0 :: v_dual_mov_b32 v24, 0
	;; [unrolled: 1-line block ×3, first 2 shown]
	s_and_saveexec_b32 s3, s2
	s_cbranch_execz .LBB131_24
; %bb.21:
	v_lshlrev_b64_e32 v[16:17], 3, v[10:11]
	v_dual_mov_b32 v3, 0 :: v_dual_mov_b32 v22, 0
	v_dual_mov_b32 v23, 0 :: v_dual_mov_b32 v24, 0
	;; [unrolled: 1-line block ×3, first 2 shown]
	s_delay_alu instid0(VALU_DEP_4)
	v_add_co_u32 v16, vcc_lo, s8, v16
	s_wait_alu 0xfffd
	v_add_co_ci_u32_e64 v17, null, s9, v17, vcc_lo
	s_mov_b32 s2, 0
.LBB131_22:                             ; =>This Inner Loop Header: Depth=1
	global_load_b64 v[31:32], v[16:17], off
	s_clause 0x1
	global_load_b128 v[18:21], v[12:13], off offset:16
	global_load_b128 v[27:30], v[12:13], off
	s_wait_loadcnt 0x2
	v_sub_co_u32 v31, vcc_lo, v31, v1
	s_wait_alu 0xfffd
	v_sub_co_ci_u32_e64 v32, null, v32, v2, vcc_lo
	s_delay_alu instid0(VALU_DEP_2) | instskip(NEXT) | instid1(VALU_DEP_1)
	v_mad_co_u64_u32 v[35:36], null, v31, 24, s[4:5]
	v_mov_b32_e32 v31, v36
	s_delay_alu instid0(VALU_DEP_1) | instskip(NEXT) | instid1(VALU_DEP_1)
	v_mad_co_u64_u32 v[31:32], null, v32, 24, v[31:32]
	v_mov_b32_e32 v36, v31
	s_clause 0x1
	global_load_b128 v[31:34], v[35:36], off
	global_load_b64 v[35:36], v[35:36], off offset:16
	global_load_b32 v37, v[12:13], off offset:32
	v_add_co_u32 v12, vcc_lo, 0x120, v12
	s_wait_alu 0xfffd
	v_add_co_ci_u32_e64 v13, null, 0, v13, vcc_lo
	v_add_co_u32 v10, vcc_lo, v10, 8
	s_wait_alu 0xfffd
	v_add_co_ci_u32_e64 v11, null, 0, v11, vcc_lo
	;; [unrolled: 3-line block ×3, first 2 shown]
	s_delay_alu instid0(VALU_DEP_3) | instskip(SKIP_4) | instid1(VALU_DEP_1)
	v_cmp_ge_i64_e32 vcc_lo, v[10:11], v[14:15]
	s_wait_alu 0xfffe
	s_or_b32 s2, vcc_lo, s2
	s_wait_loadcnt 0x2
	v_fmac_f32_e32 v3, 0, v31
	v_dual_fmac_f32 v24, v28, v31 :: v_dual_fmac_f32 v3, v27, v32
	s_delay_alu instid0(VALU_DEP_1) | instskip(SKIP_1) | instid1(VALU_DEP_3)
	v_dual_fmac_f32 v23, 0, v31 :: v_dual_fmac_f32 v24, 0x80000000, v32
	v_fmac_f32_e32 v22, v27, v31
	v_dual_fmac_f32 v26, v29, v31 :: v_dual_fmac_f32 v3, 0, v33
	v_fmac_f32_e32 v25, 0, v31
	s_delay_alu instid0(VALU_DEP_4) | instskip(NEXT) | instid1(VALU_DEP_4)
	v_fmac_f32_e32 v23, v28, v32
	v_fmac_f32_e32 v22, 0x80000000, v32
	s_delay_alu instid0(VALU_DEP_4) | instskip(NEXT) | instid1(VALU_DEP_2)
	v_dual_fmac_f32 v26, 0x80000000, v32 :: v_dual_fmac_f32 v3, v30, v34
	v_dual_fmac_f32 v25, v29, v32 :: v_dual_fmac_f32 v22, v30, v33
	s_delay_alu instid0(VALU_DEP_4) | instskip(NEXT) | instid1(VALU_DEP_3)
	v_fmac_f32_e32 v23, 0, v33
	v_fmac_f32_e32 v26, v19, v33
	s_delay_alu instid0(VALU_DEP_3)
	v_fmac_f32_e32 v25, 0, v33
	v_fmac_f32_e32 v24, v18, v33
	;; [unrolled: 1-line block ×4, first 2 shown]
	s_wait_loadcnt 0x1
	v_dual_fmac_f32 v26, 0x80000000, v34 :: v_dual_fmac_f32 v3, 0, v35
	v_fmac_f32_e32 v25, v19, v34
	v_fmac_f32_e32 v24, 0x80000000, v34
	;; [unrolled: 1-line block ×4, first 2 shown]
	s_wait_loadcnt 0x0
	v_dual_fmac_f32 v26, v37, v35 :: v_dual_fmac_f32 v3, v20, v36
	v_fmac_f32_e32 v24, v21, v35
	v_dual_fmac_f32 v25, 0, v35 :: v_dual_fmac_f32 v22, 0x80000000, v36
	v_fmac_f32_e32 v23, v21, v36
	s_delay_alu instid0(VALU_DEP_4) | instskip(NEXT) | instid1(VALU_DEP_4)
	v_fmac_f32_e32 v26, 0x80000000, v36
	v_fmac_f32_e32 v24, 0x80000000, v36
	s_delay_alu instid0(VALU_DEP_4)
	v_fmac_f32_e32 v25, v37, v36
	s_wait_alu 0xfffe
	s_and_not1_b32 exec_lo, exec_lo, s2
	s_cbranch_execnz .LBB131_22
; %bb.23:
	s_or_b32 exec_lo, exec_lo, s2
.LBB131_24:
	s_wait_alu 0xfffe
	s_or_b32 exec_lo, exec_lo, s3
.LBB131_25:
	v_mbcnt_lo_u32_b32 v1, -1, 0
	s_delay_alu instid0(VALU_DEP_1) | instskip(SKIP_2) | instid1(VALU_DEP_3)
	v_xor_b32_e32 v2, 4, v1
	v_xor_b32_e32 v15, 2, v1
	v_xor_b32_e32 v20, 1, v1
	v_cmp_gt_i32_e32 vcc_lo, 32, v2
	s_wait_alu 0xfffd
	v_cndmask_b32_e32 v2, v1, v2, vcc_lo
	v_cmp_gt_i32_e32 vcc_lo, 32, v15
	s_wait_alu 0xfffd
	v_cndmask_b32_e32 v15, v1, v15, vcc_lo
	v_cmp_gt_i32_e32 vcc_lo, 32, v20
	s_delay_alu instid0(VALU_DEP_2)
	v_lshlrev_b32_e32 v15, 2, v15
	v_lshlrev_b32_e32 v2, 2, v2
	ds_bpermute_b32 v11, v2, v3
	s_wait_dscnt 0x0
	v_add_f32_e32 v3, v3, v11
	ds_bpermute_b32 v10, v2, v22
	ds_bpermute_b32 v12, v2, v24
	;; [unrolled: 1-line block ×6, first 2 shown]
	s_wait_dscnt 0x4
	v_dual_add_f32 v10, v22, v10 :: v_dual_add_f32 v11, v24, v12
	s_wait_dscnt 0x3
	v_add_f32_e32 v12, v23, v13
	ds_bpermute_b32 v17, v15, v11
	ds_bpermute_b32 v18, v15, v12
	s_wait_alu 0xfffd
	v_cndmask_b32_e32 v1, v1, v20, vcc_lo
	s_wait_dscnt 0x4
	v_add_f32_e32 v13, v26, v14
	s_wait_dscnt 0x3
	v_add_f32_e32 v14, v25, v2
	ds_bpermute_b32 v2, v15, v10
	v_cmp_eq_u32_e32 vcc_lo, 7, v0
	v_lshlrev_b32_e32 v20, 2, v1
	ds_bpermute_b32 v19, v15, v13
	s_wait_dscnt 0x1
	v_dual_add_f32 v1, v10, v2 :: v_dual_add_f32 v2, v3, v16
	v_add_f32_e32 v3, v11, v17
	ds_bpermute_b32 v15, v15, v14
	s_wait_dscnt 0x1
	v_dual_add_f32 v10, v12, v18 :: v_dual_add_f32 v11, v13, v19
	ds_bpermute_b32 v13, v20, v1
	ds_bpermute_b32 v16, v20, v10
	;; [unrolled: 1-line block ×3, first 2 shown]
	s_wait_dscnt 0x3
	v_add_f32_e32 v12, v14, v15
	ds_bpermute_b32 v14, v20, v2
	ds_bpermute_b32 v15, v20, v3
	;; [unrolled: 1-line block ×3, first 2 shown]
	s_and_b32 exec_lo, exec_lo, vcc_lo
	s_cbranch_execz .LBB131_8
; %bb.26:
	s_load_b64 s[2:3], s[0:1], 0x58
	s_wait_dscnt 0x5
	v_add_f32_e32 v13, v1, v13
	s_wait_dscnt 0x1
	v_dual_add_f32 v1, v2, v14 :: v_dual_add_f32 v14, v3, v15
	v_add_f32_e32 v3, v10, v16
	v_cmp_eq_f32_e32 vcc_lo, 0, v4
	v_cmp_eq_f32_e64 s0, 0, v5
	s_delay_alu instid0(VALU_DEP_4)
	v_mul_f32_e64 v0, v1, -v7
	v_mul_f32_e32 v1, v6, v1
	v_mul_f32_e64 v2, v3, -v7
	v_add_f32_e32 v15, v11, v17
	s_wait_dscnt 0x0
	v_dual_add_f32 v11, v12, v18 :: v_dual_fmac_f32 v0, v6, v13
	v_mul_f32_e32 v3, v6, v3
	v_fmac_f32_e32 v2, v6, v14
	s_and_b32 s0, vcc_lo, s0
	s_delay_alu instid0(VALU_DEP_3) | instskip(SKIP_2) | instid1(VALU_DEP_3)
	v_mul_f32_e64 v10, v11, -v7
	v_mul_f32_e32 v11, v6, v11
	v_fmac_f32_e32 v1, v7, v13
	v_dual_fmac_f32 v3, v7, v14 :: v_dual_fmac_f32 v10, v6, v15
	s_delay_alu instid0(VALU_DEP_3)
	v_fmac_f32_e32 v11, v7, v15
	s_wait_alu 0xfffe
	s_and_saveexec_b32 s1, s0
	s_wait_alu 0xfffe
	s_xor_b32 s0, exec_lo, s1
	s_cbranch_execz .LBB131_28
; %bb.27:
	s_wait_kmcnt 0x0
	v_mad_co_u64_u32 v[4:5], null, v8, 24, s[2:3]
	s_delay_alu instid0(VALU_DEP_1)
	v_mad_co_u64_u32 v[5:6], null, v9, 24, v[5:6]
                                        ; implicit-def: $vgpr8_vgpr9
	s_clause 0x1
	global_store_b128 v[4:5], v[0:3], off
	global_store_b64 v[4:5], v[10:11], off offset:16
                                        ; implicit-def: $vgpr4_vgpr5
                                        ; implicit-def: $vgpr0
                                        ; implicit-def: $vgpr10
.LBB131_28:
	s_wait_alu 0xfffe
	s_and_not1_saveexec_b32 s0, s0
	s_cbranch_execz .LBB131_8
; %bb.29:
	s_wait_kmcnt 0x0
	v_mad_co_u64_u32 v[12:13], null, v8, 24, s[2:3]
	s_delay_alu instid0(VALU_DEP_1) | instskip(NEXT) | instid1(VALU_DEP_1)
	v_mov_b32_e32 v6, v13
	v_mad_co_u64_u32 v[6:7], null, v9, 24, v[6:7]
	s_delay_alu instid0(VALU_DEP_1)
	v_mov_b32_e32 v13, v6
	s_clause 0x1
	global_load_b128 v[6:9], v[12:13], off
	global_load_b64 v[14:15], v[12:13], off offset:16
	s_wait_loadcnt 0x1
	v_fmac_f32_e32 v0, v4, v6
	v_dual_fmac_f32 v1, v5, v6 :: v_dual_fmac_f32 v2, v4, v8
	s_wait_loadcnt 0x0
	v_dual_fmac_f32 v3, v5, v8 :: v_dual_fmac_f32 v10, v4, v14
	v_fmac_f32_e32 v11, v5, v14
	v_fma_f32 v0, -v5, v7, v0
	v_fmac_f32_e32 v1, v4, v7
	v_fma_f32 v2, -v5, v9, v2
	;; [unrolled: 2-line block ×3, first 2 shown]
	v_fmac_f32_e32 v11, v4, v15
	s_clause 0x1
	global_store_b128 v[12:13], v[0:3], off
	global_store_b64 v[12:13], v[10:11], off offset:16
	s_endpgm
	.section	.rodata,"a",@progbits
	.p2align	6, 0x0
	.amdhsa_kernel _ZN9rocsparseL18bsrxmvn_3x3_kernelILj256ELj8E21rocsparse_complex_numIfEllfS2_S2_EEvT3_20rocsparse_direction_NS_24const_host_device_scalarIT1_EES3_PKS3_PKT2_SC_S9_PKT4_PKT5_S7_PT6_21rocsparse_index_base_b
		.amdhsa_group_segment_fixed_size 0
		.amdhsa_private_segment_fixed_size 0
		.amdhsa_kernarg_size 104
		.amdhsa_user_sgpr_count 2
		.amdhsa_user_sgpr_dispatch_ptr 0
		.amdhsa_user_sgpr_queue_ptr 0
		.amdhsa_user_sgpr_kernarg_segment_ptr 1
		.amdhsa_user_sgpr_dispatch_id 0
		.amdhsa_user_sgpr_private_segment_size 0
		.amdhsa_wavefront_size32 1
		.amdhsa_uses_dynamic_stack 0
		.amdhsa_enable_private_segment 0
		.amdhsa_system_sgpr_workgroup_id_x 1
		.amdhsa_system_sgpr_workgroup_id_y 0
		.amdhsa_system_sgpr_workgroup_id_z 0
		.amdhsa_system_sgpr_workgroup_info 0
		.amdhsa_system_vgpr_workitem_id 0
		.amdhsa_next_free_vgpr 42
		.amdhsa_next_free_sgpr 12
		.amdhsa_reserve_vcc 1
		.amdhsa_float_round_mode_32 0
		.amdhsa_float_round_mode_16_64 0
		.amdhsa_float_denorm_mode_32 3
		.amdhsa_float_denorm_mode_16_64 3
		.amdhsa_fp16_overflow 0
		.amdhsa_workgroup_processor_mode 1
		.amdhsa_memory_ordered 1
		.amdhsa_forward_progress 1
		.amdhsa_inst_pref_size 20
		.amdhsa_round_robin_scheduling 0
		.amdhsa_exception_fp_ieee_invalid_op 0
		.amdhsa_exception_fp_denorm_src 0
		.amdhsa_exception_fp_ieee_div_zero 0
		.amdhsa_exception_fp_ieee_overflow 0
		.amdhsa_exception_fp_ieee_underflow 0
		.amdhsa_exception_fp_ieee_inexact 0
		.amdhsa_exception_int_div_zero 0
	.end_amdhsa_kernel
	.section	.text._ZN9rocsparseL18bsrxmvn_3x3_kernelILj256ELj8E21rocsparse_complex_numIfEllfS2_S2_EEvT3_20rocsparse_direction_NS_24const_host_device_scalarIT1_EES3_PKS3_PKT2_SC_S9_PKT4_PKT5_S7_PT6_21rocsparse_index_base_b,"axG",@progbits,_ZN9rocsparseL18bsrxmvn_3x3_kernelILj256ELj8E21rocsparse_complex_numIfEllfS2_S2_EEvT3_20rocsparse_direction_NS_24const_host_device_scalarIT1_EES3_PKS3_PKT2_SC_S9_PKT4_PKT5_S7_PT6_21rocsparse_index_base_b,comdat
.Lfunc_end131:
	.size	_ZN9rocsparseL18bsrxmvn_3x3_kernelILj256ELj8E21rocsparse_complex_numIfEllfS2_S2_EEvT3_20rocsparse_direction_NS_24const_host_device_scalarIT1_EES3_PKS3_PKT2_SC_S9_PKT4_PKT5_S7_PT6_21rocsparse_index_base_b, .Lfunc_end131-_ZN9rocsparseL18bsrxmvn_3x3_kernelILj256ELj8E21rocsparse_complex_numIfEllfS2_S2_EEvT3_20rocsparse_direction_NS_24const_host_device_scalarIT1_EES3_PKS3_PKT2_SC_S9_PKT4_PKT5_S7_PT6_21rocsparse_index_base_b
                                        ; -- End function
	.set _ZN9rocsparseL18bsrxmvn_3x3_kernelILj256ELj8E21rocsparse_complex_numIfEllfS2_S2_EEvT3_20rocsparse_direction_NS_24const_host_device_scalarIT1_EES3_PKS3_PKT2_SC_S9_PKT4_PKT5_S7_PT6_21rocsparse_index_base_b.num_vgpr, 42
	.set _ZN9rocsparseL18bsrxmvn_3x3_kernelILj256ELj8E21rocsparse_complex_numIfEllfS2_S2_EEvT3_20rocsparse_direction_NS_24const_host_device_scalarIT1_EES3_PKS3_PKT2_SC_S9_PKT4_PKT5_S7_PT6_21rocsparse_index_base_b.num_agpr, 0
	.set _ZN9rocsparseL18bsrxmvn_3x3_kernelILj256ELj8E21rocsparse_complex_numIfEllfS2_S2_EEvT3_20rocsparse_direction_NS_24const_host_device_scalarIT1_EES3_PKS3_PKT2_SC_S9_PKT4_PKT5_S7_PT6_21rocsparse_index_base_b.numbered_sgpr, 12
	.set _ZN9rocsparseL18bsrxmvn_3x3_kernelILj256ELj8E21rocsparse_complex_numIfEllfS2_S2_EEvT3_20rocsparse_direction_NS_24const_host_device_scalarIT1_EES3_PKS3_PKT2_SC_S9_PKT4_PKT5_S7_PT6_21rocsparse_index_base_b.num_named_barrier, 0
	.set _ZN9rocsparseL18bsrxmvn_3x3_kernelILj256ELj8E21rocsparse_complex_numIfEllfS2_S2_EEvT3_20rocsparse_direction_NS_24const_host_device_scalarIT1_EES3_PKS3_PKT2_SC_S9_PKT4_PKT5_S7_PT6_21rocsparse_index_base_b.private_seg_size, 0
	.set _ZN9rocsparseL18bsrxmvn_3x3_kernelILj256ELj8E21rocsparse_complex_numIfEllfS2_S2_EEvT3_20rocsparse_direction_NS_24const_host_device_scalarIT1_EES3_PKS3_PKT2_SC_S9_PKT4_PKT5_S7_PT6_21rocsparse_index_base_b.uses_vcc, 1
	.set _ZN9rocsparseL18bsrxmvn_3x3_kernelILj256ELj8E21rocsparse_complex_numIfEllfS2_S2_EEvT3_20rocsparse_direction_NS_24const_host_device_scalarIT1_EES3_PKS3_PKT2_SC_S9_PKT4_PKT5_S7_PT6_21rocsparse_index_base_b.uses_flat_scratch, 0
	.set _ZN9rocsparseL18bsrxmvn_3x3_kernelILj256ELj8E21rocsparse_complex_numIfEllfS2_S2_EEvT3_20rocsparse_direction_NS_24const_host_device_scalarIT1_EES3_PKS3_PKT2_SC_S9_PKT4_PKT5_S7_PT6_21rocsparse_index_base_b.has_dyn_sized_stack, 0
	.set _ZN9rocsparseL18bsrxmvn_3x3_kernelILj256ELj8E21rocsparse_complex_numIfEllfS2_S2_EEvT3_20rocsparse_direction_NS_24const_host_device_scalarIT1_EES3_PKS3_PKT2_SC_S9_PKT4_PKT5_S7_PT6_21rocsparse_index_base_b.has_recursion, 0
	.set _ZN9rocsparseL18bsrxmvn_3x3_kernelILj256ELj8E21rocsparse_complex_numIfEllfS2_S2_EEvT3_20rocsparse_direction_NS_24const_host_device_scalarIT1_EES3_PKS3_PKT2_SC_S9_PKT4_PKT5_S7_PT6_21rocsparse_index_base_b.has_indirect_call, 0
	.section	.AMDGPU.csdata,"",@progbits
; Kernel info:
; codeLenInByte = 2548
; TotalNumSgprs: 14
; NumVgprs: 42
; ScratchSize: 0
; MemoryBound: 0
; FloatMode: 240
; IeeeMode: 1
; LDSByteSize: 0 bytes/workgroup (compile time only)
; SGPRBlocks: 0
; VGPRBlocks: 5
; NumSGPRsForWavesPerEU: 14
; NumVGPRsForWavesPerEU: 42
; Occupancy: 16
; WaveLimiterHint : 1
; COMPUTE_PGM_RSRC2:SCRATCH_EN: 0
; COMPUTE_PGM_RSRC2:USER_SGPR: 2
; COMPUTE_PGM_RSRC2:TRAP_HANDLER: 0
; COMPUTE_PGM_RSRC2:TGID_X_EN: 1
; COMPUTE_PGM_RSRC2:TGID_Y_EN: 0
; COMPUTE_PGM_RSRC2:TGID_Z_EN: 0
; COMPUTE_PGM_RSRC2:TIDIG_COMP_CNT: 0
	.section	.text._ZN9rocsparseL18bsrxmvn_3x3_kernelILj256ELj16E21rocsparse_complex_numIfEllfS2_S2_EEvT3_20rocsparse_direction_NS_24const_host_device_scalarIT1_EES3_PKS3_PKT2_SC_S9_PKT4_PKT5_S7_PT6_21rocsparse_index_base_b,"axG",@progbits,_ZN9rocsparseL18bsrxmvn_3x3_kernelILj256ELj16E21rocsparse_complex_numIfEllfS2_S2_EEvT3_20rocsparse_direction_NS_24const_host_device_scalarIT1_EES3_PKS3_PKT2_SC_S9_PKT4_PKT5_S7_PT6_21rocsparse_index_base_b,comdat
	.globl	_ZN9rocsparseL18bsrxmvn_3x3_kernelILj256ELj16E21rocsparse_complex_numIfEllfS2_S2_EEvT3_20rocsparse_direction_NS_24const_host_device_scalarIT1_EES3_PKS3_PKT2_SC_S9_PKT4_PKT5_S7_PT6_21rocsparse_index_base_b ; -- Begin function _ZN9rocsparseL18bsrxmvn_3x3_kernelILj256ELj16E21rocsparse_complex_numIfEllfS2_S2_EEvT3_20rocsparse_direction_NS_24const_host_device_scalarIT1_EES3_PKS3_PKT2_SC_S9_PKT4_PKT5_S7_PT6_21rocsparse_index_base_b
	.p2align	8
	.type	_ZN9rocsparseL18bsrxmvn_3x3_kernelILj256ELj16E21rocsparse_complex_numIfEllfS2_S2_EEvT3_20rocsparse_direction_NS_24const_host_device_scalarIT1_EES3_PKS3_PKT2_SC_S9_PKT4_PKT5_S7_PT6_21rocsparse_index_base_b,@function
_ZN9rocsparseL18bsrxmvn_3x3_kernelILj256ELj16E21rocsparse_complex_numIfEllfS2_S2_EEvT3_20rocsparse_direction_NS_24const_host_device_scalarIT1_EES3_PKS3_PKT2_SC_S9_PKT4_PKT5_S7_PT6_21rocsparse_index_base_b: ; @_ZN9rocsparseL18bsrxmvn_3x3_kernelILj256ELj16E21rocsparse_complex_numIfEllfS2_S2_EEvT3_20rocsparse_direction_NS_24const_host_device_scalarIT1_EES3_PKS3_PKT2_SC_S9_PKT4_PKT5_S7_PT6_21rocsparse_index_base_b
; %bb.0:
	s_clause 0x2
	s_load_b64 s[8:9], s[0:1], 0x60
	s_load_b128 s[4:7], s[0:1], 0x10
	s_load_b64 s[2:3], s[0:1], 0x50
	s_add_nc_u64 s[10:11], s[0:1], 16
	s_wait_kmcnt 0x0
	s_bitcmp1_b32 s9, 0
	s_cselect_b32 s4, s10, s4
	s_cselect_b32 s5, s11, s5
	s_delay_alu instid0(SALU_CYCLE_1)
	v_dual_mov_b32 v1, s4 :: v_dual_mov_b32 v2, s5
	s_add_nc_u64 s[4:5], s[0:1], 0x50
	s_wait_alu 0xfffe
	s_cselect_b32 s2, s4, s2
	s_cselect_b32 s3, s5, s3
	flat_load_b64 v[6:7], v[1:2]
	v_dual_mov_b32 v1, s2 :: v_dual_mov_b32 v2, s3
	flat_load_b64 v[4:5], v[1:2]
	s_wait_loadcnt_dscnt 0x101
	v_cmp_eq_f32_e32 vcc_lo, 0, v6
	v_cmp_eq_f32_e64 s2, 0, v7
	s_and_b32 s4, vcc_lo, s2
	s_mov_b32 s2, -1
	s_wait_alu 0xfffe
	s_and_saveexec_b32 s3, s4
	s_cbranch_execz .LBB132_2
; %bb.1:
	s_wait_loadcnt_dscnt 0x0
	v_cmp_neq_f32_e32 vcc_lo, 1.0, v4
	v_cmp_neq_f32_e64 s2, 0, v5
	s_or_b32 s2, vcc_lo, s2
	s_wait_alu 0xfffe
	s_or_not1_b32 s2, s2, exec_lo
.LBB132_2:
	s_wait_alu 0xfffe
	s_or_b32 exec_lo, exec_lo, s3
	s_and_saveexec_b32 s3, s2
	s_cbranch_execz .LBB132_8
; %bb.3:
	s_load_b64 s[2:3], s[0:1], 0x20
	v_lshrrev_b32_e32 v1, 4, v0
	v_mov_b32_e32 v11, 0
	s_delay_alu instid0(VALU_DEP_2)
	v_lshl_or_b32 v10, ttmp9, 4, v1
	s_wait_kmcnt 0x0
	s_cmp_lg_u64 s[2:3], 0
	s_cbranch_scc0 .LBB132_9
; %bb.4:
	s_delay_alu instid0(VALU_DEP_1)
	v_cmp_gt_i64_e32 vcc_lo, s[6:7], v[10:11]
	s_mov_b32 s5, 0
	s_mov_b32 s4, 0
                                        ; implicit-def: $vgpr8_vgpr9
                                        ; implicit-def: $vgpr1_vgpr2
	s_and_saveexec_b32 s6, vcc_lo
	s_wait_alu 0xfffe
	s_xor_b32 s6, exec_lo, s6
	s_cbranch_execz .LBB132_6
; %bb.5:
	v_lshlrev_b64_e32 v[1:2], 3, v[10:11]
	s_mov_b32 s9, 0
	s_mov_b32 s4, exec_lo
	s_delay_alu instid0(VALU_DEP_1) | instskip(NEXT) | instid1(VALU_DEP_1)
	v_add_co_u32 v1, vcc_lo, s2, v1
	v_add_co_ci_u32_e64 v2, null, s3, v2, vcc_lo
	global_load_b64 v[1:2], v[1:2], off
	s_wait_loadcnt 0x0
	v_sub_co_u32 v8, vcc_lo, v1, s8
	s_wait_alu 0xfffd
	v_subrev_co_ci_u32_e64 v9, null, 0, v2, vcc_lo
	v_dual_mov_b32 v1, s8 :: v_dual_mov_b32 v2, s9
.LBB132_6:
	s_wait_alu 0xfffe
	s_or_b32 exec_lo, exec_lo, s6
	s_delay_alu instid0(SALU_CYCLE_1)
	s_and_b32 vcc_lo, exec_lo, s5
	s_wait_alu 0xfffe
	s_cbranch_vccnz .LBB132_10
.LBB132_7:
	s_wait_alu 0xfffe
	s_and_b32 exec_lo, exec_lo, s4
	s_cbranch_execnz .LBB132_13
.LBB132_8:
	s_endpgm
.LBB132_9:
	s_mov_b32 s4, 0
                                        ; implicit-def: $vgpr8_vgpr9
                                        ; implicit-def: $vgpr1_vgpr2
	s_cbranch_execz .LBB132_7
.LBB132_10:
	s_load_b64 s[2:3], s[0:1], 0x0
	s_wait_kmcnt 0x0
	v_cmp_gt_i64_e32 vcc_lo, s[2:3], v[10:11]
	s_and_saveexec_b32 s2, vcc_lo
; %bb.11:
	s_mov_b32 s9, 0
	s_or_b32 s4, s4, exec_lo
; %bb.12:
	s_wait_alu 0xfffe
	s_or_b32 exec_lo, exec_lo, s2
	v_dual_mov_b32 v1, s8 :: v_dual_mov_b32 v2, s9
	v_dual_mov_b32 v8, v10 :: v_dual_mov_b32 v9, v11
	s_and_b32 exec_lo, exec_lo, s4
	s_cbranch_execz .LBB132_8
.LBB132_13:
	s_load_b256 s[4:11], s[0:1], 0x28
	s_delay_alu instid0(VALU_DEP_1) | instskip(SKIP_2) | instid1(VALU_DEP_2)
	v_lshlrev_b64_e32 v[10:11], 3, v[8:9]
	v_and_b32_e32 v0, 15, v0
	s_wait_kmcnt 0x0
	v_add_co_u32 v12, vcc_lo, s4, v10
	s_wait_alu 0xfffd
	s_delay_alu instid0(VALU_DEP_3)
	v_add_co_ci_u32_e64 v13, null, s5, v11, vcc_lo
	v_add_co_u32 v3, vcc_lo, s6, v10
	s_wait_alu 0xfffd
	v_add_co_ci_u32_e64 v10, null, s7, v11, vcc_lo
	global_load_b64 v[14:15], v[12:13], off
	v_add_co_u32 v12, vcc_lo, v12, 8
	s_wait_alu 0xfffd
	v_add_co_ci_u32_e64 v11, null, 0, v13, vcc_lo
	s_cmp_eq_u64 s[6:7], 0
	s_cselect_b32 vcc_lo, -1, 0
	s_wait_alu 0xfffe
	v_dual_cndmask_b32 v11, v10, v11 :: v_dual_cndmask_b32 v10, v3, v12
	global_load_b64 v[16:17], v[10:11], off
	s_clause 0x1
	s_load_b32 s3, s[0:1], 0x8
	s_load_b64 s[4:5], s[0:1], 0x48
	s_wait_kmcnt 0x0
	s_cmp_eq_u32 s3, 1
	s_wait_loadcnt 0x1
	v_sub_co_u32 v3, vcc_lo, v14, v1
	s_wait_alu 0xfffd
	v_sub_co_ci_u32_e64 v11, null, v15, v2, vcc_lo
	s_delay_alu instid0(VALU_DEP_2) | instskip(SKIP_1) | instid1(VALU_DEP_2)
	v_add_co_u32 v10, vcc_lo, v3, v0
	s_wait_alu 0xfffd
	v_add_co_ci_u32_e64 v11, null, 0, v11, vcc_lo
	s_delay_alu instid0(VALU_DEP_2) | instskip(NEXT) | instid1(VALU_DEP_1)
	v_mad_co_u64_u32 v[12:13], null, v10, 36, s[10:11]
	v_mov_b32_e32 v3, v13
	s_wait_dscnt 0x0
	s_delay_alu instid0(VALU_DEP_1)
	v_mad_co_u64_u32 v[13:14], null, v11, 36, v[3:4]
	s_wait_loadcnt 0x0
	v_sub_co_u32 v14, vcc_lo, v16, v1
	s_wait_alu 0xfffd
	v_sub_co_ci_u32_e64 v15, null, v17, v2, vcc_lo
	v_mov_b32_e32 v3, 0
	s_delay_alu instid0(VALU_DEP_2)
	v_cmp_lt_i64_e64 s2, v[10:11], v[14:15]
	s_cbranch_scc1 .LBB132_19
; %bb.14:
	v_dual_mov_b32 v22, 0 :: v_dual_mov_b32 v23, 0
	v_dual_mov_b32 v24, 0 :: v_dual_mov_b32 v25, 0
	v_mov_b32_e32 v26, 0
	s_and_saveexec_b32 s3, s2
	s_cbranch_execz .LBB132_18
; %bb.15:
	v_lshlrev_b64_e32 v[18:19], 3, v[10:11]
	v_mov_b32_e32 v17, v11
	v_dual_mov_b32 v21, v13 :: v_dual_mov_b32 v22, 0
	v_dual_mov_b32 v3, 0 :: v_dual_mov_b32 v16, v10
	s_delay_alu instid0(VALU_DEP_4)
	v_add_co_u32 v18, vcc_lo, s8, v18
	s_wait_alu 0xfffd
	v_add_co_ci_u32_e64 v19, null, s9, v19, vcc_lo
	v_dual_mov_b32 v20, v12 :: v_dual_mov_b32 v23, 0
	v_dual_mov_b32 v24, 0 :: v_dual_mov_b32 v25, 0
	v_mov_b32_e32 v26, 0
	s_mov_b32 s6, 0
.LBB132_16:                             ; =>This Inner Loop Header: Depth=1
	global_load_b64 v[35:36], v[18:19], off
	s_clause 0x1
	global_load_b128 v[27:30], v[20:21], off offset:16
	global_load_b128 v[31:34], v[20:21], off
	s_wait_loadcnt 0x2
	v_sub_co_u32 v35, vcc_lo, v35, v1
	s_wait_alu 0xfffd
	v_sub_co_ci_u32_e64 v36, null, v36, v2, vcc_lo
	s_delay_alu instid0(VALU_DEP_2) | instskip(NEXT) | instid1(VALU_DEP_1)
	v_mad_co_u64_u32 v[39:40], null, v35, 24, s[4:5]
	v_mov_b32_e32 v35, v40
	s_delay_alu instid0(VALU_DEP_1) | instskip(NEXT) | instid1(VALU_DEP_1)
	v_mad_co_u64_u32 v[35:36], null, v36, 24, v[35:36]
	v_mov_b32_e32 v40, v35
	s_clause 0x1
	global_load_b128 v[35:38], v[39:40], off
	global_load_b64 v[39:40], v[39:40], off offset:16
	global_load_b32 v41, v[20:21], off offset:32
	v_add_co_u32 v20, vcc_lo, 0x240, v20
	s_wait_alu 0xfffd
	v_add_co_ci_u32_e64 v21, null, 0, v21, vcc_lo
	v_add_co_u32 v16, vcc_lo, v16, 16
	s_wait_alu 0xfffd
	v_add_co_ci_u32_e64 v17, null, 0, v17, vcc_lo
	;; [unrolled: 3-line block ×3, first 2 shown]
	s_delay_alu instid0(VALU_DEP_3) | instskip(SKIP_4) | instid1(VALU_DEP_1)
	v_cmp_ge_i64_e32 vcc_lo, v[16:17], v[14:15]
	s_wait_alu 0xfffe
	s_or_b32 s6, vcc_lo, s6
	s_wait_loadcnt 0x2
	v_fmac_f32_e32 v3, 0, v35
	v_dual_fmac_f32 v24, v34, v35 :: v_dual_fmac_f32 v3, v31, v36
	s_delay_alu instid0(VALU_DEP_1) | instskip(SKIP_1) | instid1(VALU_DEP_3)
	v_dual_fmac_f32 v23, 0, v35 :: v_dual_fmac_f32 v24, 0x80000000, v36
	v_fmac_f32_e32 v22, v31, v35
	v_dual_fmac_f32 v26, v29, v35 :: v_dual_fmac_f32 v3, 0, v37
	v_fmac_f32_e32 v25, 0, v35
	s_delay_alu instid0(VALU_DEP_4) | instskip(NEXT) | instid1(VALU_DEP_4)
	v_fmac_f32_e32 v23, v34, v36
	v_fmac_f32_e32 v22, 0x80000000, v36
	s_delay_alu instid0(VALU_DEP_4) | instskip(SKIP_1) | instid1(VALU_DEP_3)
	v_fmac_f32_e32 v26, 0x80000000, v36
	v_dual_fmac_f32 v24, v27, v37 :: v_dual_fmac_f32 v3, v32, v38
	v_dual_fmac_f32 v25, v29, v36 :: v_dual_fmac_f32 v22, v32, v37
	s_delay_alu instid0(VALU_DEP_2) | instskip(SKIP_1) | instid1(VALU_DEP_3)
	v_dual_fmac_f32 v23, 0, v37 :: v_dual_fmac_f32 v24, 0x80000000, v38
	s_wait_loadcnt 0x1
	v_fmac_f32_e32 v3, 0, v39
	s_delay_alu instid0(VALU_DEP_3) | instskip(NEXT) | instid1(VALU_DEP_3)
	v_dual_fmac_f32 v25, 0, v37 :: v_dual_fmac_f32 v22, 0x80000000, v38
	v_dual_fmac_f32 v26, v30, v37 :: v_dual_fmac_f32 v23, v27, v38
	s_delay_alu instid0(VALU_DEP_3) | instskip(NEXT) | instid1(VALU_DEP_3)
	v_dual_fmac_f32 v24, v28, v39 :: v_dual_fmac_f32 v3, v33, v40
	v_dual_fmac_f32 v25, v30, v38 :: v_dual_fmac_f32 v22, v33, v39
	s_delay_alu instid0(VALU_DEP_3) | instskip(NEXT) | instid1(VALU_DEP_2)
	v_dual_fmac_f32 v26, 0x80000000, v38 :: v_dual_fmac_f32 v23, 0, v39
	v_dual_fmac_f32 v24, 0x80000000, v40 :: v_dual_fmac_f32 v25, 0, v39
	s_delay_alu instid0(VALU_DEP_3) | instskip(SKIP_1) | instid1(VALU_DEP_3)
	v_fmac_f32_e32 v22, 0x80000000, v40
	s_wait_loadcnt 0x0
	v_dual_fmac_f32 v26, v41, v39 :: v_dual_fmac_f32 v23, v28, v40
	s_delay_alu instid0(VALU_DEP_3) | instskip(NEXT) | instid1(VALU_DEP_2)
	v_fmac_f32_e32 v25, v41, v40
	v_fmac_f32_e32 v26, 0x80000000, v40
	s_wait_alu 0xfffe
	s_and_not1_b32 exec_lo, exec_lo, s6
	s_cbranch_execnz .LBB132_16
; %bb.17:
	s_or_b32 exec_lo, exec_lo, s6
.LBB132_18:
	s_wait_alu 0xfffe
	s_or_b32 exec_lo, exec_lo, s3
	s_cbranch_execz .LBB132_20
	s_branch .LBB132_25
.LBB132_19:
                                        ; implicit-def: $vgpr3
                                        ; implicit-def: $vgpr22
                                        ; implicit-def: $vgpr23
                                        ; implicit-def: $vgpr24
                                        ; implicit-def: $vgpr25
                                        ; implicit-def: $vgpr26
.LBB132_20:
	v_dual_mov_b32 v3, 0 :: v_dual_mov_b32 v22, 0
	v_dual_mov_b32 v23, 0 :: v_dual_mov_b32 v24, 0
	v_dual_mov_b32 v25, 0 :: v_dual_mov_b32 v26, 0
	s_and_saveexec_b32 s3, s2
	s_cbranch_execz .LBB132_24
; %bb.21:
	v_lshlrev_b64_e32 v[16:17], 3, v[10:11]
	v_dual_mov_b32 v3, 0 :: v_dual_mov_b32 v22, 0
	v_dual_mov_b32 v23, 0 :: v_dual_mov_b32 v24, 0
	;; [unrolled: 1-line block ×3, first 2 shown]
	s_delay_alu instid0(VALU_DEP_4)
	v_add_co_u32 v16, vcc_lo, s8, v16
	s_wait_alu 0xfffd
	v_add_co_ci_u32_e64 v17, null, s9, v17, vcc_lo
	s_mov_b32 s2, 0
.LBB132_22:                             ; =>This Inner Loop Header: Depth=1
	global_load_b64 v[31:32], v[16:17], off
	s_clause 0x1
	global_load_b128 v[18:21], v[12:13], off offset:16
	global_load_b128 v[27:30], v[12:13], off
	s_wait_loadcnt 0x2
	v_sub_co_u32 v31, vcc_lo, v31, v1
	s_wait_alu 0xfffd
	v_sub_co_ci_u32_e64 v32, null, v32, v2, vcc_lo
	s_delay_alu instid0(VALU_DEP_2) | instskip(NEXT) | instid1(VALU_DEP_1)
	v_mad_co_u64_u32 v[35:36], null, v31, 24, s[4:5]
	v_mov_b32_e32 v31, v36
	s_delay_alu instid0(VALU_DEP_1) | instskip(NEXT) | instid1(VALU_DEP_1)
	v_mad_co_u64_u32 v[31:32], null, v32, 24, v[31:32]
	v_mov_b32_e32 v36, v31
	s_clause 0x1
	global_load_b128 v[31:34], v[35:36], off
	global_load_b64 v[35:36], v[35:36], off offset:16
	global_load_b32 v37, v[12:13], off offset:32
	v_add_co_u32 v12, vcc_lo, 0x240, v12
	s_wait_alu 0xfffd
	v_add_co_ci_u32_e64 v13, null, 0, v13, vcc_lo
	v_add_co_u32 v10, vcc_lo, v10, 16
	s_wait_alu 0xfffd
	v_add_co_ci_u32_e64 v11, null, 0, v11, vcc_lo
	v_add_co_u32 v16, vcc_lo, 0x80, v16
	s_wait_alu 0xfffd
	v_add_co_ci_u32_e64 v17, null, 0, v17, vcc_lo
	s_delay_alu instid0(VALU_DEP_3) | instskip(SKIP_4) | instid1(VALU_DEP_1)
	v_cmp_ge_i64_e32 vcc_lo, v[10:11], v[14:15]
	s_wait_alu 0xfffe
	s_or_b32 s2, vcc_lo, s2
	s_wait_loadcnt 0x2
	v_fmac_f32_e32 v3, 0, v31
	v_dual_fmac_f32 v24, v28, v31 :: v_dual_fmac_f32 v3, v27, v32
	s_delay_alu instid0(VALU_DEP_1) | instskip(SKIP_1) | instid1(VALU_DEP_3)
	v_dual_fmac_f32 v23, 0, v31 :: v_dual_fmac_f32 v24, 0x80000000, v32
	v_fmac_f32_e32 v22, v27, v31
	v_dual_fmac_f32 v26, v29, v31 :: v_dual_fmac_f32 v3, 0, v33
	v_fmac_f32_e32 v25, 0, v31
	s_delay_alu instid0(VALU_DEP_4) | instskip(NEXT) | instid1(VALU_DEP_4)
	v_fmac_f32_e32 v23, v28, v32
	v_fmac_f32_e32 v22, 0x80000000, v32
	s_delay_alu instid0(VALU_DEP_4) | instskip(NEXT) | instid1(VALU_DEP_2)
	v_dual_fmac_f32 v26, 0x80000000, v32 :: v_dual_fmac_f32 v3, v30, v34
	v_dual_fmac_f32 v25, v29, v32 :: v_dual_fmac_f32 v22, v30, v33
	s_delay_alu instid0(VALU_DEP_4) | instskip(NEXT) | instid1(VALU_DEP_3)
	v_fmac_f32_e32 v23, 0, v33
	v_fmac_f32_e32 v26, v19, v33
	s_delay_alu instid0(VALU_DEP_3)
	v_fmac_f32_e32 v25, 0, v33
	v_fmac_f32_e32 v24, v18, v33
	v_fmac_f32_e32 v22, 0x80000000, v34
	v_fmac_f32_e32 v23, v18, v34
	s_wait_loadcnt 0x1
	v_dual_fmac_f32 v26, 0x80000000, v34 :: v_dual_fmac_f32 v3, 0, v35
	v_fmac_f32_e32 v25, v19, v34
	v_fmac_f32_e32 v24, 0x80000000, v34
	;; [unrolled: 1-line block ×4, first 2 shown]
	s_wait_loadcnt 0x0
	v_dual_fmac_f32 v26, v37, v35 :: v_dual_fmac_f32 v3, v20, v36
	v_fmac_f32_e32 v24, v21, v35
	v_dual_fmac_f32 v25, 0, v35 :: v_dual_fmac_f32 v22, 0x80000000, v36
	v_fmac_f32_e32 v23, v21, v36
	s_delay_alu instid0(VALU_DEP_4) | instskip(NEXT) | instid1(VALU_DEP_4)
	v_fmac_f32_e32 v26, 0x80000000, v36
	v_fmac_f32_e32 v24, 0x80000000, v36
	s_delay_alu instid0(VALU_DEP_4)
	v_fmac_f32_e32 v25, v37, v36
	s_wait_alu 0xfffe
	s_and_not1_b32 exec_lo, exec_lo, s2
	s_cbranch_execnz .LBB132_22
; %bb.23:
	s_or_b32 exec_lo, exec_lo, s2
.LBB132_24:
	s_wait_alu 0xfffe
	s_or_b32 exec_lo, exec_lo, s3
.LBB132_25:
	v_mbcnt_lo_u32_b32 v1, -1, 0
	s_delay_alu instid0(VALU_DEP_1) | instskip(SKIP_2) | instid1(VALU_DEP_3)
	v_xor_b32_e32 v2, 8, v1
	v_xor_b32_e32 v15, 4, v1
	;; [unrolled: 1-line block ×3, first 2 shown]
	v_cmp_gt_i32_e32 vcc_lo, 32, v2
	s_wait_alu 0xfffd
	v_cndmask_b32_e32 v2, v1, v2, vcc_lo
	v_cmp_gt_i32_e32 vcc_lo, 32, v15
	s_wait_alu 0xfffd
	v_cndmask_b32_e32 v15, v1, v15, vcc_lo
	v_cmp_gt_i32_e32 vcc_lo, 32, v20
	s_delay_alu instid0(VALU_DEP_2)
	v_lshlrev_b32_e32 v15, 2, v15
	v_lshlrev_b32_e32 v2, 2, v2
	s_wait_alu 0xfffd
	v_cndmask_b32_e32 v20, v1, v20, vcc_lo
	ds_bpermute_b32 v11, v2, v3
	s_wait_dscnt 0x0
	v_add_f32_e32 v3, v3, v11
	ds_bpermute_b32 v12, v2, v24
	ds_bpermute_b32 v10, v2, v22
	;; [unrolled: 1-line block ×6, first 2 shown]
	s_wait_dscnt 0x4
	v_dual_add_f32 v11, v24, v12 :: v_dual_add_f32 v10, v22, v10
	s_wait_dscnt 0x2
	v_dual_add_f32 v12, v23, v13 :: v_dual_add_f32 v13, v26, v14
	;; [unrolled: 2-line block ×3, first 2 shown]
	ds_bpermute_b32 v17, v15, v11
	ds_bpermute_b32 v14, v15, v10
	;; [unrolled: 1-line block ×5, first 2 shown]
	s_wait_dscnt 0x4
	v_dual_add_f32 v11, v11, v17 :: v_dual_lshlrev_b32 v20, 2, v20
	s_wait_dscnt 0x3
	v_add_f32_e32 v10, v10, v14
	s_wait_dscnt 0x1
	v_dual_add_f32 v12, v12, v18 :: v_dual_add_f32 v13, v13, v19
	ds_bpermute_b32 v16, v20, v11
	s_wait_dscnt 0x1
	v_add_f32_e32 v14, v2, v15
	ds_bpermute_b32 v2, v20, v10
	ds_bpermute_b32 v15, v20, v3
	ds_bpermute_b32 v17, v20, v12
	ds_bpermute_b32 v18, v20, v13
	ds_bpermute_b32 v19, v20, v14
	v_xor_b32_e32 v20, 1, v1
	s_delay_alu instid0(VALU_DEP_1) | instskip(SKIP_4) | instid1(VALU_DEP_2)
	v_cmp_gt_i32_e32 vcc_lo, 32, v20
	s_wait_alu 0xfffd
	v_cndmask_b32_e32 v1, v1, v20, vcc_lo
	v_cmp_eq_u32_e32 vcc_lo, 15, v0
	s_wait_dscnt 0x4
	v_dual_add_f32 v1, v10, v2 :: v_dual_lshlrev_b32 v20, 2, v1
	s_wait_dscnt 0x3
	v_add_f32_e32 v2, v3, v15
	s_wait_dscnt 0x2
	v_dual_add_f32 v3, v11, v16 :: v_dual_add_f32 v10, v12, v17
	s_wait_dscnt 0x0
	v_dual_add_f32 v11, v13, v18 :: v_dual_add_f32 v12, v14, v19
	ds_bpermute_b32 v13, v20, v1
	ds_bpermute_b32 v14, v20, v2
	;; [unrolled: 1-line block ×6, first 2 shown]
	s_and_b32 exec_lo, exec_lo, vcc_lo
	s_cbranch_execz .LBB132_8
; %bb.26:
	s_load_b64 s[2:3], s[0:1], 0x58
	s_wait_dscnt 0x5
	v_add_f32_e32 v13, v1, v13
	s_wait_dscnt 0x3
	v_dual_add_f32 v1, v2, v14 :: v_dual_add_f32 v14, v3, v15
	s_wait_dscnt 0x2
	v_add_f32_e32 v3, v10, v16
	v_cmp_eq_f32_e32 vcc_lo, 0, v4
	v_cmp_eq_f32_e64 s0, 0, v5
	v_mul_f32_e64 v0, v1, -v7
	v_mul_f32_e32 v1, v6, v1
	v_mul_f32_e64 v2, v3, -v7
	s_wait_dscnt 0x1
	v_add_f32_e32 v15, v11, v17
	s_wait_dscnt 0x0
	v_dual_add_f32 v11, v12, v18 :: v_dual_fmac_f32 v0, v6, v13
	v_mul_f32_e32 v3, v6, v3
	v_fmac_f32_e32 v2, v6, v14
	s_and_b32 s0, vcc_lo, s0
	s_delay_alu instid0(VALU_DEP_3) | instskip(SKIP_2) | instid1(VALU_DEP_3)
	v_mul_f32_e64 v10, v11, -v7
	v_mul_f32_e32 v11, v6, v11
	v_fmac_f32_e32 v1, v7, v13
	v_dual_fmac_f32 v3, v7, v14 :: v_dual_fmac_f32 v10, v6, v15
	s_delay_alu instid0(VALU_DEP_3)
	v_fmac_f32_e32 v11, v7, v15
	s_wait_alu 0xfffe
	s_and_saveexec_b32 s1, s0
	s_wait_alu 0xfffe
	s_xor_b32 s0, exec_lo, s1
	s_cbranch_execz .LBB132_28
; %bb.27:
	s_wait_kmcnt 0x0
	v_mad_co_u64_u32 v[4:5], null, v8, 24, s[2:3]
	s_delay_alu instid0(VALU_DEP_1)
	v_mad_co_u64_u32 v[5:6], null, v9, 24, v[5:6]
                                        ; implicit-def: $vgpr8_vgpr9
	s_clause 0x1
	global_store_b128 v[4:5], v[0:3], off
	global_store_b64 v[4:5], v[10:11], off offset:16
                                        ; implicit-def: $vgpr4_vgpr5
                                        ; implicit-def: $vgpr0
                                        ; implicit-def: $vgpr10
.LBB132_28:
	s_wait_alu 0xfffe
	s_and_not1_saveexec_b32 s0, s0
	s_cbranch_execz .LBB132_8
; %bb.29:
	s_wait_kmcnt 0x0
	v_mad_co_u64_u32 v[12:13], null, v8, 24, s[2:3]
	s_delay_alu instid0(VALU_DEP_1) | instskip(NEXT) | instid1(VALU_DEP_1)
	v_mov_b32_e32 v6, v13
	v_mad_co_u64_u32 v[6:7], null, v9, 24, v[6:7]
	s_delay_alu instid0(VALU_DEP_1)
	v_mov_b32_e32 v13, v6
	s_clause 0x1
	global_load_b128 v[6:9], v[12:13], off
	global_load_b64 v[14:15], v[12:13], off offset:16
	s_wait_loadcnt 0x1
	v_fmac_f32_e32 v0, v4, v6
	v_dual_fmac_f32 v1, v5, v6 :: v_dual_fmac_f32 v2, v4, v8
	s_wait_loadcnt 0x0
	v_dual_fmac_f32 v3, v5, v8 :: v_dual_fmac_f32 v10, v4, v14
	v_fmac_f32_e32 v11, v5, v14
	v_fma_f32 v0, -v5, v7, v0
	v_fmac_f32_e32 v1, v4, v7
	v_fma_f32 v2, -v5, v9, v2
	;; [unrolled: 2-line block ×3, first 2 shown]
	v_fmac_f32_e32 v11, v4, v15
	s_clause 0x1
	global_store_b128 v[12:13], v[0:3], off
	global_store_b64 v[12:13], v[10:11], off offset:16
	s_endpgm
	.section	.rodata,"a",@progbits
	.p2align	6, 0x0
	.amdhsa_kernel _ZN9rocsparseL18bsrxmvn_3x3_kernelILj256ELj16E21rocsparse_complex_numIfEllfS2_S2_EEvT3_20rocsparse_direction_NS_24const_host_device_scalarIT1_EES3_PKS3_PKT2_SC_S9_PKT4_PKT5_S7_PT6_21rocsparse_index_base_b
		.amdhsa_group_segment_fixed_size 0
		.amdhsa_private_segment_fixed_size 0
		.amdhsa_kernarg_size 104
		.amdhsa_user_sgpr_count 2
		.amdhsa_user_sgpr_dispatch_ptr 0
		.amdhsa_user_sgpr_queue_ptr 0
		.amdhsa_user_sgpr_kernarg_segment_ptr 1
		.amdhsa_user_sgpr_dispatch_id 0
		.amdhsa_user_sgpr_private_segment_size 0
		.amdhsa_wavefront_size32 1
		.amdhsa_uses_dynamic_stack 0
		.amdhsa_enable_private_segment 0
		.amdhsa_system_sgpr_workgroup_id_x 1
		.amdhsa_system_sgpr_workgroup_id_y 0
		.amdhsa_system_sgpr_workgroup_id_z 0
		.amdhsa_system_sgpr_workgroup_info 0
		.amdhsa_system_vgpr_workitem_id 0
		.amdhsa_next_free_vgpr 42
		.amdhsa_next_free_sgpr 12
		.amdhsa_reserve_vcc 1
		.amdhsa_float_round_mode_32 0
		.amdhsa_float_round_mode_16_64 0
		.amdhsa_float_denorm_mode_32 3
		.amdhsa_float_denorm_mode_16_64 3
		.amdhsa_fp16_overflow 0
		.amdhsa_workgroup_processor_mode 1
		.amdhsa_memory_ordered 1
		.amdhsa_forward_progress 1
		.amdhsa_inst_pref_size 21
		.amdhsa_round_robin_scheduling 0
		.amdhsa_exception_fp_ieee_invalid_op 0
		.amdhsa_exception_fp_denorm_src 0
		.amdhsa_exception_fp_ieee_div_zero 0
		.amdhsa_exception_fp_ieee_overflow 0
		.amdhsa_exception_fp_ieee_underflow 0
		.amdhsa_exception_fp_ieee_inexact 0
		.amdhsa_exception_int_div_zero 0
	.end_amdhsa_kernel
	.section	.text._ZN9rocsparseL18bsrxmvn_3x3_kernelILj256ELj16E21rocsparse_complex_numIfEllfS2_S2_EEvT3_20rocsparse_direction_NS_24const_host_device_scalarIT1_EES3_PKS3_PKT2_SC_S9_PKT4_PKT5_S7_PT6_21rocsparse_index_base_b,"axG",@progbits,_ZN9rocsparseL18bsrxmvn_3x3_kernelILj256ELj16E21rocsparse_complex_numIfEllfS2_S2_EEvT3_20rocsparse_direction_NS_24const_host_device_scalarIT1_EES3_PKS3_PKT2_SC_S9_PKT4_PKT5_S7_PT6_21rocsparse_index_base_b,comdat
.Lfunc_end132:
	.size	_ZN9rocsparseL18bsrxmvn_3x3_kernelILj256ELj16E21rocsparse_complex_numIfEllfS2_S2_EEvT3_20rocsparse_direction_NS_24const_host_device_scalarIT1_EES3_PKS3_PKT2_SC_S9_PKT4_PKT5_S7_PT6_21rocsparse_index_base_b, .Lfunc_end132-_ZN9rocsparseL18bsrxmvn_3x3_kernelILj256ELj16E21rocsparse_complex_numIfEllfS2_S2_EEvT3_20rocsparse_direction_NS_24const_host_device_scalarIT1_EES3_PKS3_PKT2_SC_S9_PKT4_PKT5_S7_PT6_21rocsparse_index_base_b
                                        ; -- End function
	.set _ZN9rocsparseL18bsrxmvn_3x3_kernelILj256ELj16E21rocsparse_complex_numIfEllfS2_S2_EEvT3_20rocsparse_direction_NS_24const_host_device_scalarIT1_EES3_PKS3_PKT2_SC_S9_PKT4_PKT5_S7_PT6_21rocsparse_index_base_b.num_vgpr, 42
	.set _ZN9rocsparseL18bsrxmvn_3x3_kernelILj256ELj16E21rocsparse_complex_numIfEllfS2_S2_EEvT3_20rocsparse_direction_NS_24const_host_device_scalarIT1_EES3_PKS3_PKT2_SC_S9_PKT4_PKT5_S7_PT6_21rocsparse_index_base_b.num_agpr, 0
	.set _ZN9rocsparseL18bsrxmvn_3x3_kernelILj256ELj16E21rocsparse_complex_numIfEllfS2_S2_EEvT3_20rocsparse_direction_NS_24const_host_device_scalarIT1_EES3_PKS3_PKT2_SC_S9_PKT4_PKT5_S7_PT6_21rocsparse_index_base_b.numbered_sgpr, 12
	.set _ZN9rocsparseL18bsrxmvn_3x3_kernelILj256ELj16E21rocsparse_complex_numIfEllfS2_S2_EEvT3_20rocsparse_direction_NS_24const_host_device_scalarIT1_EES3_PKS3_PKT2_SC_S9_PKT4_PKT5_S7_PT6_21rocsparse_index_base_b.num_named_barrier, 0
	.set _ZN9rocsparseL18bsrxmvn_3x3_kernelILj256ELj16E21rocsparse_complex_numIfEllfS2_S2_EEvT3_20rocsparse_direction_NS_24const_host_device_scalarIT1_EES3_PKS3_PKT2_SC_S9_PKT4_PKT5_S7_PT6_21rocsparse_index_base_b.private_seg_size, 0
	.set _ZN9rocsparseL18bsrxmvn_3x3_kernelILj256ELj16E21rocsparse_complex_numIfEllfS2_S2_EEvT3_20rocsparse_direction_NS_24const_host_device_scalarIT1_EES3_PKS3_PKT2_SC_S9_PKT4_PKT5_S7_PT6_21rocsparse_index_base_b.uses_vcc, 1
	.set _ZN9rocsparseL18bsrxmvn_3x3_kernelILj256ELj16E21rocsparse_complex_numIfEllfS2_S2_EEvT3_20rocsparse_direction_NS_24const_host_device_scalarIT1_EES3_PKS3_PKT2_SC_S9_PKT4_PKT5_S7_PT6_21rocsparse_index_base_b.uses_flat_scratch, 0
	.set _ZN9rocsparseL18bsrxmvn_3x3_kernelILj256ELj16E21rocsparse_complex_numIfEllfS2_S2_EEvT3_20rocsparse_direction_NS_24const_host_device_scalarIT1_EES3_PKS3_PKT2_SC_S9_PKT4_PKT5_S7_PT6_21rocsparse_index_base_b.has_dyn_sized_stack, 0
	.set _ZN9rocsparseL18bsrxmvn_3x3_kernelILj256ELj16E21rocsparse_complex_numIfEllfS2_S2_EEvT3_20rocsparse_direction_NS_24const_host_device_scalarIT1_EES3_PKS3_PKT2_SC_S9_PKT4_PKT5_S7_PT6_21rocsparse_index_base_b.has_recursion, 0
	.set _ZN9rocsparseL18bsrxmvn_3x3_kernelILj256ELj16E21rocsparse_complex_numIfEllfS2_S2_EEvT3_20rocsparse_direction_NS_24const_host_device_scalarIT1_EES3_PKS3_PKT2_SC_S9_PKT4_PKT5_S7_PT6_21rocsparse_index_base_b.has_indirect_call, 0
	.section	.AMDGPU.csdata,"",@progbits
; Kernel info:
; codeLenInByte = 2672
; TotalNumSgprs: 14
; NumVgprs: 42
; ScratchSize: 0
; MemoryBound: 0
; FloatMode: 240
; IeeeMode: 1
; LDSByteSize: 0 bytes/workgroup (compile time only)
; SGPRBlocks: 0
; VGPRBlocks: 5
; NumSGPRsForWavesPerEU: 14
; NumVGPRsForWavesPerEU: 42
; Occupancy: 16
; WaveLimiterHint : 1
; COMPUTE_PGM_RSRC2:SCRATCH_EN: 0
; COMPUTE_PGM_RSRC2:USER_SGPR: 2
; COMPUTE_PGM_RSRC2:TRAP_HANDLER: 0
; COMPUTE_PGM_RSRC2:TGID_X_EN: 1
; COMPUTE_PGM_RSRC2:TGID_Y_EN: 0
; COMPUTE_PGM_RSRC2:TGID_Z_EN: 0
; COMPUTE_PGM_RSRC2:TIDIG_COMP_CNT: 0
	.section	.text._ZN9rocsparseL18bsrxmvn_3x3_kernelILj256ELj32E21rocsparse_complex_numIfEllfS2_S2_EEvT3_20rocsparse_direction_NS_24const_host_device_scalarIT1_EES3_PKS3_PKT2_SC_S9_PKT4_PKT5_S7_PT6_21rocsparse_index_base_b,"axG",@progbits,_ZN9rocsparseL18bsrxmvn_3x3_kernelILj256ELj32E21rocsparse_complex_numIfEllfS2_S2_EEvT3_20rocsparse_direction_NS_24const_host_device_scalarIT1_EES3_PKS3_PKT2_SC_S9_PKT4_PKT5_S7_PT6_21rocsparse_index_base_b,comdat
	.globl	_ZN9rocsparseL18bsrxmvn_3x3_kernelILj256ELj32E21rocsparse_complex_numIfEllfS2_S2_EEvT3_20rocsparse_direction_NS_24const_host_device_scalarIT1_EES3_PKS3_PKT2_SC_S9_PKT4_PKT5_S7_PT6_21rocsparse_index_base_b ; -- Begin function _ZN9rocsparseL18bsrxmvn_3x3_kernelILj256ELj32E21rocsparse_complex_numIfEllfS2_S2_EEvT3_20rocsparse_direction_NS_24const_host_device_scalarIT1_EES3_PKS3_PKT2_SC_S9_PKT4_PKT5_S7_PT6_21rocsparse_index_base_b
	.p2align	8
	.type	_ZN9rocsparseL18bsrxmvn_3x3_kernelILj256ELj32E21rocsparse_complex_numIfEllfS2_S2_EEvT3_20rocsparse_direction_NS_24const_host_device_scalarIT1_EES3_PKS3_PKT2_SC_S9_PKT4_PKT5_S7_PT6_21rocsparse_index_base_b,@function
_ZN9rocsparseL18bsrxmvn_3x3_kernelILj256ELj32E21rocsparse_complex_numIfEllfS2_S2_EEvT3_20rocsparse_direction_NS_24const_host_device_scalarIT1_EES3_PKS3_PKT2_SC_S9_PKT4_PKT5_S7_PT6_21rocsparse_index_base_b: ; @_ZN9rocsparseL18bsrxmvn_3x3_kernelILj256ELj32E21rocsparse_complex_numIfEllfS2_S2_EEvT3_20rocsparse_direction_NS_24const_host_device_scalarIT1_EES3_PKS3_PKT2_SC_S9_PKT4_PKT5_S7_PT6_21rocsparse_index_base_b
; %bb.0:
	s_clause 0x2
	s_load_b64 s[8:9], s[0:1], 0x60
	s_load_b128 s[4:7], s[0:1], 0x10
	s_load_b64 s[2:3], s[0:1], 0x50
	s_add_nc_u64 s[10:11], s[0:1], 16
	s_wait_kmcnt 0x0
	s_bitcmp1_b32 s9, 0
	s_cselect_b32 s4, s10, s4
	s_cselect_b32 s5, s11, s5
	s_delay_alu instid0(SALU_CYCLE_1)
	v_dual_mov_b32 v1, s4 :: v_dual_mov_b32 v2, s5
	s_add_nc_u64 s[4:5], s[0:1], 0x50
	s_wait_alu 0xfffe
	s_cselect_b32 s2, s4, s2
	s_cselect_b32 s3, s5, s3
	flat_load_b64 v[6:7], v[1:2]
	v_dual_mov_b32 v1, s2 :: v_dual_mov_b32 v2, s3
	flat_load_b64 v[4:5], v[1:2]
	s_wait_loadcnt_dscnt 0x101
	v_cmp_eq_f32_e32 vcc_lo, 0, v6
	v_cmp_eq_f32_e64 s2, 0, v7
	s_and_b32 s4, vcc_lo, s2
	s_mov_b32 s2, -1
	s_wait_alu 0xfffe
	s_and_saveexec_b32 s3, s4
	s_cbranch_execz .LBB133_2
; %bb.1:
	s_wait_loadcnt_dscnt 0x0
	v_cmp_neq_f32_e32 vcc_lo, 1.0, v4
	v_cmp_neq_f32_e64 s2, 0, v5
	s_or_b32 s2, vcc_lo, s2
	s_wait_alu 0xfffe
	s_or_not1_b32 s2, s2, exec_lo
.LBB133_2:
	s_wait_alu 0xfffe
	s_or_b32 exec_lo, exec_lo, s3
	s_and_saveexec_b32 s3, s2
	s_cbranch_execz .LBB133_8
; %bb.3:
	s_load_b64 s[2:3], s[0:1], 0x20
	v_lshrrev_b32_e32 v1, 5, v0
	v_mov_b32_e32 v11, 0
	s_delay_alu instid0(VALU_DEP_2)
	v_lshl_or_b32 v10, ttmp9, 3, v1
	s_wait_kmcnt 0x0
	s_cmp_lg_u64 s[2:3], 0
	s_cbranch_scc0 .LBB133_9
; %bb.4:
	s_delay_alu instid0(VALU_DEP_1)
	v_cmp_gt_i64_e32 vcc_lo, s[6:7], v[10:11]
	s_mov_b32 s5, 0
	s_mov_b32 s4, 0
                                        ; implicit-def: $vgpr8_vgpr9
                                        ; implicit-def: $vgpr1_vgpr2
	s_and_saveexec_b32 s6, vcc_lo
	s_wait_alu 0xfffe
	s_xor_b32 s6, exec_lo, s6
	s_cbranch_execz .LBB133_6
; %bb.5:
	v_lshlrev_b64_e32 v[1:2], 3, v[10:11]
	s_mov_b32 s9, 0
	s_mov_b32 s4, exec_lo
	s_delay_alu instid0(VALU_DEP_1) | instskip(NEXT) | instid1(VALU_DEP_1)
	v_add_co_u32 v1, vcc_lo, s2, v1
	v_add_co_ci_u32_e64 v2, null, s3, v2, vcc_lo
	global_load_b64 v[1:2], v[1:2], off
	s_wait_loadcnt 0x0
	v_sub_co_u32 v8, vcc_lo, v1, s8
	s_wait_alu 0xfffd
	v_subrev_co_ci_u32_e64 v9, null, 0, v2, vcc_lo
	v_dual_mov_b32 v1, s8 :: v_dual_mov_b32 v2, s9
.LBB133_6:
	s_wait_alu 0xfffe
	s_or_b32 exec_lo, exec_lo, s6
	s_delay_alu instid0(SALU_CYCLE_1)
	s_and_b32 vcc_lo, exec_lo, s5
	s_wait_alu 0xfffe
	s_cbranch_vccnz .LBB133_10
.LBB133_7:
	s_wait_alu 0xfffe
	s_and_b32 exec_lo, exec_lo, s4
	s_cbranch_execnz .LBB133_13
.LBB133_8:
	s_endpgm
.LBB133_9:
	s_mov_b32 s4, 0
                                        ; implicit-def: $vgpr8_vgpr9
                                        ; implicit-def: $vgpr1_vgpr2
	s_cbranch_execz .LBB133_7
.LBB133_10:
	s_load_b64 s[2:3], s[0:1], 0x0
	s_wait_kmcnt 0x0
	v_cmp_gt_i64_e32 vcc_lo, s[2:3], v[10:11]
	s_and_saveexec_b32 s2, vcc_lo
; %bb.11:
	s_mov_b32 s9, 0
	s_or_b32 s4, s4, exec_lo
; %bb.12:
	s_wait_alu 0xfffe
	s_or_b32 exec_lo, exec_lo, s2
	v_dual_mov_b32 v1, s8 :: v_dual_mov_b32 v2, s9
	v_dual_mov_b32 v8, v10 :: v_dual_mov_b32 v9, v11
	s_and_b32 exec_lo, exec_lo, s4
	s_cbranch_execz .LBB133_8
.LBB133_13:
	s_load_b256 s[4:11], s[0:1], 0x28
	s_delay_alu instid0(VALU_DEP_1) | instskip(SKIP_2) | instid1(VALU_DEP_2)
	v_lshlrev_b64_e32 v[10:11], 3, v[8:9]
	v_and_b32_e32 v0, 31, v0
	s_wait_kmcnt 0x0
	v_add_co_u32 v12, vcc_lo, s4, v10
	s_wait_alu 0xfffd
	s_delay_alu instid0(VALU_DEP_3)
	v_add_co_ci_u32_e64 v13, null, s5, v11, vcc_lo
	v_add_co_u32 v3, vcc_lo, s6, v10
	s_wait_alu 0xfffd
	v_add_co_ci_u32_e64 v10, null, s7, v11, vcc_lo
	global_load_b64 v[14:15], v[12:13], off
	v_add_co_u32 v12, vcc_lo, v12, 8
	s_wait_alu 0xfffd
	v_add_co_ci_u32_e64 v11, null, 0, v13, vcc_lo
	s_cmp_eq_u64 s[6:7], 0
	s_cselect_b32 vcc_lo, -1, 0
	s_wait_alu 0xfffe
	v_dual_cndmask_b32 v11, v10, v11 :: v_dual_cndmask_b32 v10, v3, v12
	global_load_b64 v[16:17], v[10:11], off
	s_clause 0x1
	s_load_b32 s3, s[0:1], 0x8
	s_load_b64 s[4:5], s[0:1], 0x48
	s_wait_kmcnt 0x0
	s_cmp_eq_u32 s3, 1
	s_wait_loadcnt 0x1
	v_sub_co_u32 v3, vcc_lo, v14, v1
	s_wait_alu 0xfffd
	v_sub_co_ci_u32_e64 v11, null, v15, v2, vcc_lo
	s_delay_alu instid0(VALU_DEP_2) | instskip(SKIP_1) | instid1(VALU_DEP_2)
	v_add_co_u32 v10, vcc_lo, v3, v0
	s_wait_alu 0xfffd
	v_add_co_ci_u32_e64 v11, null, 0, v11, vcc_lo
	s_delay_alu instid0(VALU_DEP_2) | instskip(NEXT) | instid1(VALU_DEP_1)
	v_mad_co_u64_u32 v[12:13], null, v10, 36, s[10:11]
	v_mov_b32_e32 v3, v13
	s_wait_dscnt 0x0
	s_delay_alu instid0(VALU_DEP_1)
	v_mad_co_u64_u32 v[13:14], null, v11, 36, v[3:4]
	s_wait_loadcnt 0x0
	v_sub_co_u32 v14, vcc_lo, v16, v1
	s_wait_alu 0xfffd
	v_sub_co_ci_u32_e64 v15, null, v17, v2, vcc_lo
	v_mov_b32_e32 v3, 0
	s_delay_alu instid0(VALU_DEP_2)
	v_cmp_lt_i64_e64 s2, v[10:11], v[14:15]
	s_cbranch_scc1 .LBB133_19
; %bb.14:
	v_dual_mov_b32 v22, 0 :: v_dual_mov_b32 v23, 0
	v_dual_mov_b32 v24, 0 :: v_dual_mov_b32 v25, 0
	v_mov_b32_e32 v26, 0
	s_and_saveexec_b32 s3, s2
	s_cbranch_execz .LBB133_18
; %bb.15:
	v_lshlrev_b64_e32 v[18:19], 3, v[10:11]
	v_mov_b32_e32 v17, v11
	v_dual_mov_b32 v21, v13 :: v_dual_mov_b32 v22, 0
	v_dual_mov_b32 v3, 0 :: v_dual_mov_b32 v16, v10
	s_delay_alu instid0(VALU_DEP_4)
	v_add_co_u32 v18, vcc_lo, s8, v18
	s_wait_alu 0xfffd
	v_add_co_ci_u32_e64 v19, null, s9, v19, vcc_lo
	v_dual_mov_b32 v20, v12 :: v_dual_mov_b32 v23, 0
	v_dual_mov_b32 v24, 0 :: v_dual_mov_b32 v25, 0
	v_mov_b32_e32 v26, 0
	s_mov_b32 s6, 0
.LBB133_16:                             ; =>This Inner Loop Header: Depth=1
	global_load_b64 v[35:36], v[18:19], off
	s_clause 0x1
	global_load_b128 v[27:30], v[20:21], off offset:16
	global_load_b128 v[31:34], v[20:21], off
	s_wait_loadcnt 0x2
	v_sub_co_u32 v35, vcc_lo, v35, v1
	s_wait_alu 0xfffd
	v_sub_co_ci_u32_e64 v36, null, v36, v2, vcc_lo
	s_delay_alu instid0(VALU_DEP_2) | instskip(NEXT) | instid1(VALU_DEP_1)
	v_mad_co_u64_u32 v[39:40], null, v35, 24, s[4:5]
	v_mov_b32_e32 v35, v40
	s_delay_alu instid0(VALU_DEP_1) | instskip(NEXT) | instid1(VALU_DEP_1)
	v_mad_co_u64_u32 v[35:36], null, v36, 24, v[35:36]
	v_mov_b32_e32 v40, v35
	s_clause 0x1
	global_load_b128 v[35:38], v[39:40], off
	global_load_b64 v[39:40], v[39:40], off offset:16
	global_load_b32 v41, v[20:21], off offset:32
	v_add_co_u32 v20, vcc_lo, 0x480, v20
	s_wait_alu 0xfffd
	v_add_co_ci_u32_e64 v21, null, 0, v21, vcc_lo
	v_add_co_u32 v16, vcc_lo, v16, 32
	s_wait_alu 0xfffd
	v_add_co_ci_u32_e64 v17, null, 0, v17, vcc_lo
	;; [unrolled: 3-line block ×3, first 2 shown]
	s_delay_alu instid0(VALU_DEP_3) | instskip(SKIP_4) | instid1(VALU_DEP_1)
	v_cmp_ge_i64_e32 vcc_lo, v[16:17], v[14:15]
	s_wait_alu 0xfffe
	s_or_b32 s6, vcc_lo, s6
	s_wait_loadcnt 0x2
	v_fmac_f32_e32 v3, 0, v35
	v_dual_fmac_f32 v24, v34, v35 :: v_dual_fmac_f32 v3, v31, v36
	s_delay_alu instid0(VALU_DEP_1) | instskip(SKIP_1) | instid1(VALU_DEP_3)
	v_dual_fmac_f32 v23, 0, v35 :: v_dual_fmac_f32 v24, 0x80000000, v36
	v_fmac_f32_e32 v22, v31, v35
	v_dual_fmac_f32 v26, v29, v35 :: v_dual_fmac_f32 v3, 0, v37
	v_fmac_f32_e32 v25, 0, v35
	s_delay_alu instid0(VALU_DEP_4) | instskip(NEXT) | instid1(VALU_DEP_4)
	v_fmac_f32_e32 v23, v34, v36
	v_fmac_f32_e32 v22, 0x80000000, v36
	s_delay_alu instid0(VALU_DEP_4) | instskip(SKIP_1) | instid1(VALU_DEP_3)
	v_fmac_f32_e32 v26, 0x80000000, v36
	v_dual_fmac_f32 v24, v27, v37 :: v_dual_fmac_f32 v3, v32, v38
	v_dual_fmac_f32 v25, v29, v36 :: v_dual_fmac_f32 v22, v32, v37
	s_delay_alu instid0(VALU_DEP_2) | instskip(SKIP_1) | instid1(VALU_DEP_3)
	v_dual_fmac_f32 v23, 0, v37 :: v_dual_fmac_f32 v24, 0x80000000, v38
	s_wait_loadcnt 0x1
	v_fmac_f32_e32 v3, 0, v39
	s_delay_alu instid0(VALU_DEP_3) | instskip(NEXT) | instid1(VALU_DEP_3)
	v_dual_fmac_f32 v25, 0, v37 :: v_dual_fmac_f32 v22, 0x80000000, v38
	v_dual_fmac_f32 v26, v30, v37 :: v_dual_fmac_f32 v23, v27, v38
	s_delay_alu instid0(VALU_DEP_3) | instskip(NEXT) | instid1(VALU_DEP_3)
	v_dual_fmac_f32 v24, v28, v39 :: v_dual_fmac_f32 v3, v33, v40
	v_dual_fmac_f32 v25, v30, v38 :: v_dual_fmac_f32 v22, v33, v39
	s_delay_alu instid0(VALU_DEP_3) | instskip(NEXT) | instid1(VALU_DEP_2)
	v_dual_fmac_f32 v26, 0x80000000, v38 :: v_dual_fmac_f32 v23, 0, v39
	v_dual_fmac_f32 v24, 0x80000000, v40 :: v_dual_fmac_f32 v25, 0, v39
	s_delay_alu instid0(VALU_DEP_3) | instskip(SKIP_1) | instid1(VALU_DEP_3)
	v_fmac_f32_e32 v22, 0x80000000, v40
	s_wait_loadcnt 0x0
	v_dual_fmac_f32 v26, v41, v39 :: v_dual_fmac_f32 v23, v28, v40
	s_delay_alu instid0(VALU_DEP_3) | instskip(NEXT) | instid1(VALU_DEP_2)
	v_fmac_f32_e32 v25, v41, v40
	v_fmac_f32_e32 v26, 0x80000000, v40
	s_wait_alu 0xfffe
	s_and_not1_b32 exec_lo, exec_lo, s6
	s_cbranch_execnz .LBB133_16
; %bb.17:
	s_or_b32 exec_lo, exec_lo, s6
.LBB133_18:
	s_wait_alu 0xfffe
	s_or_b32 exec_lo, exec_lo, s3
	s_cbranch_execz .LBB133_20
	s_branch .LBB133_25
.LBB133_19:
                                        ; implicit-def: $vgpr3
                                        ; implicit-def: $vgpr22
                                        ; implicit-def: $vgpr23
                                        ; implicit-def: $vgpr24
                                        ; implicit-def: $vgpr25
                                        ; implicit-def: $vgpr26
.LBB133_20:
	v_dual_mov_b32 v3, 0 :: v_dual_mov_b32 v22, 0
	v_dual_mov_b32 v23, 0 :: v_dual_mov_b32 v24, 0
	;; [unrolled: 1-line block ×3, first 2 shown]
	s_and_saveexec_b32 s3, s2
	s_cbranch_execz .LBB133_24
; %bb.21:
	v_lshlrev_b64_e32 v[16:17], 3, v[10:11]
	v_dual_mov_b32 v3, 0 :: v_dual_mov_b32 v22, 0
	v_dual_mov_b32 v23, 0 :: v_dual_mov_b32 v24, 0
	;; [unrolled: 1-line block ×3, first 2 shown]
	s_delay_alu instid0(VALU_DEP_4)
	v_add_co_u32 v16, vcc_lo, s8, v16
	s_wait_alu 0xfffd
	v_add_co_ci_u32_e64 v17, null, s9, v17, vcc_lo
	s_mov_b32 s2, 0
.LBB133_22:                             ; =>This Inner Loop Header: Depth=1
	global_load_b64 v[31:32], v[16:17], off
	s_clause 0x1
	global_load_b128 v[18:21], v[12:13], off offset:16
	global_load_b128 v[27:30], v[12:13], off
	s_wait_loadcnt 0x2
	v_sub_co_u32 v31, vcc_lo, v31, v1
	s_wait_alu 0xfffd
	v_sub_co_ci_u32_e64 v32, null, v32, v2, vcc_lo
	s_delay_alu instid0(VALU_DEP_2) | instskip(NEXT) | instid1(VALU_DEP_1)
	v_mad_co_u64_u32 v[35:36], null, v31, 24, s[4:5]
	v_mov_b32_e32 v31, v36
	s_delay_alu instid0(VALU_DEP_1) | instskip(NEXT) | instid1(VALU_DEP_1)
	v_mad_co_u64_u32 v[31:32], null, v32, 24, v[31:32]
	v_mov_b32_e32 v36, v31
	s_clause 0x1
	global_load_b128 v[31:34], v[35:36], off
	global_load_b64 v[35:36], v[35:36], off offset:16
	global_load_b32 v37, v[12:13], off offset:32
	v_add_co_u32 v12, vcc_lo, 0x480, v12
	s_wait_alu 0xfffd
	v_add_co_ci_u32_e64 v13, null, 0, v13, vcc_lo
	v_add_co_u32 v10, vcc_lo, v10, 32
	s_wait_alu 0xfffd
	v_add_co_ci_u32_e64 v11, null, 0, v11, vcc_lo
	;; [unrolled: 3-line block ×3, first 2 shown]
	s_delay_alu instid0(VALU_DEP_3) | instskip(SKIP_4) | instid1(VALU_DEP_1)
	v_cmp_ge_i64_e32 vcc_lo, v[10:11], v[14:15]
	s_wait_alu 0xfffe
	s_or_b32 s2, vcc_lo, s2
	s_wait_loadcnt 0x2
	v_fmac_f32_e32 v3, 0, v31
	v_dual_fmac_f32 v24, v28, v31 :: v_dual_fmac_f32 v3, v27, v32
	s_delay_alu instid0(VALU_DEP_1) | instskip(SKIP_1) | instid1(VALU_DEP_3)
	v_dual_fmac_f32 v23, 0, v31 :: v_dual_fmac_f32 v24, 0x80000000, v32
	v_fmac_f32_e32 v22, v27, v31
	v_dual_fmac_f32 v26, v29, v31 :: v_dual_fmac_f32 v3, 0, v33
	v_fmac_f32_e32 v25, 0, v31
	s_delay_alu instid0(VALU_DEP_4) | instskip(NEXT) | instid1(VALU_DEP_4)
	v_fmac_f32_e32 v23, v28, v32
	v_fmac_f32_e32 v22, 0x80000000, v32
	s_delay_alu instid0(VALU_DEP_4) | instskip(NEXT) | instid1(VALU_DEP_2)
	v_dual_fmac_f32 v26, 0x80000000, v32 :: v_dual_fmac_f32 v3, v30, v34
	v_dual_fmac_f32 v25, v29, v32 :: v_dual_fmac_f32 v22, v30, v33
	s_delay_alu instid0(VALU_DEP_4) | instskip(NEXT) | instid1(VALU_DEP_3)
	v_fmac_f32_e32 v23, 0, v33
	v_fmac_f32_e32 v26, v19, v33
	s_delay_alu instid0(VALU_DEP_3)
	v_fmac_f32_e32 v25, 0, v33
	v_fmac_f32_e32 v24, v18, v33
	;; [unrolled: 1-line block ×4, first 2 shown]
	s_wait_loadcnt 0x1
	v_dual_fmac_f32 v26, 0x80000000, v34 :: v_dual_fmac_f32 v3, 0, v35
	v_fmac_f32_e32 v25, v19, v34
	v_fmac_f32_e32 v24, 0x80000000, v34
	;; [unrolled: 1-line block ×4, first 2 shown]
	s_wait_loadcnt 0x0
	v_dual_fmac_f32 v26, v37, v35 :: v_dual_fmac_f32 v3, v20, v36
	v_fmac_f32_e32 v24, v21, v35
	v_dual_fmac_f32 v25, 0, v35 :: v_dual_fmac_f32 v22, 0x80000000, v36
	v_fmac_f32_e32 v23, v21, v36
	s_delay_alu instid0(VALU_DEP_4) | instskip(NEXT) | instid1(VALU_DEP_4)
	v_fmac_f32_e32 v26, 0x80000000, v36
	v_fmac_f32_e32 v24, 0x80000000, v36
	s_delay_alu instid0(VALU_DEP_4)
	v_fmac_f32_e32 v25, v37, v36
	s_wait_alu 0xfffe
	s_and_not1_b32 exec_lo, exec_lo, s2
	s_cbranch_execnz .LBB133_22
; %bb.23:
	s_or_b32 exec_lo, exec_lo, s2
.LBB133_24:
	s_wait_alu 0xfffe
	s_or_b32 exec_lo, exec_lo, s3
.LBB133_25:
	v_mbcnt_lo_u32_b32 v1, -1, 0
	s_delay_alu instid0(VALU_DEP_1) | instskip(SKIP_2) | instid1(VALU_DEP_3)
	v_xor_b32_e32 v2, 16, v1
	v_xor_b32_e32 v15, 8, v1
	;; [unrolled: 1-line block ×3, first 2 shown]
	v_cmp_gt_i32_e32 vcc_lo, 32, v2
	s_wait_alu 0xfffd
	v_cndmask_b32_e32 v2, v1, v2, vcc_lo
	v_cmp_gt_i32_e32 vcc_lo, 32, v15
	s_wait_alu 0xfffd
	v_cndmask_b32_e32 v15, v1, v15, vcc_lo
	v_cmp_gt_i32_e32 vcc_lo, 32, v20
	s_delay_alu instid0(VALU_DEP_2)
	v_lshlrev_b32_e32 v15, 2, v15
	v_lshlrev_b32_e32 v2, 2, v2
	s_wait_alu 0xfffd
	v_cndmask_b32_e32 v20, v1, v20, vcc_lo
	ds_bpermute_b32 v11, v2, v3
	s_wait_dscnt 0x0
	v_add_f32_e32 v3, v3, v11
	ds_bpermute_b32 v12, v2, v24
	ds_bpermute_b32 v10, v2, v22
	;; [unrolled: 1-line block ×6, first 2 shown]
	s_wait_dscnt 0x4
	v_dual_add_f32 v11, v24, v12 :: v_dual_add_f32 v10, v22, v10
	s_wait_dscnt 0x2
	v_dual_add_f32 v12, v23, v13 :: v_dual_add_f32 v13, v26, v14
	;; [unrolled: 2-line block ×3, first 2 shown]
	ds_bpermute_b32 v17, v15, v11
	ds_bpermute_b32 v14, v15, v10
	;; [unrolled: 1-line block ×5, first 2 shown]
	s_wait_dscnt 0x4
	v_dual_add_f32 v11, v11, v17 :: v_dual_lshlrev_b32 v20, 2, v20
	s_wait_dscnt 0x1
	v_dual_add_f32 v10, v10, v14 :: v_dual_add_f32 v13, v13, v19
	ds_bpermute_b32 v16, v20, v11
	s_wait_dscnt 0x1
	v_add_f32_e32 v2, v2, v15
	ds_bpermute_b32 v15, v20, v3
	ds_bpermute_b32 v14, v20, v10
	v_add_f32_e32 v12, v12, v18
	ds_bpermute_b32 v18, v20, v13
	s_wait_dscnt 0x3
	v_add_f32_e32 v11, v11, v16
	ds_bpermute_b32 v19, v20, v2
	s_wait_dscnt 0x3
	v_add_f32_e32 v3, v3, v15
	ds_bpermute_b32 v17, v20, v12
	v_xor_b32_e32 v20, 2, v1
	s_wait_dscnt 0x3
	v_add_f32_e32 v10, v10, v14
	s_wait_dscnt 0x2
	v_add_f32_e32 v13, v13, v18
	v_cmp_gt_i32_e32 vcc_lo, 32, v20
	s_wait_alu 0xfffd
	v_cndmask_b32_e32 v20, v1, v20, vcc_lo
	s_delay_alu instid0(VALU_DEP_1)
	v_lshlrev_b32_e32 v20, 2, v20
	ds_bpermute_b32 v16, v20, v11
	s_wait_dscnt 0x1
	v_add_f32_e32 v12, v12, v17
	ds_bpermute_b32 v18, v20, v13
	v_add_f32_e32 v14, v2, v19
	ds_bpermute_b32 v2, v20, v10
	ds_bpermute_b32 v15, v20, v3
	;; [unrolled: 1-line block ×4, first 2 shown]
	v_xor_b32_e32 v20, 1, v1
	s_delay_alu instid0(VALU_DEP_1) | instskip(SKIP_4) | instid1(VALU_DEP_2)
	v_cmp_gt_i32_e32 vcc_lo, 32, v20
	s_wait_alu 0xfffd
	v_cndmask_b32_e32 v1, v1, v20, vcc_lo
	v_cmp_eq_u32_e32 vcc_lo, 31, v0
	s_wait_dscnt 0x3
	v_dual_add_f32 v1, v10, v2 :: v_dual_lshlrev_b32 v20, 2, v1
	s_wait_dscnt 0x2
	v_add_f32_e32 v2, v3, v15
	s_wait_dscnt 0x1
	v_dual_add_f32 v3, v11, v16 :: v_dual_add_f32 v10, v12, v17
	s_wait_dscnt 0x0
	v_dual_add_f32 v11, v13, v18 :: v_dual_add_f32 v12, v14, v19
	ds_bpermute_b32 v13, v20, v1
	ds_bpermute_b32 v14, v20, v2
	;; [unrolled: 1-line block ×6, first 2 shown]
	s_and_b32 exec_lo, exec_lo, vcc_lo
	s_cbranch_execz .LBB133_8
; %bb.26:
	s_load_b64 s[2:3], s[0:1], 0x58
	s_wait_dscnt 0x5
	v_add_f32_e32 v13, v1, v13
	s_wait_dscnt 0x3
	v_dual_add_f32 v1, v2, v14 :: v_dual_add_f32 v14, v3, v15
	s_wait_dscnt 0x2
	v_add_f32_e32 v3, v10, v16
	v_cmp_eq_f32_e32 vcc_lo, 0, v4
	v_cmp_eq_f32_e64 s0, 0, v5
	v_mul_f32_e64 v0, v1, -v7
	v_mul_f32_e32 v1, v6, v1
	v_mul_f32_e64 v2, v3, -v7
	s_wait_dscnt 0x1
	v_add_f32_e32 v15, v11, v17
	s_wait_dscnt 0x0
	v_dual_add_f32 v11, v12, v18 :: v_dual_fmac_f32 v0, v6, v13
	v_mul_f32_e32 v3, v6, v3
	v_fmac_f32_e32 v2, v6, v14
	s_and_b32 s0, vcc_lo, s0
	s_delay_alu instid0(VALU_DEP_3) | instskip(SKIP_2) | instid1(VALU_DEP_3)
	v_mul_f32_e64 v10, v11, -v7
	v_mul_f32_e32 v11, v6, v11
	v_fmac_f32_e32 v1, v7, v13
	v_dual_fmac_f32 v3, v7, v14 :: v_dual_fmac_f32 v10, v6, v15
	s_delay_alu instid0(VALU_DEP_3)
	v_fmac_f32_e32 v11, v7, v15
	s_wait_alu 0xfffe
	s_and_saveexec_b32 s1, s0
	s_wait_alu 0xfffe
	s_xor_b32 s0, exec_lo, s1
	s_cbranch_execz .LBB133_28
; %bb.27:
	s_wait_kmcnt 0x0
	v_mad_co_u64_u32 v[4:5], null, v8, 24, s[2:3]
	s_delay_alu instid0(VALU_DEP_1)
	v_mad_co_u64_u32 v[5:6], null, v9, 24, v[5:6]
                                        ; implicit-def: $vgpr8_vgpr9
	s_clause 0x1
	global_store_b128 v[4:5], v[0:3], off
	global_store_b64 v[4:5], v[10:11], off offset:16
                                        ; implicit-def: $vgpr4_vgpr5
                                        ; implicit-def: $vgpr0
                                        ; implicit-def: $vgpr10
.LBB133_28:
	s_wait_alu 0xfffe
	s_and_not1_saveexec_b32 s0, s0
	s_cbranch_execz .LBB133_8
; %bb.29:
	s_wait_kmcnt 0x0
	v_mad_co_u64_u32 v[12:13], null, v8, 24, s[2:3]
	s_delay_alu instid0(VALU_DEP_1) | instskip(NEXT) | instid1(VALU_DEP_1)
	v_mov_b32_e32 v6, v13
	v_mad_co_u64_u32 v[6:7], null, v9, 24, v[6:7]
	s_delay_alu instid0(VALU_DEP_1)
	v_mov_b32_e32 v13, v6
	s_clause 0x1
	global_load_b128 v[6:9], v[12:13], off
	global_load_b64 v[14:15], v[12:13], off offset:16
	s_wait_loadcnt 0x1
	v_fmac_f32_e32 v0, v4, v6
	v_dual_fmac_f32 v1, v5, v6 :: v_dual_fmac_f32 v2, v4, v8
	s_wait_loadcnt 0x0
	v_dual_fmac_f32 v3, v5, v8 :: v_dual_fmac_f32 v10, v4, v14
	v_fmac_f32_e32 v11, v5, v14
	v_fma_f32 v0, -v5, v7, v0
	v_fmac_f32_e32 v1, v4, v7
	v_fma_f32 v2, -v5, v9, v2
	;; [unrolled: 2-line block ×3, first 2 shown]
	v_fmac_f32_e32 v11, v4, v15
	s_clause 0x1
	global_store_b128 v[12:13], v[0:3], off
	global_store_b64 v[12:13], v[10:11], off offset:16
	s_endpgm
	.section	.rodata,"a",@progbits
	.p2align	6, 0x0
	.amdhsa_kernel _ZN9rocsparseL18bsrxmvn_3x3_kernelILj256ELj32E21rocsparse_complex_numIfEllfS2_S2_EEvT3_20rocsparse_direction_NS_24const_host_device_scalarIT1_EES3_PKS3_PKT2_SC_S9_PKT4_PKT5_S7_PT6_21rocsparse_index_base_b
		.amdhsa_group_segment_fixed_size 0
		.amdhsa_private_segment_fixed_size 0
		.amdhsa_kernarg_size 104
		.amdhsa_user_sgpr_count 2
		.amdhsa_user_sgpr_dispatch_ptr 0
		.amdhsa_user_sgpr_queue_ptr 0
		.amdhsa_user_sgpr_kernarg_segment_ptr 1
		.amdhsa_user_sgpr_dispatch_id 0
		.amdhsa_user_sgpr_private_segment_size 0
		.amdhsa_wavefront_size32 1
		.amdhsa_uses_dynamic_stack 0
		.amdhsa_enable_private_segment 0
		.amdhsa_system_sgpr_workgroup_id_x 1
		.amdhsa_system_sgpr_workgroup_id_y 0
		.amdhsa_system_sgpr_workgroup_id_z 0
		.amdhsa_system_sgpr_workgroup_info 0
		.amdhsa_system_vgpr_workitem_id 0
		.amdhsa_next_free_vgpr 42
		.amdhsa_next_free_sgpr 12
		.amdhsa_reserve_vcc 1
		.amdhsa_float_round_mode_32 0
		.amdhsa_float_round_mode_16_64 0
		.amdhsa_float_denorm_mode_32 3
		.amdhsa_float_denorm_mode_16_64 3
		.amdhsa_fp16_overflow 0
		.amdhsa_workgroup_processor_mode 1
		.amdhsa_memory_ordered 1
		.amdhsa_forward_progress 1
		.amdhsa_inst_pref_size 22
		.amdhsa_round_robin_scheduling 0
		.amdhsa_exception_fp_ieee_invalid_op 0
		.amdhsa_exception_fp_denorm_src 0
		.amdhsa_exception_fp_ieee_div_zero 0
		.amdhsa_exception_fp_ieee_overflow 0
		.amdhsa_exception_fp_ieee_underflow 0
		.amdhsa_exception_fp_ieee_inexact 0
		.amdhsa_exception_int_div_zero 0
	.end_amdhsa_kernel
	.section	.text._ZN9rocsparseL18bsrxmvn_3x3_kernelILj256ELj32E21rocsparse_complex_numIfEllfS2_S2_EEvT3_20rocsparse_direction_NS_24const_host_device_scalarIT1_EES3_PKS3_PKT2_SC_S9_PKT4_PKT5_S7_PT6_21rocsparse_index_base_b,"axG",@progbits,_ZN9rocsparseL18bsrxmvn_3x3_kernelILj256ELj32E21rocsparse_complex_numIfEllfS2_S2_EEvT3_20rocsparse_direction_NS_24const_host_device_scalarIT1_EES3_PKS3_PKT2_SC_S9_PKT4_PKT5_S7_PT6_21rocsparse_index_base_b,comdat
.Lfunc_end133:
	.size	_ZN9rocsparseL18bsrxmvn_3x3_kernelILj256ELj32E21rocsparse_complex_numIfEllfS2_S2_EEvT3_20rocsparse_direction_NS_24const_host_device_scalarIT1_EES3_PKS3_PKT2_SC_S9_PKT4_PKT5_S7_PT6_21rocsparse_index_base_b, .Lfunc_end133-_ZN9rocsparseL18bsrxmvn_3x3_kernelILj256ELj32E21rocsparse_complex_numIfEllfS2_S2_EEvT3_20rocsparse_direction_NS_24const_host_device_scalarIT1_EES3_PKS3_PKT2_SC_S9_PKT4_PKT5_S7_PT6_21rocsparse_index_base_b
                                        ; -- End function
	.set _ZN9rocsparseL18bsrxmvn_3x3_kernelILj256ELj32E21rocsparse_complex_numIfEllfS2_S2_EEvT3_20rocsparse_direction_NS_24const_host_device_scalarIT1_EES3_PKS3_PKT2_SC_S9_PKT4_PKT5_S7_PT6_21rocsparse_index_base_b.num_vgpr, 42
	.set _ZN9rocsparseL18bsrxmvn_3x3_kernelILj256ELj32E21rocsparse_complex_numIfEllfS2_S2_EEvT3_20rocsparse_direction_NS_24const_host_device_scalarIT1_EES3_PKS3_PKT2_SC_S9_PKT4_PKT5_S7_PT6_21rocsparse_index_base_b.num_agpr, 0
	.set _ZN9rocsparseL18bsrxmvn_3x3_kernelILj256ELj32E21rocsparse_complex_numIfEllfS2_S2_EEvT3_20rocsparse_direction_NS_24const_host_device_scalarIT1_EES3_PKS3_PKT2_SC_S9_PKT4_PKT5_S7_PT6_21rocsparse_index_base_b.numbered_sgpr, 12
	.set _ZN9rocsparseL18bsrxmvn_3x3_kernelILj256ELj32E21rocsparse_complex_numIfEllfS2_S2_EEvT3_20rocsparse_direction_NS_24const_host_device_scalarIT1_EES3_PKS3_PKT2_SC_S9_PKT4_PKT5_S7_PT6_21rocsparse_index_base_b.num_named_barrier, 0
	.set _ZN9rocsparseL18bsrxmvn_3x3_kernelILj256ELj32E21rocsparse_complex_numIfEllfS2_S2_EEvT3_20rocsparse_direction_NS_24const_host_device_scalarIT1_EES3_PKS3_PKT2_SC_S9_PKT4_PKT5_S7_PT6_21rocsparse_index_base_b.private_seg_size, 0
	.set _ZN9rocsparseL18bsrxmvn_3x3_kernelILj256ELj32E21rocsparse_complex_numIfEllfS2_S2_EEvT3_20rocsparse_direction_NS_24const_host_device_scalarIT1_EES3_PKS3_PKT2_SC_S9_PKT4_PKT5_S7_PT6_21rocsparse_index_base_b.uses_vcc, 1
	.set _ZN9rocsparseL18bsrxmvn_3x3_kernelILj256ELj32E21rocsparse_complex_numIfEllfS2_S2_EEvT3_20rocsparse_direction_NS_24const_host_device_scalarIT1_EES3_PKS3_PKT2_SC_S9_PKT4_PKT5_S7_PT6_21rocsparse_index_base_b.uses_flat_scratch, 0
	.set _ZN9rocsparseL18bsrxmvn_3x3_kernelILj256ELj32E21rocsparse_complex_numIfEllfS2_S2_EEvT3_20rocsparse_direction_NS_24const_host_device_scalarIT1_EES3_PKS3_PKT2_SC_S9_PKT4_PKT5_S7_PT6_21rocsparse_index_base_b.has_dyn_sized_stack, 0
	.set _ZN9rocsparseL18bsrxmvn_3x3_kernelILj256ELj32E21rocsparse_complex_numIfEllfS2_S2_EEvT3_20rocsparse_direction_NS_24const_host_device_scalarIT1_EES3_PKS3_PKT2_SC_S9_PKT4_PKT5_S7_PT6_21rocsparse_index_base_b.has_recursion, 0
	.set _ZN9rocsparseL18bsrxmvn_3x3_kernelILj256ELj32E21rocsparse_complex_numIfEllfS2_S2_EEvT3_20rocsparse_direction_NS_24const_host_device_scalarIT1_EES3_PKS3_PKT2_SC_S9_PKT4_PKT5_S7_PT6_21rocsparse_index_base_b.has_indirect_call, 0
	.section	.AMDGPU.csdata,"",@progbits
; Kernel info:
; codeLenInByte = 2784
; TotalNumSgprs: 14
; NumVgprs: 42
; ScratchSize: 0
; MemoryBound: 0
; FloatMode: 240
; IeeeMode: 1
; LDSByteSize: 0 bytes/workgroup (compile time only)
; SGPRBlocks: 0
; VGPRBlocks: 5
; NumSGPRsForWavesPerEU: 14
; NumVGPRsForWavesPerEU: 42
; Occupancy: 16
; WaveLimiterHint : 1
; COMPUTE_PGM_RSRC2:SCRATCH_EN: 0
; COMPUTE_PGM_RSRC2:USER_SGPR: 2
; COMPUTE_PGM_RSRC2:TRAP_HANDLER: 0
; COMPUTE_PGM_RSRC2:TGID_X_EN: 1
; COMPUTE_PGM_RSRC2:TGID_Y_EN: 0
; COMPUTE_PGM_RSRC2:TGID_Z_EN: 0
; COMPUTE_PGM_RSRC2:TIDIG_COMP_CNT: 0
	.section	.text._ZN9rocsparseL18bsrxmvn_3x3_kernelILj256ELj64E21rocsparse_complex_numIfEllfS2_S2_EEvT3_20rocsparse_direction_NS_24const_host_device_scalarIT1_EES3_PKS3_PKT2_SC_S9_PKT4_PKT5_S7_PT6_21rocsparse_index_base_b,"axG",@progbits,_ZN9rocsparseL18bsrxmvn_3x3_kernelILj256ELj64E21rocsparse_complex_numIfEllfS2_S2_EEvT3_20rocsparse_direction_NS_24const_host_device_scalarIT1_EES3_PKS3_PKT2_SC_S9_PKT4_PKT5_S7_PT6_21rocsparse_index_base_b,comdat
	.globl	_ZN9rocsparseL18bsrxmvn_3x3_kernelILj256ELj64E21rocsparse_complex_numIfEllfS2_S2_EEvT3_20rocsparse_direction_NS_24const_host_device_scalarIT1_EES3_PKS3_PKT2_SC_S9_PKT4_PKT5_S7_PT6_21rocsparse_index_base_b ; -- Begin function _ZN9rocsparseL18bsrxmvn_3x3_kernelILj256ELj64E21rocsparse_complex_numIfEllfS2_S2_EEvT3_20rocsparse_direction_NS_24const_host_device_scalarIT1_EES3_PKS3_PKT2_SC_S9_PKT4_PKT5_S7_PT6_21rocsparse_index_base_b
	.p2align	8
	.type	_ZN9rocsparseL18bsrxmvn_3x3_kernelILj256ELj64E21rocsparse_complex_numIfEllfS2_S2_EEvT3_20rocsparse_direction_NS_24const_host_device_scalarIT1_EES3_PKS3_PKT2_SC_S9_PKT4_PKT5_S7_PT6_21rocsparse_index_base_b,@function
_ZN9rocsparseL18bsrxmvn_3x3_kernelILj256ELj64E21rocsparse_complex_numIfEllfS2_S2_EEvT3_20rocsparse_direction_NS_24const_host_device_scalarIT1_EES3_PKS3_PKT2_SC_S9_PKT4_PKT5_S7_PT6_21rocsparse_index_base_b: ; @_ZN9rocsparseL18bsrxmvn_3x3_kernelILj256ELj64E21rocsparse_complex_numIfEllfS2_S2_EEvT3_20rocsparse_direction_NS_24const_host_device_scalarIT1_EES3_PKS3_PKT2_SC_S9_PKT4_PKT5_S7_PT6_21rocsparse_index_base_b
; %bb.0:
	s_clause 0x2
	s_load_b64 s[8:9], s[0:1], 0x60
	s_load_b128 s[4:7], s[0:1], 0x10
	s_load_b64 s[2:3], s[0:1], 0x50
	s_add_nc_u64 s[10:11], s[0:1], 16
	s_wait_kmcnt 0x0
	s_bitcmp1_b32 s9, 0
	s_cselect_b32 s4, s10, s4
	s_cselect_b32 s5, s11, s5
	s_delay_alu instid0(SALU_CYCLE_1)
	v_dual_mov_b32 v1, s4 :: v_dual_mov_b32 v2, s5
	s_add_nc_u64 s[4:5], s[0:1], 0x50
	s_wait_alu 0xfffe
	s_cselect_b32 s2, s4, s2
	s_cselect_b32 s3, s5, s3
	flat_load_b64 v[6:7], v[1:2]
	v_dual_mov_b32 v1, s2 :: v_dual_mov_b32 v2, s3
	flat_load_b64 v[4:5], v[1:2]
	s_wait_loadcnt_dscnt 0x101
	v_cmp_eq_f32_e32 vcc_lo, 0, v6
	v_cmp_eq_f32_e64 s2, 0, v7
	s_and_b32 s4, vcc_lo, s2
	s_mov_b32 s2, -1
	s_wait_alu 0xfffe
	s_and_saveexec_b32 s3, s4
	s_cbranch_execz .LBB134_2
; %bb.1:
	s_wait_loadcnt_dscnt 0x0
	v_cmp_neq_f32_e32 vcc_lo, 1.0, v4
	v_cmp_neq_f32_e64 s2, 0, v5
	s_or_b32 s2, vcc_lo, s2
	s_wait_alu 0xfffe
	s_or_not1_b32 s2, s2, exec_lo
.LBB134_2:
	s_wait_alu 0xfffe
	s_or_b32 exec_lo, exec_lo, s3
	s_and_saveexec_b32 s3, s2
	s_cbranch_execz .LBB134_8
; %bb.3:
	s_load_b64 s[2:3], s[0:1], 0x20
	v_lshrrev_b32_e32 v1, 6, v0
	v_mov_b32_e32 v11, 0
	s_delay_alu instid0(VALU_DEP_2)
	v_lshl_or_b32 v10, ttmp9, 2, v1
	s_wait_kmcnt 0x0
	s_cmp_lg_u64 s[2:3], 0
	s_cbranch_scc0 .LBB134_9
; %bb.4:
	s_delay_alu instid0(VALU_DEP_1)
	v_cmp_gt_i64_e32 vcc_lo, s[6:7], v[10:11]
	s_mov_b32 s5, 0
	s_mov_b32 s4, 0
                                        ; implicit-def: $vgpr8_vgpr9
                                        ; implicit-def: $vgpr1_vgpr2
	s_and_saveexec_b32 s6, vcc_lo
	s_wait_alu 0xfffe
	s_xor_b32 s6, exec_lo, s6
	s_cbranch_execz .LBB134_6
; %bb.5:
	v_lshlrev_b64_e32 v[1:2], 3, v[10:11]
	s_mov_b32 s9, 0
	s_mov_b32 s4, exec_lo
	s_delay_alu instid0(VALU_DEP_1) | instskip(NEXT) | instid1(VALU_DEP_1)
	v_add_co_u32 v1, vcc_lo, s2, v1
	v_add_co_ci_u32_e64 v2, null, s3, v2, vcc_lo
	global_load_b64 v[1:2], v[1:2], off
	s_wait_loadcnt 0x0
	v_sub_co_u32 v8, vcc_lo, v1, s8
	s_wait_alu 0xfffd
	v_subrev_co_ci_u32_e64 v9, null, 0, v2, vcc_lo
	v_dual_mov_b32 v1, s8 :: v_dual_mov_b32 v2, s9
.LBB134_6:
	s_wait_alu 0xfffe
	s_or_b32 exec_lo, exec_lo, s6
	s_delay_alu instid0(SALU_CYCLE_1)
	s_and_b32 vcc_lo, exec_lo, s5
	s_wait_alu 0xfffe
	s_cbranch_vccnz .LBB134_10
.LBB134_7:
	s_wait_alu 0xfffe
	s_and_b32 exec_lo, exec_lo, s4
	s_cbranch_execnz .LBB134_13
.LBB134_8:
	s_endpgm
.LBB134_9:
	s_mov_b32 s4, 0
                                        ; implicit-def: $vgpr8_vgpr9
                                        ; implicit-def: $vgpr1_vgpr2
	s_cbranch_execz .LBB134_7
.LBB134_10:
	s_load_b64 s[2:3], s[0:1], 0x0
	s_wait_kmcnt 0x0
	v_cmp_gt_i64_e32 vcc_lo, s[2:3], v[10:11]
	s_and_saveexec_b32 s2, vcc_lo
; %bb.11:
	s_mov_b32 s9, 0
	s_or_b32 s4, s4, exec_lo
; %bb.12:
	s_wait_alu 0xfffe
	s_or_b32 exec_lo, exec_lo, s2
	v_dual_mov_b32 v1, s8 :: v_dual_mov_b32 v2, s9
	v_dual_mov_b32 v8, v10 :: v_dual_mov_b32 v9, v11
	s_and_b32 exec_lo, exec_lo, s4
	s_cbranch_execz .LBB134_8
.LBB134_13:
	s_load_b256 s[4:11], s[0:1], 0x28
	s_delay_alu instid0(VALU_DEP_1) | instskip(SKIP_2) | instid1(VALU_DEP_2)
	v_lshlrev_b64_e32 v[10:11], 3, v[8:9]
	v_and_b32_e32 v0, 63, v0
	s_wait_kmcnt 0x0
	v_add_co_u32 v12, vcc_lo, s4, v10
	s_wait_alu 0xfffd
	s_delay_alu instid0(VALU_DEP_3)
	v_add_co_ci_u32_e64 v13, null, s5, v11, vcc_lo
	v_add_co_u32 v3, vcc_lo, s6, v10
	s_wait_alu 0xfffd
	v_add_co_ci_u32_e64 v10, null, s7, v11, vcc_lo
	global_load_b64 v[14:15], v[12:13], off
	v_add_co_u32 v12, vcc_lo, v12, 8
	s_wait_alu 0xfffd
	v_add_co_ci_u32_e64 v11, null, 0, v13, vcc_lo
	s_cmp_eq_u64 s[6:7], 0
	s_cselect_b32 vcc_lo, -1, 0
	s_wait_alu 0xfffe
	v_dual_cndmask_b32 v11, v10, v11 :: v_dual_cndmask_b32 v10, v3, v12
	global_load_b64 v[16:17], v[10:11], off
	s_clause 0x1
	s_load_b32 s3, s[0:1], 0x8
	s_load_b64 s[4:5], s[0:1], 0x48
	s_wait_kmcnt 0x0
	s_cmp_eq_u32 s3, 1
	s_wait_loadcnt 0x1
	v_sub_co_u32 v3, vcc_lo, v14, v1
	s_wait_alu 0xfffd
	v_sub_co_ci_u32_e64 v11, null, v15, v2, vcc_lo
	s_delay_alu instid0(VALU_DEP_2) | instskip(SKIP_1) | instid1(VALU_DEP_2)
	v_add_co_u32 v10, vcc_lo, v3, v0
	s_wait_alu 0xfffd
	v_add_co_ci_u32_e64 v11, null, 0, v11, vcc_lo
	s_delay_alu instid0(VALU_DEP_2) | instskip(NEXT) | instid1(VALU_DEP_1)
	v_mad_co_u64_u32 v[12:13], null, v10, 36, s[10:11]
	v_mov_b32_e32 v3, v13
	s_wait_dscnt 0x0
	s_delay_alu instid0(VALU_DEP_1)
	v_mad_co_u64_u32 v[13:14], null, v11, 36, v[3:4]
	s_wait_loadcnt 0x0
	v_sub_co_u32 v14, vcc_lo, v16, v1
	s_wait_alu 0xfffd
	v_sub_co_ci_u32_e64 v15, null, v17, v2, vcc_lo
	v_mov_b32_e32 v3, 0
	s_delay_alu instid0(VALU_DEP_2)
	v_cmp_lt_i64_e64 s2, v[10:11], v[14:15]
	s_cbranch_scc1 .LBB134_19
; %bb.14:
	v_dual_mov_b32 v22, 0 :: v_dual_mov_b32 v23, 0
	v_dual_mov_b32 v24, 0 :: v_dual_mov_b32 v25, 0
	v_mov_b32_e32 v26, 0
	s_and_saveexec_b32 s3, s2
	s_cbranch_execz .LBB134_18
; %bb.15:
	v_lshlrev_b64_e32 v[18:19], 3, v[10:11]
	v_mov_b32_e32 v17, v11
	v_dual_mov_b32 v21, v13 :: v_dual_mov_b32 v22, 0
	v_dual_mov_b32 v3, 0 :: v_dual_mov_b32 v16, v10
	s_delay_alu instid0(VALU_DEP_4)
	v_add_co_u32 v18, vcc_lo, s8, v18
	s_wait_alu 0xfffd
	v_add_co_ci_u32_e64 v19, null, s9, v19, vcc_lo
	v_dual_mov_b32 v20, v12 :: v_dual_mov_b32 v23, 0
	v_dual_mov_b32 v24, 0 :: v_dual_mov_b32 v25, 0
	v_mov_b32_e32 v26, 0
	s_mov_b32 s6, 0
.LBB134_16:                             ; =>This Inner Loop Header: Depth=1
	global_load_b64 v[35:36], v[18:19], off
	s_clause 0x1
	global_load_b128 v[27:30], v[20:21], off offset:16
	global_load_b128 v[31:34], v[20:21], off
	s_wait_loadcnt 0x2
	v_sub_co_u32 v35, vcc_lo, v35, v1
	s_wait_alu 0xfffd
	v_sub_co_ci_u32_e64 v36, null, v36, v2, vcc_lo
	s_delay_alu instid0(VALU_DEP_2) | instskip(NEXT) | instid1(VALU_DEP_1)
	v_mad_co_u64_u32 v[39:40], null, v35, 24, s[4:5]
	v_mov_b32_e32 v35, v40
	s_delay_alu instid0(VALU_DEP_1) | instskip(NEXT) | instid1(VALU_DEP_1)
	v_mad_co_u64_u32 v[35:36], null, v36, 24, v[35:36]
	v_mov_b32_e32 v40, v35
	s_clause 0x1
	global_load_b128 v[35:38], v[39:40], off
	global_load_b64 v[39:40], v[39:40], off offset:16
	global_load_b32 v41, v[20:21], off offset:32
	v_add_co_u32 v20, vcc_lo, 0x900, v20
	s_wait_alu 0xfffd
	v_add_co_ci_u32_e64 v21, null, 0, v21, vcc_lo
	v_add_co_u32 v16, vcc_lo, v16, 64
	s_wait_alu 0xfffd
	v_add_co_ci_u32_e64 v17, null, 0, v17, vcc_lo
	;; [unrolled: 3-line block ×3, first 2 shown]
	s_delay_alu instid0(VALU_DEP_3) | instskip(SKIP_4) | instid1(VALU_DEP_1)
	v_cmp_ge_i64_e32 vcc_lo, v[16:17], v[14:15]
	s_wait_alu 0xfffe
	s_or_b32 s6, vcc_lo, s6
	s_wait_loadcnt 0x2
	v_fmac_f32_e32 v3, 0, v35
	v_dual_fmac_f32 v24, v34, v35 :: v_dual_fmac_f32 v3, v31, v36
	s_delay_alu instid0(VALU_DEP_1) | instskip(SKIP_1) | instid1(VALU_DEP_3)
	v_dual_fmac_f32 v23, 0, v35 :: v_dual_fmac_f32 v24, 0x80000000, v36
	v_fmac_f32_e32 v22, v31, v35
	v_dual_fmac_f32 v26, v29, v35 :: v_dual_fmac_f32 v3, 0, v37
	v_fmac_f32_e32 v25, 0, v35
	s_delay_alu instid0(VALU_DEP_4) | instskip(NEXT) | instid1(VALU_DEP_4)
	v_fmac_f32_e32 v23, v34, v36
	v_fmac_f32_e32 v22, 0x80000000, v36
	s_delay_alu instid0(VALU_DEP_4) | instskip(SKIP_1) | instid1(VALU_DEP_3)
	v_fmac_f32_e32 v26, 0x80000000, v36
	v_dual_fmac_f32 v24, v27, v37 :: v_dual_fmac_f32 v3, v32, v38
	v_dual_fmac_f32 v25, v29, v36 :: v_dual_fmac_f32 v22, v32, v37
	s_delay_alu instid0(VALU_DEP_2) | instskip(SKIP_1) | instid1(VALU_DEP_3)
	v_dual_fmac_f32 v23, 0, v37 :: v_dual_fmac_f32 v24, 0x80000000, v38
	s_wait_loadcnt 0x1
	v_fmac_f32_e32 v3, 0, v39
	s_delay_alu instid0(VALU_DEP_3) | instskip(NEXT) | instid1(VALU_DEP_3)
	v_dual_fmac_f32 v25, 0, v37 :: v_dual_fmac_f32 v22, 0x80000000, v38
	v_dual_fmac_f32 v26, v30, v37 :: v_dual_fmac_f32 v23, v27, v38
	s_delay_alu instid0(VALU_DEP_3) | instskip(NEXT) | instid1(VALU_DEP_3)
	v_dual_fmac_f32 v24, v28, v39 :: v_dual_fmac_f32 v3, v33, v40
	v_dual_fmac_f32 v25, v30, v38 :: v_dual_fmac_f32 v22, v33, v39
	s_delay_alu instid0(VALU_DEP_3) | instskip(NEXT) | instid1(VALU_DEP_2)
	v_dual_fmac_f32 v26, 0x80000000, v38 :: v_dual_fmac_f32 v23, 0, v39
	v_dual_fmac_f32 v24, 0x80000000, v40 :: v_dual_fmac_f32 v25, 0, v39
	s_delay_alu instid0(VALU_DEP_3) | instskip(SKIP_1) | instid1(VALU_DEP_3)
	v_fmac_f32_e32 v22, 0x80000000, v40
	s_wait_loadcnt 0x0
	v_dual_fmac_f32 v26, v41, v39 :: v_dual_fmac_f32 v23, v28, v40
	s_delay_alu instid0(VALU_DEP_3) | instskip(NEXT) | instid1(VALU_DEP_2)
	v_fmac_f32_e32 v25, v41, v40
	v_fmac_f32_e32 v26, 0x80000000, v40
	s_wait_alu 0xfffe
	s_and_not1_b32 exec_lo, exec_lo, s6
	s_cbranch_execnz .LBB134_16
; %bb.17:
	s_or_b32 exec_lo, exec_lo, s6
.LBB134_18:
	s_wait_alu 0xfffe
	s_or_b32 exec_lo, exec_lo, s3
	s_cbranch_execz .LBB134_20
	s_branch .LBB134_25
.LBB134_19:
                                        ; implicit-def: $vgpr3
                                        ; implicit-def: $vgpr22
                                        ; implicit-def: $vgpr23
                                        ; implicit-def: $vgpr24
                                        ; implicit-def: $vgpr25
                                        ; implicit-def: $vgpr26
.LBB134_20:
	v_dual_mov_b32 v3, 0 :: v_dual_mov_b32 v22, 0
	v_dual_mov_b32 v23, 0 :: v_dual_mov_b32 v24, 0
	;; [unrolled: 1-line block ×3, first 2 shown]
	s_and_saveexec_b32 s3, s2
	s_cbranch_execz .LBB134_24
; %bb.21:
	v_lshlrev_b64_e32 v[16:17], 3, v[10:11]
	v_dual_mov_b32 v3, 0 :: v_dual_mov_b32 v22, 0
	v_dual_mov_b32 v23, 0 :: v_dual_mov_b32 v24, 0
	;; [unrolled: 1-line block ×3, first 2 shown]
	s_delay_alu instid0(VALU_DEP_4)
	v_add_co_u32 v16, vcc_lo, s8, v16
	s_wait_alu 0xfffd
	v_add_co_ci_u32_e64 v17, null, s9, v17, vcc_lo
	s_mov_b32 s2, 0
.LBB134_22:                             ; =>This Inner Loop Header: Depth=1
	global_load_b64 v[31:32], v[16:17], off
	s_clause 0x1
	global_load_b128 v[18:21], v[12:13], off offset:16
	global_load_b128 v[27:30], v[12:13], off
	s_wait_loadcnt 0x2
	v_sub_co_u32 v31, vcc_lo, v31, v1
	s_wait_alu 0xfffd
	v_sub_co_ci_u32_e64 v32, null, v32, v2, vcc_lo
	s_delay_alu instid0(VALU_DEP_2) | instskip(NEXT) | instid1(VALU_DEP_1)
	v_mad_co_u64_u32 v[35:36], null, v31, 24, s[4:5]
	v_mov_b32_e32 v31, v36
	s_delay_alu instid0(VALU_DEP_1) | instskip(NEXT) | instid1(VALU_DEP_1)
	v_mad_co_u64_u32 v[31:32], null, v32, 24, v[31:32]
	v_mov_b32_e32 v36, v31
	s_clause 0x1
	global_load_b128 v[31:34], v[35:36], off
	global_load_b64 v[35:36], v[35:36], off offset:16
	global_load_b32 v37, v[12:13], off offset:32
	v_add_co_u32 v12, vcc_lo, 0x900, v12
	s_wait_alu 0xfffd
	v_add_co_ci_u32_e64 v13, null, 0, v13, vcc_lo
	v_add_co_u32 v10, vcc_lo, v10, 64
	s_wait_alu 0xfffd
	v_add_co_ci_u32_e64 v11, null, 0, v11, vcc_lo
	;; [unrolled: 3-line block ×3, first 2 shown]
	s_delay_alu instid0(VALU_DEP_3) | instskip(SKIP_4) | instid1(VALU_DEP_1)
	v_cmp_ge_i64_e32 vcc_lo, v[10:11], v[14:15]
	s_wait_alu 0xfffe
	s_or_b32 s2, vcc_lo, s2
	s_wait_loadcnt 0x2
	v_fmac_f32_e32 v3, 0, v31
	v_dual_fmac_f32 v24, v28, v31 :: v_dual_fmac_f32 v3, v27, v32
	s_delay_alu instid0(VALU_DEP_1) | instskip(SKIP_1) | instid1(VALU_DEP_3)
	v_dual_fmac_f32 v23, 0, v31 :: v_dual_fmac_f32 v24, 0x80000000, v32
	v_fmac_f32_e32 v22, v27, v31
	v_dual_fmac_f32 v26, v29, v31 :: v_dual_fmac_f32 v3, 0, v33
	v_fmac_f32_e32 v25, 0, v31
	s_delay_alu instid0(VALU_DEP_4) | instskip(NEXT) | instid1(VALU_DEP_4)
	v_fmac_f32_e32 v23, v28, v32
	v_fmac_f32_e32 v22, 0x80000000, v32
	s_delay_alu instid0(VALU_DEP_4) | instskip(NEXT) | instid1(VALU_DEP_2)
	v_dual_fmac_f32 v26, 0x80000000, v32 :: v_dual_fmac_f32 v3, v30, v34
	v_dual_fmac_f32 v25, v29, v32 :: v_dual_fmac_f32 v22, v30, v33
	s_delay_alu instid0(VALU_DEP_4) | instskip(NEXT) | instid1(VALU_DEP_3)
	v_fmac_f32_e32 v23, 0, v33
	v_fmac_f32_e32 v26, v19, v33
	s_delay_alu instid0(VALU_DEP_3)
	v_fmac_f32_e32 v25, 0, v33
	v_fmac_f32_e32 v24, v18, v33
	;; [unrolled: 1-line block ×4, first 2 shown]
	s_wait_loadcnt 0x1
	v_dual_fmac_f32 v26, 0x80000000, v34 :: v_dual_fmac_f32 v3, 0, v35
	v_fmac_f32_e32 v25, v19, v34
	v_fmac_f32_e32 v24, 0x80000000, v34
	;; [unrolled: 1-line block ×4, first 2 shown]
	s_wait_loadcnt 0x0
	v_dual_fmac_f32 v26, v37, v35 :: v_dual_fmac_f32 v3, v20, v36
	v_fmac_f32_e32 v24, v21, v35
	v_dual_fmac_f32 v25, 0, v35 :: v_dual_fmac_f32 v22, 0x80000000, v36
	v_fmac_f32_e32 v23, v21, v36
	s_delay_alu instid0(VALU_DEP_4) | instskip(NEXT) | instid1(VALU_DEP_4)
	v_fmac_f32_e32 v26, 0x80000000, v36
	v_fmac_f32_e32 v24, 0x80000000, v36
	s_delay_alu instid0(VALU_DEP_4)
	v_fmac_f32_e32 v25, v37, v36
	s_wait_alu 0xfffe
	s_and_not1_b32 exec_lo, exec_lo, s2
	s_cbranch_execnz .LBB134_22
; %bb.23:
	s_or_b32 exec_lo, exec_lo, s2
.LBB134_24:
	s_wait_alu 0xfffe
	s_or_b32 exec_lo, exec_lo, s3
.LBB134_25:
	v_mbcnt_lo_u32_b32 v1, -1, 0
	s_delay_alu instid0(VALU_DEP_1) | instskip(SKIP_2) | instid1(VALU_DEP_3)
	v_or_b32_e32 v2, 32, v1
	v_xor_b32_e32 v15, 16, v1
	v_xor_b32_e32 v20, 8, v1
	v_cmp_gt_i32_e32 vcc_lo, 32, v2
	s_wait_alu 0xfffd
	v_cndmask_b32_e32 v2, v1, v2, vcc_lo
	v_cmp_gt_i32_e32 vcc_lo, 32, v15
	s_wait_alu 0xfffd
	v_cndmask_b32_e32 v15, v1, v15, vcc_lo
	v_cmp_gt_i32_e32 vcc_lo, 32, v20
	s_delay_alu instid0(VALU_DEP_2)
	v_lshlrev_b32_e32 v15, 2, v15
	v_lshlrev_b32_e32 v2, 2, v2
	s_wait_alu 0xfffd
	v_cndmask_b32_e32 v20, v1, v20, vcc_lo
	ds_bpermute_b32 v11, v2, v3
	s_wait_dscnt 0x0
	v_add_f32_e32 v3, v3, v11
	ds_bpermute_b32 v12, v2, v24
	ds_bpermute_b32 v10, v2, v22
	;; [unrolled: 1-line block ×6, first 2 shown]
	s_wait_dscnt 0x4
	v_dual_add_f32 v11, v24, v12 :: v_dual_add_f32 v10, v22, v10
	s_wait_dscnt 0x2
	v_dual_add_f32 v12, v23, v13 :: v_dual_add_f32 v13, v26, v14
	s_wait_dscnt 0x0
	v_dual_add_f32 v2, v25, v2 :: v_dual_add_f32 v3, v3, v16
	ds_bpermute_b32 v17, v15, v11
	ds_bpermute_b32 v14, v15, v10
	;; [unrolled: 1-line block ×5, first 2 shown]
	s_wait_dscnt 0x4
	v_dual_add_f32 v11, v11, v17 :: v_dual_lshlrev_b32 v20, 2, v20
	s_wait_dscnt 0x1
	v_dual_add_f32 v10, v10, v14 :: v_dual_add_f32 v13, v13, v19
	ds_bpermute_b32 v16, v20, v11
	s_wait_dscnt 0x1
	v_add_f32_e32 v2, v2, v15
	ds_bpermute_b32 v15, v20, v3
	v_add_f32_e32 v12, v12, v18
	ds_bpermute_b32 v14, v20, v10
	ds_bpermute_b32 v18, v20, v13
	s_wait_dscnt 0x3
	v_add_f32_e32 v11, v11, v16
	ds_bpermute_b32 v19, v20, v2
	s_wait_dscnt 0x3
	v_add_f32_e32 v3, v3, v15
	ds_bpermute_b32 v17, v20, v12
	v_xor_b32_e32 v20, 4, v1
	s_wait_dscnt 0x2
	v_add_f32_e32 v13, v13, v18
	s_delay_alu instid0(VALU_DEP_2) | instskip(SKIP_2) | instid1(VALU_DEP_1)
	v_cmp_gt_i32_e32 vcc_lo, 32, v20
	s_wait_alu 0xfffd
	v_cndmask_b32_e32 v20, v1, v20, vcc_lo
	v_lshlrev_b32_e32 v20, 2, v20
	s_wait_dscnt 0x1
	v_add_f32_e32 v2, v2, v19
	ds_bpermute_b32 v16, v20, v11
	ds_bpermute_b32 v18, v20, v13
	v_add_f32_e32 v10, v10, v14
	s_wait_dscnt 0x2
	v_add_f32_e32 v12, v12, v17
	ds_bpermute_b32 v15, v20, v3
	ds_bpermute_b32 v19, v20, v2
	s_wait_dscnt 0x3
	v_add_f32_e32 v11, v11, v16
	ds_bpermute_b32 v14, v20, v10
	s_wait_dscnt 0x3
	v_add_f32_e32 v13, v13, v18
	ds_bpermute_b32 v17, v20, v12
	v_xor_b32_e32 v20, 2, v1
	s_wait_dscnt 0x3
	v_add_f32_e32 v3, v3, v15
	s_delay_alu instid0(VALU_DEP_2)
	v_cmp_gt_i32_e32 vcc_lo, 32, v20
	s_wait_dscnt 0x1
	v_add_f32_e32 v10, v10, v14
	s_wait_alu 0xfffd
	v_cndmask_b32_e32 v20, v1, v20, vcc_lo
	s_wait_dscnt 0x0
	v_add_f32_e32 v12, v12, v17
	v_add_f32_e32 v14, v2, v19
	s_delay_alu instid0(VALU_DEP_3)
	v_lshlrev_b32_e32 v20, 2, v20
	ds_bpermute_b32 v2, v20, v10
	ds_bpermute_b32 v15, v20, v3
	;; [unrolled: 1-line block ×6, first 2 shown]
	v_xor_b32_e32 v20, 1, v1
	s_delay_alu instid0(VALU_DEP_1) | instskip(SKIP_4) | instid1(VALU_DEP_2)
	v_cmp_gt_i32_e32 vcc_lo, 32, v20
	s_wait_alu 0xfffd
	v_cndmask_b32_e32 v1, v1, v20, vcc_lo
	v_cmp_eq_u32_e32 vcc_lo, 63, v0
	s_wait_dscnt 0x5
	v_dual_add_f32 v1, v10, v2 :: v_dual_lshlrev_b32 v20, 2, v1
	s_wait_dscnt 0x4
	v_add_f32_e32 v2, v3, v15
	s_wait_dscnt 0x2
	v_dual_add_f32 v3, v11, v16 :: v_dual_add_f32 v10, v12, v17
	s_wait_dscnt 0x0
	v_dual_add_f32 v11, v13, v18 :: v_dual_add_f32 v12, v14, v19
	ds_bpermute_b32 v13, v20, v1
	ds_bpermute_b32 v14, v20, v2
	;; [unrolled: 1-line block ×6, first 2 shown]
	s_and_b32 exec_lo, exec_lo, vcc_lo
	s_cbranch_execz .LBB134_8
; %bb.26:
	s_load_b64 s[2:3], s[0:1], 0x58
	s_wait_dscnt 0x5
	v_add_f32_e32 v13, v1, v13
	s_wait_dscnt 0x3
	v_dual_add_f32 v1, v2, v14 :: v_dual_add_f32 v14, v3, v15
	s_wait_dscnt 0x2
	v_add_f32_e32 v3, v10, v16
	v_cmp_eq_f32_e32 vcc_lo, 0, v4
	v_cmp_eq_f32_e64 s0, 0, v5
	v_mul_f32_e64 v0, v1, -v7
	v_mul_f32_e32 v1, v6, v1
	v_mul_f32_e64 v2, v3, -v7
	s_wait_dscnt 0x1
	v_add_f32_e32 v15, v11, v17
	s_wait_dscnt 0x0
	v_dual_add_f32 v11, v12, v18 :: v_dual_fmac_f32 v0, v6, v13
	v_mul_f32_e32 v3, v6, v3
	v_fmac_f32_e32 v2, v6, v14
	s_and_b32 s0, vcc_lo, s0
	s_delay_alu instid0(VALU_DEP_3) | instskip(SKIP_2) | instid1(VALU_DEP_3)
	v_mul_f32_e64 v10, v11, -v7
	v_mul_f32_e32 v11, v6, v11
	v_fmac_f32_e32 v1, v7, v13
	v_dual_fmac_f32 v3, v7, v14 :: v_dual_fmac_f32 v10, v6, v15
	s_delay_alu instid0(VALU_DEP_3)
	v_fmac_f32_e32 v11, v7, v15
	s_wait_alu 0xfffe
	s_and_saveexec_b32 s1, s0
	s_wait_alu 0xfffe
	s_xor_b32 s0, exec_lo, s1
	s_cbranch_execz .LBB134_28
; %bb.27:
	s_wait_kmcnt 0x0
	v_mad_co_u64_u32 v[4:5], null, v8, 24, s[2:3]
	s_delay_alu instid0(VALU_DEP_1)
	v_mad_co_u64_u32 v[5:6], null, v9, 24, v[5:6]
                                        ; implicit-def: $vgpr8_vgpr9
	s_clause 0x1
	global_store_b128 v[4:5], v[0:3], off
	global_store_b64 v[4:5], v[10:11], off offset:16
                                        ; implicit-def: $vgpr4_vgpr5
                                        ; implicit-def: $vgpr0
                                        ; implicit-def: $vgpr10
.LBB134_28:
	s_wait_alu 0xfffe
	s_and_not1_saveexec_b32 s0, s0
	s_cbranch_execz .LBB134_8
; %bb.29:
	s_wait_kmcnt 0x0
	v_mad_co_u64_u32 v[12:13], null, v8, 24, s[2:3]
	s_delay_alu instid0(VALU_DEP_1) | instskip(NEXT) | instid1(VALU_DEP_1)
	v_mov_b32_e32 v6, v13
	v_mad_co_u64_u32 v[6:7], null, v9, 24, v[6:7]
	s_delay_alu instid0(VALU_DEP_1)
	v_mov_b32_e32 v13, v6
	s_clause 0x1
	global_load_b128 v[6:9], v[12:13], off
	global_load_b64 v[14:15], v[12:13], off offset:16
	s_wait_loadcnt 0x1
	v_fmac_f32_e32 v0, v4, v6
	v_dual_fmac_f32 v1, v5, v6 :: v_dual_fmac_f32 v2, v4, v8
	s_wait_loadcnt 0x0
	v_dual_fmac_f32 v3, v5, v8 :: v_dual_fmac_f32 v10, v4, v14
	v_fmac_f32_e32 v11, v5, v14
	v_fma_f32 v0, -v5, v7, v0
	v_fmac_f32_e32 v1, v4, v7
	v_fma_f32 v2, -v5, v9, v2
	;; [unrolled: 2-line block ×3, first 2 shown]
	v_fmac_f32_e32 v11, v4, v15
	s_clause 0x1
	global_store_b128 v[12:13], v[0:3], off
	global_store_b64 v[12:13], v[10:11], off offset:16
	s_endpgm
	.section	.rodata,"a",@progbits
	.p2align	6, 0x0
	.amdhsa_kernel _ZN9rocsparseL18bsrxmvn_3x3_kernelILj256ELj64E21rocsparse_complex_numIfEllfS2_S2_EEvT3_20rocsparse_direction_NS_24const_host_device_scalarIT1_EES3_PKS3_PKT2_SC_S9_PKT4_PKT5_S7_PT6_21rocsparse_index_base_b
		.amdhsa_group_segment_fixed_size 0
		.amdhsa_private_segment_fixed_size 0
		.amdhsa_kernarg_size 104
		.amdhsa_user_sgpr_count 2
		.amdhsa_user_sgpr_dispatch_ptr 0
		.amdhsa_user_sgpr_queue_ptr 0
		.amdhsa_user_sgpr_kernarg_segment_ptr 1
		.amdhsa_user_sgpr_dispatch_id 0
		.amdhsa_user_sgpr_private_segment_size 0
		.amdhsa_wavefront_size32 1
		.amdhsa_uses_dynamic_stack 0
		.amdhsa_enable_private_segment 0
		.amdhsa_system_sgpr_workgroup_id_x 1
		.amdhsa_system_sgpr_workgroup_id_y 0
		.amdhsa_system_sgpr_workgroup_id_z 0
		.amdhsa_system_sgpr_workgroup_info 0
		.amdhsa_system_vgpr_workitem_id 0
		.amdhsa_next_free_vgpr 42
		.amdhsa_next_free_sgpr 12
		.amdhsa_reserve_vcc 1
		.amdhsa_float_round_mode_32 0
		.amdhsa_float_round_mode_16_64 0
		.amdhsa_float_denorm_mode_32 3
		.amdhsa_float_denorm_mode_16_64 3
		.amdhsa_fp16_overflow 0
		.amdhsa_workgroup_processor_mode 1
		.amdhsa_memory_ordered 1
		.amdhsa_forward_progress 1
		.amdhsa_inst_pref_size 23
		.amdhsa_round_robin_scheduling 0
		.amdhsa_exception_fp_ieee_invalid_op 0
		.amdhsa_exception_fp_denorm_src 0
		.amdhsa_exception_fp_ieee_div_zero 0
		.amdhsa_exception_fp_ieee_overflow 0
		.amdhsa_exception_fp_ieee_underflow 0
		.amdhsa_exception_fp_ieee_inexact 0
		.amdhsa_exception_int_div_zero 0
	.end_amdhsa_kernel
	.section	.text._ZN9rocsparseL18bsrxmvn_3x3_kernelILj256ELj64E21rocsparse_complex_numIfEllfS2_S2_EEvT3_20rocsparse_direction_NS_24const_host_device_scalarIT1_EES3_PKS3_PKT2_SC_S9_PKT4_PKT5_S7_PT6_21rocsparse_index_base_b,"axG",@progbits,_ZN9rocsparseL18bsrxmvn_3x3_kernelILj256ELj64E21rocsparse_complex_numIfEllfS2_S2_EEvT3_20rocsparse_direction_NS_24const_host_device_scalarIT1_EES3_PKS3_PKT2_SC_S9_PKT4_PKT5_S7_PT6_21rocsparse_index_base_b,comdat
.Lfunc_end134:
	.size	_ZN9rocsparseL18bsrxmvn_3x3_kernelILj256ELj64E21rocsparse_complex_numIfEllfS2_S2_EEvT3_20rocsparse_direction_NS_24const_host_device_scalarIT1_EES3_PKS3_PKT2_SC_S9_PKT4_PKT5_S7_PT6_21rocsparse_index_base_b, .Lfunc_end134-_ZN9rocsparseL18bsrxmvn_3x3_kernelILj256ELj64E21rocsparse_complex_numIfEllfS2_S2_EEvT3_20rocsparse_direction_NS_24const_host_device_scalarIT1_EES3_PKS3_PKT2_SC_S9_PKT4_PKT5_S7_PT6_21rocsparse_index_base_b
                                        ; -- End function
	.set _ZN9rocsparseL18bsrxmvn_3x3_kernelILj256ELj64E21rocsparse_complex_numIfEllfS2_S2_EEvT3_20rocsparse_direction_NS_24const_host_device_scalarIT1_EES3_PKS3_PKT2_SC_S9_PKT4_PKT5_S7_PT6_21rocsparse_index_base_b.num_vgpr, 42
	.set _ZN9rocsparseL18bsrxmvn_3x3_kernelILj256ELj64E21rocsparse_complex_numIfEllfS2_S2_EEvT3_20rocsparse_direction_NS_24const_host_device_scalarIT1_EES3_PKS3_PKT2_SC_S9_PKT4_PKT5_S7_PT6_21rocsparse_index_base_b.num_agpr, 0
	.set _ZN9rocsparseL18bsrxmvn_3x3_kernelILj256ELj64E21rocsparse_complex_numIfEllfS2_S2_EEvT3_20rocsparse_direction_NS_24const_host_device_scalarIT1_EES3_PKS3_PKT2_SC_S9_PKT4_PKT5_S7_PT6_21rocsparse_index_base_b.numbered_sgpr, 12
	.set _ZN9rocsparseL18bsrxmvn_3x3_kernelILj256ELj64E21rocsparse_complex_numIfEllfS2_S2_EEvT3_20rocsparse_direction_NS_24const_host_device_scalarIT1_EES3_PKS3_PKT2_SC_S9_PKT4_PKT5_S7_PT6_21rocsparse_index_base_b.num_named_barrier, 0
	.set _ZN9rocsparseL18bsrxmvn_3x3_kernelILj256ELj64E21rocsparse_complex_numIfEllfS2_S2_EEvT3_20rocsparse_direction_NS_24const_host_device_scalarIT1_EES3_PKS3_PKT2_SC_S9_PKT4_PKT5_S7_PT6_21rocsparse_index_base_b.private_seg_size, 0
	.set _ZN9rocsparseL18bsrxmvn_3x3_kernelILj256ELj64E21rocsparse_complex_numIfEllfS2_S2_EEvT3_20rocsparse_direction_NS_24const_host_device_scalarIT1_EES3_PKS3_PKT2_SC_S9_PKT4_PKT5_S7_PT6_21rocsparse_index_base_b.uses_vcc, 1
	.set _ZN9rocsparseL18bsrxmvn_3x3_kernelILj256ELj64E21rocsparse_complex_numIfEllfS2_S2_EEvT3_20rocsparse_direction_NS_24const_host_device_scalarIT1_EES3_PKS3_PKT2_SC_S9_PKT4_PKT5_S7_PT6_21rocsparse_index_base_b.uses_flat_scratch, 0
	.set _ZN9rocsparseL18bsrxmvn_3x3_kernelILj256ELj64E21rocsparse_complex_numIfEllfS2_S2_EEvT3_20rocsparse_direction_NS_24const_host_device_scalarIT1_EES3_PKS3_PKT2_SC_S9_PKT4_PKT5_S7_PT6_21rocsparse_index_base_b.has_dyn_sized_stack, 0
	.set _ZN9rocsparseL18bsrxmvn_3x3_kernelILj256ELj64E21rocsparse_complex_numIfEllfS2_S2_EEvT3_20rocsparse_direction_NS_24const_host_device_scalarIT1_EES3_PKS3_PKT2_SC_S9_PKT4_PKT5_S7_PT6_21rocsparse_index_base_b.has_recursion, 0
	.set _ZN9rocsparseL18bsrxmvn_3x3_kernelILj256ELj64E21rocsparse_complex_numIfEllfS2_S2_EEvT3_20rocsparse_direction_NS_24const_host_device_scalarIT1_EES3_PKS3_PKT2_SC_S9_PKT4_PKT5_S7_PT6_21rocsparse_index_base_b.has_indirect_call, 0
	.section	.AMDGPU.csdata,"",@progbits
; Kernel info:
; codeLenInByte = 2904
; TotalNumSgprs: 14
; NumVgprs: 42
; ScratchSize: 0
; MemoryBound: 0
; FloatMode: 240
; IeeeMode: 1
; LDSByteSize: 0 bytes/workgroup (compile time only)
; SGPRBlocks: 0
; VGPRBlocks: 5
; NumSGPRsForWavesPerEU: 14
; NumVGPRsForWavesPerEU: 42
; Occupancy: 16
; WaveLimiterHint : 1
; COMPUTE_PGM_RSRC2:SCRATCH_EN: 0
; COMPUTE_PGM_RSRC2:USER_SGPR: 2
; COMPUTE_PGM_RSRC2:TRAP_HANDLER: 0
; COMPUTE_PGM_RSRC2:TGID_X_EN: 1
; COMPUTE_PGM_RSRC2:TGID_Y_EN: 0
; COMPUTE_PGM_RSRC2:TGID_Z_EN: 0
; COMPUTE_PGM_RSRC2:TIDIG_COMP_CNT: 0
	.section	.text._ZN9rocsparseL18bsrxmvn_3x3_kernelILj256ELj4E21rocsparse_complex_numIdEiidS2_S2_EEvT3_20rocsparse_direction_NS_24const_host_device_scalarIT1_EES3_PKS3_PKT2_SC_S9_PKT4_PKT5_S7_PT6_21rocsparse_index_base_b,"axG",@progbits,_ZN9rocsparseL18bsrxmvn_3x3_kernelILj256ELj4E21rocsparse_complex_numIdEiidS2_S2_EEvT3_20rocsparse_direction_NS_24const_host_device_scalarIT1_EES3_PKS3_PKT2_SC_S9_PKT4_PKT5_S7_PT6_21rocsparse_index_base_b,comdat
	.globl	_ZN9rocsparseL18bsrxmvn_3x3_kernelILj256ELj4E21rocsparse_complex_numIdEiidS2_S2_EEvT3_20rocsparse_direction_NS_24const_host_device_scalarIT1_EES3_PKS3_PKT2_SC_S9_PKT4_PKT5_S7_PT6_21rocsparse_index_base_b ; -- Begin function _ZN9rocsparseL18bsrxmvn_3x3_kernelILj256ELj4E21rocsparse_complex_numIdEiidS2_S2_EEvT3_20rocsparse_direction_NS_24const_host_device_scalarIT1_EES3_PKS3_PKT2_SC_S9_PKT4_PKT5_S7_PT6_21rocsparse_index_base_b
	.p2align	8
	.type	_ZN9rocsparseL18bsrxmvn_3x3_kernelILj256ELj4E21rocsparse_complex_numIdEiidS2_S2_EEvT3_20rocsparse_direction_NS_24const_host_device_scalarIT1_EES3_PKS3_PKT2_SC_S9_PKT4_PKT5_S7_PT6_21rocsparse_index_base_b,@function
_ZN9rocsparseL18bsrxmvn_3x3_kernelILj256ELj4E21rocsparse_complex_numIdEiidS2_S2_EEvT3_20rocsparse_direction_NS_24const_host_device_scalarIT1_EES3_PKS3_PKT2_SC_S9_PKT4_PKT5_S7_PT6_21rocsparse_index_base_b: ; @_ZN9rocsparseL18bsrxmvn_3x3_kernelILj256ELj4E21rocsparse_complex_numIdEiidS2_S2_EEvT3_20rocsparse_direction_NS_24const_host_device_scalarIT1_EES3_PKS3_PKT2_SC_S9_PKT4_PKT5_S7_PT6_21rocsparse_index_base_b
; %bb.0:
	s_clause 0x1
	s_load_b64 s[12:13], s[0:1], 0x68
	s_load_b64 s[2:3], s[0:1], 0x8
	s_add_nc_u64 s[4:5], s[0:1], 8
	s_load_b64 s[6:7], s[0:1], 0x50
	s_wait_kmcnt 0x0
	s_bitcmp1_b32 s13, 0
	s_cselect_b32 s2, s4, s2
	s_cselect_b32 s3, s5, s3
	s_delay_alu instid0(SALU_CYCLE_1)
	v_dual_mov_b32 v1, s2 :: v_dual_mov_b32 v2, s3
	s_add_nc_u64 s[2:3], s[0:1], 0x50
	s_wait_alu 0xfffe
	s_cselect_b32 s2, s2, s6
	s_cselect_b32 s3, s3, s7
	flat_load_b128 v[5:8], v[1:2]
	s_wait_alu 0xfffe
	v_dual_mov_b32 v1, s2 :: v_dual_mov_b32 v2, s3
	flat_load_b128 v[1:4], v[1:2]
	s_wait_loadcnt_dscnt 0x101
	v_cmp_eq_f64_e32 vcc_lo, 0, v[5:6]
	v_cmp_eq_f64_e64 s2, 0, v[7:8]
	s_and_b32 s4, vcc_lo, s2
	s_mov_b32 s2, -1
	s_and_saveexec_b32 s3, s4
	s_cbranch_execz .LBB135_2
; %bb.1:
	s_wait_loadcnt_dscnt 0x0
	v_cmp_neq_f64_e32 vcc_lo, 1.0, v[1:2]
	v_cmp_neq_f64_e64 s2, 0, v[3:4]
	s_wait_alu 0xfffe
	s_or_b32 s2, vcc_lo, s2
	s_wait_alu 0xfffe
	s_or_not1_b32 s2, s2, exec_lo
.LBB135_2:
	s_wait_alu 0xfffe
	s_or_b32 exec_lo, exec_lo, s3
	s_and_saveexec_b32 s3, s2
	s_cbranch_execz .LBB135_8
; %bb.3:
	s_clause 0x1
	s_load_b64 s[4:5], s[0:1], 0x20
	s_load_b64 s[2:3], s[0:1], 0x0
	v_lshrrev_b32_e32 v9, 2, v0
	s_delay_alu instid0(VALU_DEP_1)
	v_lshl_or_b32 v17, ttmp9, 6, v9
	s_wait_kmcnt 0x0
	s_cmp_lg_u64 s[4:5], 0
	s_cbranch_scc0 .LBB135_9
; %bb.4:
	s_load_b32 s6, s[0:1], 0x18
	s_mov_b32 s7, 0
                                        ; implicit-def: $vgpr9
	s_wait_kmcnt 0x0
	v_cmp_gt_i32_e32 vcc_lo, s6, v17
	s_mov_b32 s6, 0
	s_and_saveexec_b32 s8, vcc_lo
	s_delay_alu instid0(SALU_CYCLE_1)
	s_xor_b32 s8, exec_lo, s8
	s_cbranch_execz .LBB135_6
; %bb.5:
	v_ashrrev_i32_e32 v18, 31, v17
	s_mov_b32 s6, exec_lo
	s_delay_alu instid0(VALU_DEP_1) | instskip(NEXT) | instid1(VALU_DEP_1)
	v_lshlrev_b64_e32 v[9:10], 2, v[17:18]
	v_add_co_u32 v9, vcc_lo, s4, v9
	s_delay_alu instid0(VALU_DEP_1)
	v_add_co_ci_u32_e64 v10, null, s5, v10, vcc_lo
	global_load_b32 v9, v[9:10], off
	s_wait_loadcnt 0x0
	v_subrev_nc_u32_e32 v9, s12, v9
.LBB135_6:
	s_or_b32 exec_lo, exec_lo, s8
	s_delay_alu instid0(SALU_CYCLE_1)
	s_and_b32 vcc_lo, exec_lo, s7
	s_wait_alu 0xfffe
	s_cbranch_vccz .LBB135_10
.LBB135_7:
	v_cmp_gt_i32_e32 vcc_lo, s2, v17
	s_and_not1_b32 s2, s6, exec_lo
	s_and_b32 s4, vcc_lo, exec_lo
	s_wait_alu 0xfffe
	s_or_b32 s6, s2, s4
	s_wait_alu 0xfffe
	s_and_b32 exec_lo, exec_lo, s6
	s_cbranch_execnz .LBB135_11
.LBB135_8:
	s_endpgm
.LBB135_9:
	s_mov_b32 s6, 0
                                        ; implicit-def: $vgpr9
	s_cbranch_execnz .LBB135_7
.LBB135_10:
	v_mov_b32_e32 v17, v9
	s_and_b32 exec_lo, exec_lo, s6
	s_cbranch_execz .LBB135_8
.LBB135_11:
	s_load_b256 s[4:11], s[0:1], 0x28
	s_delay_alu instid0(VALU_DEP_1) | instskip(SKIP_1) | instid1(VALU_DEP_2)
	v_ashrrev_i32_e32 v18, 31, v17
	v_and_b32_e32 v0, 3, v0
	v_lshlrev_b64_e32 v[9:10], 2, v[17:18]
	s_wait_kmcnt 0x0
	s_delay_alu instid0(VALU_DEP_1) | instskip(SKIP_1) | instid1(VALU_DEP_2)
	v_add_co_u32 v11, vcc_lo, s4, v9
	s_wait_alu 0xfffd
	v_add_co_ci_u32_e64 v12, null, s5, v10, vcc_lo
	v_add_co_u32 v9, vcc_lo, s6, v9
	s_wait_alu 0xfffd
	v_add_co_ci_u32_e64 v10, null, s7, v10, vcc_lo
	;; [unrolled: 3-line block ×3, first 2 shown]
	s_cmp_eq_u64 s[6:7], 0
	global_load_b32 v11, v[11:12], off
	s_cselect_b32 vcc_lo, -1, 0
	s_load_b64 s[4:5], s[0:1], 0x48
	v_dual_cndmask_b32 v10, v10, v14 :: v_dual_cndmask_b32 v9, v9, v13
	s_cmp_eq_u32 s3, 1
	global_load_b32 v9, v[9:10], off
	s_wait_loadcnt 0x1
	v_subrev_nc_u32_e32 v10, s12, v11
	s_delay_alu instid0(VALU_DEP_1) | instskip(SKIP_2) | instid1(VALU_DEP_2)
	v_add_nc_u32_e32 v11, v10, v0
	s_wait_loadcnt 0x0
	v_subrev_nc_u32_e32 v30, s12, v9
	v_mad_co_i64_i32 v[13:14], null, 0x48, v11, s[10:11]
	s_delay_alu instid0(VALU_DEP_2)
	v_cmp_lt_i32_e64 s2, v11, v30
	s_cbranch_scc1 .LBB135_17
; %bb.12:
	v_dual_mov_b32 v9, 0 :: v_dual_mov_b32 v18, 0
	v_mov_b32_e32 v22, 0
	v_dual_mov_b32 v10, 0 :: v_dual_mov_b32 v15, 0
	v_dual_mov_b32 v19, 0 :: v_dual_mov_b32 v20, 0
	;; [unrolled: 1-line block ×4, first 2 shown]
	v_mov_b32_e32 v25, 0
	s_and_saveexec_b32 s6, s2
	s_cbranch_execz .LBB135_16
; %bb.13:
	v_dual_mov_b32 v9, 0 :: v_dual_mov_b32 v26, v11
	v_dual_mov_b32 v10, 0 :: v_dual_mov_b32 v15, 0
	v_mov_b32_e32 v18, 0
	v_mov_b32_e32 v20, 0
	;; [unrolled: 1-line block ×3, first 2 shown]
	v_dual_mov_b32 v24, 0 :: v_dual_mov_b32 v29, v14
	v_dual_mov_b32 v16, 0 :: v_dual_mov_b32 v19, 0
	v_mov_b32_e32 v21, 0
	v_mov_b32_e32 v23, 0
	v_dual_mov_b32 v25, 0 :: v_dual_mov_b32 v28, v13
	s_mov_b32 s7, 0
.LBB135_14:                             ; =>This Inner Loop Header: Depth=1
	v_ashrrev_i32_e32 v27, 31, v26
	s_delay_alu instid0(VALU_DEP_1) | instskip(SKIP_1) | instid1(VALU_DEP_2)
	v_lshlrev_b64_e32 v[31:32], 2, v[26:27]
	v_add_nc_u32_e32 v26, 4, v26
	v_add_co_u32 v31, vcc_lo, s8, v31
	s_wait_alu 0xfffd
	s_delay_alu instid0(VALU_DEP_3)
	v_add_co_ci_u32_e64 v32, null, s9, v32, vcc_lo
	global_load_b32 v12, v[31:32], off
	s_clause 0x2
	global_load_b128 v[31:34], v[28:29], off offset:48
	global_load_b128 v[35:38], v[28:29], off offset:16
	global_load_b128 v[39:42], v[28:29], off
	s_wait_loadcnt 0x3
	v_subrev_nc_u32_e32 v12, s12, v12
	s_delay_alu instid0(VALU_DEP_1) | instskip(NEXT) | instid1(VALU_DEP_1)
	v_lshl_add_u32 v43, v12, 1, v12
	v_ashrrev_i32_e32 v44, 31, v43
	s_delay_alu instid0(VALU_DEP_1) | instskip(SKIP_1) | instid1(VALU_DEP_1)
	v_lshlrev_b64_e32 v[43:44], 4, v[43:44]
	s_wait_kmcnt 0x0
	v_add_co_u32 v55, vcc_lo, s4, v43
	s_wait_alu 0xfffd
	s_delay_alu instid0(VALU_DEP_2)
	v_add_co_ci_u32_e64 v56, null, s5, v44, vcc_lo
	v_cmp_ge_i32_e32 vcc_lo, v26, v30
	s_clause 0x1
	global_load_b128 v[43:46], v[55:56], off
	global_load_b128 v[47:50], v[55:56], off offset:16
	s_clause 0x1
	global_load_b128 v[51:54], v[28:29], off offset:32
	global_load_b64 v[59:60], v[28:29], off offset:64
	global_load_b128 v[55:58], v[55:56], off offset:32
	v_add_co_u32 v28, s3, 0x120, v28
	s_wait_alu 0xf1ff
	v_add_co_ci_u32_e64 v29, null, 0, v29, s3
	s_wait_alu 0xfffe
	s_or_b32 s7, vcc_lo, s7
	s_wait_loadcnt 0x4
	v_fma_f64 v[15:16], v[39:40], v[43:44], v[15:16]
	v_fma_f64 v[9:10], v[43:44], 0, v[9:10]
	;; [unrolled: 1-line block ×12, first 2 shown]
	s_wait_loadcnt 0x3
	v_fma_f64 v[15:16], v[41:42], v[47:48], v[15:16]
	v_fma_f64 v[9:10], v[47:48], 0, v[9:10]
	s_wait_loadcnt 0x2
	v_fma_f64 v[20:21], v[51:52], v[47:48], v[20:21]
	v_fma_f64 v[18:19], v[47:48], 0, v[18:19]
	;; [unrolled: 1-line block ×10, first 2 shown]
	s_wait_loadcnt 0x0
	v_fma_f64 v[15:16], v[35:36], v[55:56], v[15:16]
	v_fma_f64 v[9:10], v[55:56], 0, v[9:10]
	;; [unrolled: 1-line block ×12, first 2 shown]
	s_wait_alu 0xfffe
	s_and_not1_b32 exec_lo, exec_lo, s7
	s_cbranch_execnz .LBB135_14
; %bb.15:
	s_or_b32 exec_lo, exec_lo, s7
.LBB135_16:
	s_wait_alu 0xfffe
	s_or_b32 exec_lo, exec_lo, s6
	s_cbranch_execz .LBB135_18
	s_branch .LBB135_23
.LBB135_17:
                                        ; implicit-def: $vgpr9_vgpr10
                                        ; implicit-def: $vgpr15_vgpr16
                                        ; implicit-def: $vgpr18_vgpr19
                                        ; implicit-def: $vgpr20_vgpr21
                                        ; implicit-def: $vgpr22_vgpr23
                                        ; implicit-def: $vgpr24_vgpr25
.LBB135_18:
	v_dual_mov_b32 v9, 0 :: v_dual_mov_b32 v18, 0
	v_mov_b32_e32 v22, 0
	v_dual_mov_b32 v10, 0 :: v_dual_mov_b32 v15, 0
	v_dual_mov_b32 v19, 0 :: v_dual_mov_b32 v20, 0
	;; [unrolled: 1-line block ×4, first 2 shown]
	v_mov_b32_e32 v25, 0
	s_and_saveexec_b32 s3, s2
	s_cbranch_execz .LBB135_22
; %bb.19:
	v_dual_mov_b32 v9, 0 :: v_dual_mov_b32 v18, 0
	v_mov_b32_e32 v22, 0
	v_dual_mov_b32 v10, 0 :: v_dual_mov_b32 v15, 0
	v_dual_mov_b32 v19, 0 :: v_dual_mov_b32 v20, 0
	;; [unrolled: 1-line block ×4, first 2 shown]
	v_mov_b32_e32 v25, 0
	s_mov_b32 s6, 0
.LBB135_20:                             ; =>This Inner Loop Header: Depth=1
	v_ashrrev_i32_e32 v12, 31, v11
	s_delay_alu instid0(VALU_DEP_1) | instskip(SKIP_1) | instid1(VALU_DEP_2)
	v_lshlrev_b64_e32 v[26:27], 2, v[11:12]
	v_add_nc_u32_e32 v11, 4, v11
	v_add_co_u32 v26, vcc_lo, s8, v26
	s_wait_alu 0xfffd
	s_delay_alu instid0(VALU_DEP_3)
	v_add_co_ci_u32_e64 v27, null, s9, v27, vcc_lo
	global_load_b32 v12, v[26:27], off
	s_clause 0x1
	global_load_b128 v[26:29], v[13:14], off offset:16
	global_load_b128 v[31:34], v[13:14], off
	s_wait_loadcnt 0x2
	v_subrev_nc_u32_e32 v12, s12, v12
	s_delay_alu instid0(VALU_DEP_1) | instskip(NEXT) | instid1(VALU_DEP_1)
	v_lshl_add_u32 v35, v12, 1, v12
	v_ashrrev_i32_e32 v36, 31, v35
	s_delay_alu instid0(VALU_DEP_1) | instskip(SKIP_1) | instid1(VALU_DEP_1)
	v_lshlrev_b64_e32 v[35:36], 4, v[35:36]
	s_wait_kmcnt 0x0
	v_add_co_u32 v51, vcc_lo, s4, v35
	s_wait_alu 0xfffd
	s_delay_alu instid0(VALU_DEP_2)
	v_add_co_ci_u32_e64 v52, null, s5, v36, vcc_lo
	v_cmp_ge_i32_e32 vcc_lo, v11, v30
	s_clause 0x1
	global_load_b128 v[35:38], v[51:52], off
	global_load_b128 v[39:42], v[51:52], off offset:16
	s_clause 0x2
	global_load_b128 v[43:46], v[13:14], off offset:32
	global_load_b128 v[47:50], v[13:14], off offset:48
	global_load_b64 v[55:56], v[13:14], off offset:64
	global_load_b128 v[51:54], v[51:52], off offset:32
	v_add_co_u32 v13, s2, 0x120, v13
	s_wait_alu 0xf1ff
	v_add_co_ci_u32_e64 v14, null, 0, v14, s2
	s_wait_alu 0xfffe
	s_or_b32 s6, vcc_lo, s6
	s_wait_loadcnt 0x5
	v_fma_f64 v[15:16], v[31:32], v[35:36], v[15:16]
	v_fma_f64 v[9:10], v[35:36], 0, v[9:10]
	;; [unrolled: 1-line block ×12, first 2 shown]
	s_wait_loadcnt 0x4
	v_fma_f64 v[15:16], v[28:29], v[39:40], v[15:16]
	v_fma_f64 v[9:10], v[39:40], 0, v[9:10]
	s_wait_loadcnt 0x3
	v_fma_f64 v[20:21], v[43:44], v[39:40], v[20:21]
	v_fma_f64 v[18:19], v[39:40], 0, v[18:19]
	;; [unrolled: 1-line block ×10, first 2 shown]
	s_wait_loadcnt 0x0
	v_fma_f64 v[15:16], v[47:48], v[51:52], v[15:16]
	v_fma_f64 v[9:10], v[51:52], 0, v[9:10]
	;; [unrolled: 1-line block ×12, first 2 shown]
	s_wait_alu 0xfffe
	s_and_not1_b32 exec_lo, exec_lo, s6
	s_cbranch_execnz .LBB135_20
; %bb.21:
	s_or_b32 exec_lo, exec_lo, s6
.LBB135_22:
	s_wait_alu 0xfffe
	s_or_b32 exec_lo, exec_lo, s3
.LBB135_23:
	v_mbcnt_lo_u32_b32 v36, -1, 0
	s_delay_alu instid0(VALU_DEP_1) | instskip(NEXT) | instid1(VALU_DEP_1)
	v_xor_b32_e32 v11, 2, v36
	v_cmp_gt_i32_e32 vcc_lo, 32, v11
	s_wait_alu 0xfffd
	v_cndmask_b32_e32 v11, v36, v11, vcc_lo
	s_delay_alu instid0(VALU_DEP_1)
	v_lshlrev_b32_e32 v26, 2, v11
	ds_bpermute_b32 v11, v26, v15
	ds_bpermute_b32 v12, v26, v16
	;; [unrolled: 1-line block ×12, first 2 shown]
	s_wait_dscnt 0xa
	v_add_f64_e32 v[11:12], v[15:16], v[11:12]
	s_wait_dscnt 0x8
	v_add_f64_e32 v[26:27], v[9:10], v[13:14]
	;; [unrolled: 2-line block ×3, first 2 shown]
	v_xor_b32_e32 v20, 1, v36
	s_wait_dscnt 0x4
	v_add_f64_e32 v[18:19], v[18:19], v[30:31]
	s_wait_dscnt 0x2
	v_add_f64_e32 v[13:14], v[24:25], v[32:33]
	;; [unrolled: 2-line block ×3, first 2 shown]
	v_cmp_gt_i32_e32 vcc_lo, 32, v20
	s_wait_alu 0xfffd
	v_cndmask_b32_e32 v20, v36, v20, vcc_lo
	v_cmp_eq_u32_e32 vcc_lo, 3, v0
	s_delay_alu instid0(VALU_DEP_2)
	v_lshlrev_b32_e32 v29, 2, v20
	ds_bpermute_b32 v20, v29, v11
	ds_bpermute_b32 v21, v29, v12
	;; [unrolled: 1-line block ×12, first 2 shown]
	s_and_b32 exec_lo, exec_lo, vcc_lo
	s_cbranch_execz .LBB135_8
; %bb.24:
	s_wait_dscnt 0x8
	v_add_f64_e32 v[26:27], v[26:27], v[32:33]
	s_wait_dscnt 0x4
	v_add_f64_e32 v[18:19], v[18:19], v[30:31]
	s_wait_dscnt 0x0
	v_add_f64_e32 v[15:16], v[15:16], v[28:29]
	v_add_f64_e32 v[11:12], v[11:12], v[20:21]
	v_add_f64_e32 v[20:21], v[9:10], v[22:23]
	;; [unrolled: 1-line block ×3, first 2 shown]
	v_cmp_eq_f64_e32 vcc_lo, 0, v[1:2]
	v_cmp_eq_f64_e64 s2, 0, v[3:4]
	s_load_b64 s[0:1], s[0:1], 0x60
	v_lshl_add_u32 v17, v17, 1, v17
	v_mul_f64_e64 v[9:10], v[26:27], -v[7:8]
	v_mul_f64_e32 v[24:25], v[5:6], v[26:27]
	v_mul_f64_e64 v[26:27], v[18:19], -v[7:8]
	v_mul_f64_e32 v[18:19], v[5:6], v[18:19]
	;; [unrolled: 2-line block ×3, first 2 shown]
	s_and_b32 s2, vcc_lo, s2
	v_fma_f64 v[13:14], v[5:6], v[11:12], v[9:10]
	v_fma_f64 v[15:16], v[7:8], v[11:12], v[24:25]
	;; [unrolled: 1-line block ×6, first 2 shown]
	v_ashrrev_i32_e32 v18, 31, v17
	s_wait_alu 0xfffe
	s_and_saveexec_b32 s3, s2
	s_wait_alu 0xfffe
	s_xor_b32 s2, exec_lo, s3
	s_cbranch_execz .LBB135_26
; %bb.25:
	v_lshlrev_b64_e32 v[0:1], 4, v[17:18]
                                        ; implicit-def: $vgpr17
	s_wait_kmcnt 0x0
	s_delay_alu instid0(VALU_DEP_1) | instskip(SKIP_1) | instid1(VALU_DEP_2)
	v_add_co_u32 v0, vcc_lo, s0, v0
	s_wait_alu 0xfffd
	v_add_co_ci_u32_e64 v1, null, s1, v1, vcc_lo
	s_clause 0x2
	global_store_b128 v[0:1], v[13:16], off
	global_store_b128 v[0:1], v[9:12], off offset:16
	global_store_b128 v[0:1], v[5:8], off offset:32
                                        ; implicit-def: $vgpr3_vgpr4
                                        ; implicit-def: $vgpr13_vgpr14
                                        ; implicit-def: $vgpr9_vgpr10
                                        ; implicit-def: $vgpr5_vgpr6
.LBB135_26:
	s_wait_alu 0xfffe
	s_and_not1_saveexec_b32 s2, s2
	s_cbranch_execz .LBB135_8
; %bb.27:
	v_lshlrev_b64_e32 v[17:18], 4, v[17:18]
	s_wait_kmcnt 0x0
	s_delay_alu instid0(VALU_DEP_1) | instskip(SKIP_1) | instid1(VALU_DEP_2)
	v_add_co_u32 v29, vcc_lo, s0, v17
	s_wait_alu 0xfffd
	v_add_co_ci_u32_e64 v30, null, s1, v18, vcc_lo
	s_clause 0x2
	global_load_b128 v[17:20], v[29:30], off
	global_load_b128 v[21:24], v[29:30], off offset:16
	global_load_b128 v[25:28], v[29:30], off offset:32
	s_wait_loadcnt 0x2
	v_fma_f64 v[13:14], v[1:2], v[17:18], v[13:14]
	v_fma_f64 v[15:16], v[3:4], v[17:18], v[15:16]
	s_wait_loadcnt 0x1
	v_fma_f64 v[9:10], v[1:2], v[21:22], v[9:10]
	v_fma_f64 v[11:12], v[3:4], v[21:22], v[11:12]
	;; [unrolled: 3-line block ×3, first 2 shown]
	v_fma_f64 v[5:6], -v[3:4], v[19:20], v[13:14]
	v_fma_f64 v[7:8], v[1:2], v[19:20], v[15:16]
	v_fma_f64 v[9:10], -v[3:4], v[23:24], v[9:10]
	v_fma_f64 v[11:12], v[1:2], v[23:24], v[11:12]
	;; [unrolled: 2-line block ×3, first 2 shown]
	s_clause 0x2
	global_store_b128 v[29:30], v[5:8], off
	global_store_b128 v[29:30], v[9:12], off offset:16
	global_store_b128 v[29:30], v[13:16], off offset:32
	s_endpgm
	.section	.rodata,"a",@progbits
	.p2align	6, 0x0
	.amdhsa_kernel _ZN9rocsparseL18bsrxmvn_3x3_kernelILj256ELj4E21rocsparse_complex_numIdEiidS2_S2_EEvT3_20rocsparse_direction_NS_24const_host_device_scalarIT1_EES3_PKS3_PKT2_SC_S9_PKT4_PKT5_S7_PT6_21rocsparse_index_base_b
		.amdhsa_group_segment_fixed_size 0
		.amdhsa_private_segment_fixed_size 0
		.amdhsa_kernarg_size 112
		.amdhsa_user_sgpr_count 2
		.amdhsa_user_sgpr_dispatch_ptr 0
		.amdhsa_user_sgpr_queue_ptr 0
		.amdhsa_user_sgpr_kernarg_segment_ptr 1
		.amdhsa_user_sgpr_dispatch_id 0
		.amdhsa_user_sgpr_private_segment_size 0
		.amdhsa_wavefront_size32 1
		.amdhsa_uses_dynamic_stack 0
		.amdhsa_enable_private_segment 0
		.amdhsa_system_sgpr_workgroup_id_x 1
		.amdhsa_system_sgpr_workgroup_id_y 0
		.amdhsa_system_sgpr_workgroup_id_z 0
		.amdhsa_system_sgpr_workgroup_info 0
		.amdhsa_system_vgpr_workitem_id 0
		.amdhsa_next_free_vgpr 61
		.amdhsa_next_free_sgpr 14
		.amdhsa_reserve_vcc 1
		.amdhsa_float_round_mode_32 0
		.amdhsa_float_round_mode_16_64 0
		.amdhsa_float_denorm_mode_32 3
		.amdhsa_float_denorm_mode_16_64 3
		.amdhsa_fp16_overflow 0
		.amdhsa_workgroup_processor_mode 1
		.amdhsa_memory_ordered 1
		.amdhsa_forward_progress 1
		.amdhsa_inst_pref_size 23
		.amdhsa_round_robin_scheduling 0
		.amdhsa_exception_fp_ieee_invalid_op 0
		.amdhsa_exception_fp_denorm_src 0
		.amdhsa_exception_fp_ieee_div_zero 0
		.amdhsa_exception_fp_ieee_overflow 0
		.amdhsa_exception_fp_ieee_underflow 0
		.amdhsa_exception_fp_ieee_inexact 0
		.amdhsa_exception_int_div_zero 0
	.end_amdhsa_kernel
	.section	.text._ZN9rocsparseL18bsrxmvn_3x3_kernelILj256ELj4E21rocsparse_complex_numIdEiidS2_S2_EEvT3_20rocsparse_direction_NS_24const_host_device_scalarIT1_EES3_PKS3_PKT2_SC_S9_PKT4_PKT5_S7_PT6_21rocsparse_index_base_b,"axG",@progbits,_ZN9rocsparseL18bsrxmvn_3x3_kernelILj256ELj4E21rocsparse_complex_numIdEiidS2_S2_EEvT3_20rocsparse_direction_NS_24const_host_device_scalarIT1_EES3_PKS3_PKT2_SC_S9_PKT4_PKT5_S7_PT6_21rocsparse_index_base_b,comdat
.Lfunc_end135:
	.size	_ZN9rocsparseL18bsrxmvn_3x3_kernelILj256ELj4E21rocsparse_complex_numIdEiidS2_S2_EEvT3_20rocsparse_direction_NS_24const_host_device_scalarIT1_EES3_PKS3_PKT2_SC_S9_PKT4_PKT5_S7_PT6_21rocsparse_index_base_b, .Lfunc_end135-_ZN9rocsparseL18bsrxmvn_3x3_kernelILj256ELj4E21rocsparse_complex_numIdEiidS2_S2_EEvT3_20rocsparse_direction_NS_24const_host_device_scalarIT1_EES3_PKS3_PKT2_SC_S9_PKT4_PKT5_S7_PT6_21rocsparse_index_base_b
                                        ; -- End function
	.set _ZN9rocsparseL18bsrxmvn_3x3_kernelILj256ELj4E21rocsparse_complex_numIdEiidS2_S2_EEvT3_20rocsparse_direction_NS_24const_host_device_scalarIT1_EES3_PKS3_PKT2_SC_S9_PKT4_PKT5_S7_PT6_21rocsparse_index_base_b.num_vgpr, 61
	.set _ZN9rocsparseL18bsrxmvn_3x3_kernelILj256ELj4E21rocsparse_complex_numIdEiidS2_S2_EEvT3_20rocsparse_direction_NS_24const_host_device_scalarIT1_EES3_PKS3_PKT2_SC_S9_PKT4_PKT5_S7_PT6_21rocsparse_index_base_b.num_agpr, 0
	.set _ZN9rocsparseL18bsrxmvn_3x3_kernelILj256ELj4E21rocsparse_complex_numIdEiidS2_S2_EEvT3_20rocsparse_direction_NS_24const_host_device_scalarIT1_EES3_PKS3_PKT2_SC_S9_PKT4_PKT5_S7_PT6_21rocsparse_index_base_b.numbered_sgpr, 14
	.set _ZN9rocsparseL18bsrxmvn_3x3_kernelILj256ELj4E21rocsparse_complex_numIdEiidS2_S2_EEvT3_20rocsparse_direction_NS_24const_host_device_scalarIT1_EES3_PKS3_PKT2_SC_S9_PKT4_PKT5_S7_PT6_21rocsparse_index_base_b.num_named_barrier, 0
	.set _ZN9rocsparseL18bsrxmvn_3x3_kernelILj256ELj4E21rocsparse_complex_numIdEiidS2_S2_EEvT3_20rocsparse_direction_NS_24const_host_device_scalarIT1_EES3_PKS3_PKT2_SC_S9_PKT4_PKT5_S7_PT6_21rocsparse_index_base_b.private_seg_size, 0
	.set _ZN9rocsparseL18bsrxmvn_3x3_kernelILj256ELj4E21rocsparse_complex_numIdEiidS2_S2_EEvT3_20rocsparse_direction_NS_24const_host_device_scalarIT1_EES3_PKS3_PKT2_SC_S9_PKT4_PKT5_S7_PT6_21rocsparse_index_base_b.uses_vcc, 1
	.set _ZN9rocsparseL18bsrxmvn_3x3_kernelILj256ELj4E21rocsparse_complex_numIdEiidS2_S2_EEvT3_20rocsparse_direction_NS_24const_host_device_scalarIT1_EES3_PKS3_PKT2_SC_S9_PKT4_PKT5_S7_PT6_21rocsparse_index_base_b.uses_flat_scratch, 0
	.set _ZN9rocsparseL18bsrxmvn_3x3_kernelILj256ELj4E21rocsparse_complex_numIdEiidS2_S2_EEvT3_20rocsparse_direction_NS_24const_host_device_scalarIT1_EES3_PKS3_PKT2_SC_S9_PKT4_PKT5_S7_PT6_21rocsparse_index_base_b.has_dyn_sized_stack, 0
	.set _ZN9rocsparseL18bsrxmvn_3x3_kernelILj256ELj4E21rocsparse_complex_numIdEiidS2_S2_EEvT3_20rocsparse_direction_NS_24const_host_device_scalarIT1_EES3_PKS3_PKT2_SC_S9_PKT4_PKT5_S7_PT6_21rocsparse_index_base_b.has_recursion, 0
	.set _ZN9rocsparseL18bsrxmvn_3x3_kernelILj256ELj4E21rocsparse_complex_numIdEiidS2_S2_EEvT3_20rocsparse_direction_NS_24const_host_device_scalarIT1_EES3_PKS3_PKT2_SC_S9_PKT4_PKT5_S7_PT6_21rocsparse_index_base_b.has_indirect_call, 0
	.section	.AMDGPU.csdata,"",@progbits
; Kernel info:
; codeLenInByte = 2884
; TotalNumSgprs: 16
; NumVgprs: 61
; ScratchSize: 0
; MemoryBound: 0
; FloatMode: 240
; IeeeMode: 1
; LDSByteSize: 0 bytes/workgroup (compile time only)
; SGPRBlocks: 0
; VGPRBlocks: 7
; NumSGPRsForWavesPerEU: 16
; NumVGPRsForWavesPerEU: 61
; Occupancy: 16
; WaveLimiterHint : 1
; COMPUTE_PGM_RSRC2:SCRATCH_EN: 0
; COMPUTE_PGM_RSRC2:USER_SGPR: 2
; COMPUTE_PGM_RSRC2:TRAP_HANDLER: 0
; COMPUTE_PGM_RSRC2:TGID_X_EN: 1
; COMPUTE_PGM_RSRC2:TGID_Y_EN: 0
; COMPUTE_PGM_RSRC2:TGID_Z_EN: 0
; COMPUTE_PGM_RSRC2:TIDIG_COMP_CNT: 0
	.section	.text._ZN9rocsparseL18bsrxmvn_3x3_kernelILj256ELj8E21rocsparse_complex_numIdEiidS2_S2_EEvT3_20rocsparse_direction_NS_24const_host_device_scalarIT1_EES3_PKS3_PKT2_SC_S9_PKT4_PKT5_S7_PT6_21rocsparse_index_base_b,"axG",@progbits,_ZN9rocsparseL18bsrxmvn_3x3_kernelILj256ELj8E21rocsparse_complex_numIdEiidS2_S2_EEvT3_20rocsparse_direction_NS_24const_host_device_scalarIT1_EES3_PKS3_PKT2_SC_S9_PKT4_PKT5_S7_PT6_21rocsparse_index_base_b,comdat
	.globl	_ZN9rocsparseL18bsrxmvn_3x3_kernelILj256ELj8E21rocsparse_complex_numIdEiidS2_S2_EEvT3_20rocsparse_direction_NS_24const_host_device_scalarIT1_EES3_PKS3_PKT2_SC_S9_PKT4_PKT5_S7_PT6_21rocsparse_index_base_b ; -- Begin function _ZN9rocsparseL18bsrxmvn_3x3_kernelILj256ELj8E21rocsparse_complex_numIdEiidS2_S2_EEvT3_20rocsparse_direction_NS_24const_host_device_scalarIT1_EES3_PKS3_PKT2_SC_S9_PKT4_PKT5_S7_PT6_21rocsparse_index_base_b
	.p2align	8
	.type	_ZN9rocsparseL18bsrxmvn_3x3_kernelILj256ELj8E21rocsparse_complex_numIdEiidS2_S2_EEvT3_20rocsparse_direction_NS_24const_host_device_scalarIT1_EES3_PKS3_PKT2_SC_S9_PKT4_PKT5_S7_PT6_21rocsparse_index_base_b,@function
_ZN9rocsparseL18bsrxmvn_3x3_kernelILj256ELj8E21rocsparse_complex_numIdEiidS2_S2_EEvT3_20rocsparse_direction_NS_24const_host_device_scalarIT1_EES3_PKS3_PKT2_SC_S9_PKT4_PKT5_S7_PT6_21rocsparse_index_base_b: ; @_ZN9rocsparseL18bsrxmvn_3x3_kernelILj256ELj8E21rocsparse_complex_numIdEiidS2_S2_EEvT3_20rocsparse_direction_NS_24const_host_device_scalarIT1_EES3_PKS3_PKT2_SC_S9_PKT4_PKT5_S7_PT6_21rocsparse_index_base_b
; %bb.0:
	s_clause 0x1
	s_load_b64 s[12:13], s[0:1], 0x68
	s_load_b64 s[2:3], s[0:1], 0x8
	s_add_nc_u64 s[4:5], s[0:1], 8
	s_load_b64 s[6:7], s[0:1], 0x50
	s_wait_kmcnt 0x0
	s_bitcmp1_b32 s13, 0
	s_cselect_b32 s2, s4, s2
	s_cselect_b32 s3, s5, s3
	s_delay_alu instid0(SALU_CYCLE_1)
	v_dual_mov_b32 v1, s2 :: v_dual_mov_b32 v2, s3
	s_add_nc_u64 s[2:3], s[0:1], 0x50
	s_wait_alu 0xfffe
	s_cselect_b32 s2, s2, s6
	s_cselect_b32 s3, s3, s7
	flat_load_b128 v[5:8], v[1:2]
	s_wait_alu 0xfffe
	v_dual_mov_b32 v1, s2 :: v_dual_mov_b32 v2, s3
	flat_load_b128 v[1:4], v[1:2]
	s_wait_loadcnt_dscnt 0x101
	v_cmp_eq_f64_e32 vcc_lo, 0, v[5:6]
	v_cmp_eq_f64_e64 s2, 0, v[7:8]
	s_and_b32 s4, vcc_lo, s2
	s_mov_b32 s2, -1
	s_and_saveexec_b32 s3, s4
	s_cbranch_execz .LBB136_2
; %bb.1:
	s_wait_loadcnt_dscnt 0x0
	v_cmp_neq_f64_e32 vcc_lo, 1.0, v[1:2]
	v_cmp_neq_f64_e64 s2, 0, v[3:4]
	s_wait_alu 0xfffe
	s_or_b32 s2, vcc_lo, s2
	s_wait_alu 0xfffe
	s_or_not1_b32 s2, s2, exec_lo
.LBB136_2:
	s_wait_alu 0xfffe
	s_or_b32 exec_lo, exec_lo, s3
	s_and_saveexec_b32 s3, s2
	s_cbranch_execz .LBB136_8
; %bb.3:
	s_clause 0x1
	s_load_b64 s[4:5], s[0:1], 0x20
	s_load_b64 s[2:3], s[0:1], 0x0
	v_lshrrev_b32_e32 v9, 3, v0
	s_delay_alu instid0(VALU_DEP_1)
	v_lshl_or_b32 v17, ttmp9, 5, v9
	s_wait_kmcnt 0x0
	s_cmp_lg_u64 s[4:5], 0
	s_cbranch_scc0 .LBB136_9
; %bb.4:
	s_load_b32 s6, s[0:1], 0x18
	s_mov_b32 s7, 0
                                        ; implicit-def: $vgpr9
	s_wait_kmcnt 0x0
	v_cmp_gt_i32_e32 vcc_lo, s6, v17
	s_mov_b32 s6, 0
	s_and_saveexec_b32 s8, vcc_lo
	s_delay_alu instid0(SALU_CYCLE_1)
	s_xor_b32 s8, exec_lo, s8
	s_cbranch_execz .LBB136_6
; %bb.5:
	v_ashrrev_i32_e32 v18, 31, v17
	s_mov_b32 s6, exec_lo
	s_delay_alu instid0(VALU_DEP_1) | instskip(NEXT) | instid1(VALU_DEP_1)
	v_lshlrev_b64_e32 v[9:10], 2, v[17:18]
	v_add_co_u32 v9, vcc_lo, s4, v9
	s_delay_alu instid0(VALU_DEP_1)
	v_add_co_ci_u32_e64 v10, null, s5, v10, vcc_lo
	global_load_b32 v9, v[9:10], off
	s_wait_loadcnt 0x0
	v_subrev_nc_u32_e32 v9, s12, v9
.LBB136_6:
	s_or_b32 exec_lo, exec_lo, s8
	s_delay_alu instid0(SALU_CYCLE_1)
	s_and_b32 vcc_lo, exec_lo, s7
	s_wait_alu 0xfffe
	s_cbranch_vccz .LBB136_10
.LBB136_7:
	v_cmp_gt_i32_e32 vcc_lo, s2, v17
	s_and_not1_b32 s2, s6, exec_lo
	s_and_b32 s4, vcc_lo, exec_lo
	s_wait_alu 0xfffe
	s_or_b32 s6, s2, s4
	s_wait_alu 0xfffe
	s_and_b32 exec_lo, exec_lo, s6
	s_cbranch_execnz .LBB136_11
.LBB136_8:
	s_endpgm
.LBB136_9:
	s_mov_b32 s6, 0
                                        ; implicit-def: $vgpr9
	s_cbranch_execnz .LBB136_7
.LBB136_10:
	v_mov_b32_e32 v17, v9
	s_and_b32 exec_lo, exec_lo, s6
	s_cbranch_execz .LBB136_8
.LBB136_11:
	s_load_b256 s[4:11], s[0:1], 0x28
	s_delay_alu instid0(VALU_DEP_1) | instskip(SKIP_1) | instid1(VALU_DEP_2)
	v_ashrrev_i32_e32 v18, 31, v17
	v_and_b32_e32 v0, 7, v0
	v_lshlrev_b64_e32 v[9:10], 2, v[17:18]
	s_wait_kmcnt 0x0
	s_delay_alu instid0(VALU_DEP_1) | instskip(SKIP_1) | instid1(VALU_DEP_2)
	v_add_co_u32 v11, vcc_lo, s4, v9
	s_wait_alu 0xfffd
	v_add_co_ci_u32_e64 v12, null, s5, v10, vcc_lo
	v_add_co_u32 v9, vcc_lo, s6, v9
	s_wait_alu 0xfffd
	v_add_co_ci_u32_e64 v10, null, s7, v10, vcc_lo
	;; [unrolled: 3-line block ×3, first 2 shown]
	s_cmp_eq_u64 s[6:7], 0
	global_load_b32 v11, v[11:12], off
	s_cselect_b32 vcc_lo, -1, 0
	s_load_b64 s[4:5], s[0:1], 0x48
	v_dual_cndmask_b32 v10, v10, v14 :: v_dual_cndmask_b32 v9, v9, v13
	s_cmp_eq_u32 s3, 1
	global_load_b32 v9, v[9:10], off
	s_wait_loadcnt 0x1
	v_subrev_nc_u32_e32 v10, s12, v11
	s_delay_alu instid0(VALU_DEP_1) | instskip(SKIP_2) | instid1(VALU_DEP_2)
	v_add_nc_u32_e32 v20, v10, v0
	s_wait_loadcnt 0x0
	v_subrev_nc_u32_e32 v30, s12, v9
	v_mad_co_i64_i32 v[22:23], null, 0x48, v20, s[10:11]
	s_delay_alu instid0(VALU_DEP_2)
	v_cmp_lt_i32_e64 s2, v20, v30
	s_cbranch_scc1 .LBB136_17
; %bb.12:
	v_mov_b32_e32 v9, 0
	v_dual_mov_b32 v13, 0 :: v_dual_mov_b32 v18, 0
	v_dual_mov_b32 v10, 0 :: v_dual_mov_b32 v11, 0
	;; [unrolled: 1-line block ×4, first 2 shown]
	v_mov_b32_e32 v12, 0
	v_dual_mov_b32 v16, 0 :: v_dual_mov_b32 v25, 0
	s_and_saveexec_b32 s6, s2
	s_cbranch_execz .LBB136_16
; %bb.13:
	v_dual_mov_b32 v9, 0 :: v_dual_mov_b32 v26, v20
	v_dual_mov_b32 v10, 0 :: v_dual_mov_b32 v11, 0
	;; [unrolled: 1-line block ×4, first 2 shown]
	v_mov_b32_e32 v18, 0
	v_dual_mov_b32 v24, 0 :: v_dual_mov_b32 v29, v23
	v_dual_mov_b32 v16, 0 :: v_dual_mov_b32 v19, 0
	;; [unrolled: 1-line block ×3, first 2 shown]
	s_mov_b32 s7, 0
.LBB136_14:                             ; =>This Inner Loop Header: Depth=1
	v_ashrrev_i32_e32 v27, 31, v26
	s_delay_alu instid0(VALU_DEP_1) | instskip(SKIP_1) | instid1(VALU_DEP_2)
	v_lshlrev_b64_e32 v[31:32], 2, v[26:27]
	v_add_nc_u32_e32 v26, 8, v26
	v_add_co_u32 v31, vcc_lo, s8, v31
	s_wait_alu 0xfffd
	s_delay_alu instid0(VALU_DEP_3)
	v_add_co_ci_u32_e64 v32, null, s9, v32, vcc_lo
	global_load_b32 v21, v[31:32], off
	s_clause 0x2
	global_load_b128 v[31:34], v[28:29], off offset:48
	global_load_b128 v[35:38], v[28:29], off offset:16
	global_load_b128 v[39:42], v[28:29], off
	s_wait_loadcnt 0x3
	v_subrev_nc_u32_e32 v21, s12, v21
	s_delay_alu instid0(VALU_DEP_1) | instskip(NEXT) | instid1(VALU_DEP_1)
	v_lshl_add_u32 v43, v21, 1, v21
	v_ashrrev_i32_e32 v44, 31, v43
	s_delay_alu instid0(VALU_DEP_1) | instskip(SKIP_1) | instid1(VALU_DEP_1)
	v_lshlrev_b64_e32 v[43:44], 4, v[43:44]
	s_wait_kmcnt 0x0
	v_add_co_u32 v55, vcc_lo, s4, v43
	s_wait_alu 0xfffd
	s_delay_alu instid0(VALU_DEP_2)
	v_add_co_ci_u32_e64 v56, null, s5, v44, vcc_lo
	v_cmp_ge_i32_e32 vcc_lo, v26, v30
	s_clause 0x1
	global_load_b128 v[43:46], v[55:56], off
	global_load_b128 v[47:50], v[55:56], off offset:16
	s_clause 0x1
	global_load_b128 v[51:54], v[28:29], off offset:32
	global_load_b64 v[59:60], v[28:29], off offset:64
	global_load_b128 v[55:58], v[55:56], off offset:32
	v_add_co_u32 v28, s3, 0x240, v28
	s_wait_alu 0xf1ff
	v_add_co_ci_u32_e64 v29, null, 0, v29, s3
	s_wait_alu 0xfffe
	s_or_b32 s7, vcc_lo, s7
	s_wait_loadcnt 0x4
	v_fma_f64 v[11:12], v[39:40], v[43:44], v[11:12]
	v_fma_f64 v[9:10], v[43:44], 0, v[9:10]
	;; [unrolled: 1-line block ×12, first 2 shown]
	s_wait_loadcnt 0x3
	v_fma_f64 v[11:12], v[41:42], v[47:48], v[11:12]
	v_fma_f64 v[9:10], v[47:48], 0, v[9:10]
	s_wait_loadcnt 0x2
	v_fma_f64 v[15:16], v[51:52], v[47:48], v[15:16]
	v_fma_f64 v[13:14], v[47:48], 0, v[13:14]
	;; [unrolled: 1-line block ×10, first 2 shown]
	s_wait_loadcnt 0x0
	v_fma_f64 v[11:12], v[35:36], v[55:56], v[11:12]
	v_fma_f64 v[9:10], v[55:56], 0, v[9:10]
	;; [unrolled: 1-line block ×12, first 2 shown]
	s_wait_alu 0xfffe
	s_and_not1_b32 exec_lo, exec_lo, s7
	s_cbranch_execnz .LBB136_14
; %bb.15:
	s_or_b32 exec_lo, exec_lo, s7
.LBB136_16:
	s_wait_alu 0xfffe
	s_or_b32 exec_lo, exec_lo, s6
	s_cbranch_execz .LBB136_18
	s_branch .LBB136_23
.LBB136_17:
                                        ; implicit-def: $vgpr9_vgpr10
                                        ; implicit-def: $vgpr11_vgpr12
                                        ; implicit-def: $vgpr13_vgpr14
                                        ; implicit-def: $vgpr15_vgpr16
                                        ; implicit-def: $vgpr18_vgpr19
                                        ; implicit-def: $vgpr24_vgpr25
.LBB136_18:
	v_mov_b32_e32 v9, 0
	v_dual_mov_b32 v13, 0 :: v_dual_mov_b32 v18, 0
	v_dual_mov_b32 v10, 0 :: v_dual_mov_b32 v11, 0
	;; [unrolled: 1-line block ×4, first 2 shown]
	v_mov_b32_e32 v12, 0
	v_dual_mov_b32 v16, 0 :: v_dual_mov_b32 v25, 0
	s_and_saveexec_b32 s3, s2
	s_cbranch_execz .LBB136_22
; %bb.19:
	v_mov_b32_e32 v9, 0
	v_dual_mov_b32 v13, 0 :: v_dual_mov_b32 v18, 0
	v_dual_mov_b32 v10, 0 :: v_dual_mov_b32 v11, 0
	;; [unrolled: 1-line block ×4, first 2 shown]
	v_mov_b32_e32 v12, 0
	v_dual_mov_b32 v16, 0 :: v_dual_mov_b32 v25, 0
	s_mov_b32 s6, 0
.LBB136_20:                             ; =>This Inner Loop Header: Depth=1
	v_ashrrev_i32_e32 v21, 31, v20
	s_delay_alu instid0(VALU_DEP_1) | instskip(SKIP_1) | instid1(VALU_DEP_2)
	v_lshlrev_b64_e32 v[26:27], 2, v[20:21]
	v_add_nc_u32_e32 v20, 8, v20
	v_add_co_u32 v26, vcc_lo, s8, v26
	s_wait_alu 0xfffd
	s_delay_alu instid0(VALU_DEP_3)
	v_add_co_ci_u32_e64 v27, null, s9, v27, vcc_lo
	global_load_b32 v21, v[26:27], off
	s_clause 0x1
	global_load_b128 v[26:29], v[22:23], off offset:16
	global_load_b128 v[31:34], v[22:23], off
	s_wait_loadcnt 0x2
	v_subrev_nc_u32_e32 v21, s12, v21
	s_delay_alu instid0(VALU_DEP_1) | instskip(NEXT) | instid1(VALU_DEP_1)
	v_lshl_add_u32 v35, v21, 1, v21
	v_ashrrev_i32_e32 v36, 31, v35
	s_delay_alu instid0(VALU_DEP_1) | instskip(SKIP_1) | instid1(VALU_DEP_1)
	v_lshlrev_b64_e32 v[35:36], 4, v[35:36]
	s_wait_kmcnt 0x0
	v_add_co_u32 v51, vcc_lo, s4, v35
	s_wait_alu 0xfffd
	s_delay_alu instid0(VALU_DEP_2)
	v_add_co_ci_u32_e64 v52, null, s5, v36, vcc_lo
	v_cmp_ge_i32_e32 vcc_lo, v20, v30
	s_clause 0x1
	global_load_b128 v[35:38], v[51:52], off
	global_load_b128 v[39:42], v[51:52], off offset:16
	s_clause 0x2
	global_load_b128 v[43:46], v[22:23], off offset:32
	global_load_b128 v[47:50], v[22:23], off offset:48
	global_load_b64 v[55:56], v[22:23], off offset:64
	global_load_b128 v[51:54], v[51:52], off offset:32
	v_add_co_u32 v22, s2, 0x240, v22
	s_wait_alu 0xf1ff
	v_add_co_ci_u32_e64 v23, null, 0, v23, s2
	s_wait_alu 0xfffe
	s_or_b32 s6, vcc_lo, s6
	s_wait_loadcnt 0x5
	v_fma_f64 v[11:12], v[31:32], v[35:36], v[11:12]
	v_fma_f64 v[9:10], v[35:36], 0, v[9:10]
	;; [unrolled: 1-line block ×12, first 2 shown]
	s_wait_loadcnt 0x4
	v_fma_f64 v[11:12], v[28:29], v[39:40], v[11:12]
	v_fma_f64 v[9:10], v[39:40], 0, v[9:10]
	s_wait_loadcnt 0x3
	v_fma_f64 v[15:16], v[43:44], v[39:40], v[15:16]
	v_fma_f64 v[13:14], v[39:40], 0, v[13:14]
	;; [unrolled: 1-line block ×10, first 2 shown]
	s_wait_loadcnt 0x0
	v_fma_f64 v[11:12], v[47:48], v[51:52], v[11:12]
	v_fma_f64 v[9:10], v[51:52], 0, v[9:10]
	;; [unrolled: 1-line block ×12, first 2 shown]
	s_wait_alu 0xfffe
	s_and_not1_b32 exec_lo, exec_lo, s6
	s_cbranch_execnz .LBB136_20
; %bb.21:
	s_or_b32 exec_lo, exec_lo, s6
.LBB136_22:
	s_wait_alu 0xfffe
	s_or_b32 exec_lo, exec_lo, s3
.LBB136_23:
	v_mbcnt_lo_u32_b32 v36, -1, 0
	s_delay_alu instid0(VALU_DEP_1) | instskip(NEXT) | instid1(VALU_DEP_1)
	v_xor_b32_e32 v20, 4, v36
	v_cmp_gt_i32_e32 vcc_lo, 32, v20
	s_wait_alu 0xfffd
	v_cndmask_b32_e32 v20, v36, v20, vcc_lo
	s_delay_alu instid0(VALU_DEP_1)
	v_lshlrev_b32_e32 v33, 2, v20
	ds_bpermute_b32 v20, v33, v11
	ds_bpermute_b32 v21, v33, v12
	;; [unrolled: 1-line block ×12, first 2 shown]
	s_wait_dscnt 0xa
	v_add_f64_e32 v[11:12], v[11:12], v[20:21]
	s_wait_dscnt 0x8
	v_add_f64_e32 v[20:21], v[9:10], v[22:23]
	v_xor_b32_e32 v9, 2, v36
	s_wait_dscnt 0x6
	v_add_f64_e32 v[15:16], v[15:16], v[26:27]
	s_wait_dscnt 0x4
	v_add_f64_e32 v[13:14], v[13:14], v[28:29]
	;; [unrolled: 2-line block ×3, first 2 shown]
	v_cmp_gt_i32_e32 vcc_lo, 32, v9
	s_wait_dscnt 0x0
	v_add_f64_e32 v[26:27], v[18:19], v[32:33]
	s_wait_alu 0xfffd
	v_cndmask_b32_e32 v9, v36, v9, vcc_lo
	s_delay_alu instid0(VALU_DEP_1)
	v_lshlrev_b32_e32 v22, 2, v9
	ds_bpermute_b32 v9, v22, v11
	ds_bpermute_b32 v10, v22, v12
	;; [unrolled: 1-line block ×12, first 2 shown]
	s_wait_dscnt 0xa
	v_add_f64_e32 v[9:10], v[11:12], v[9:10]
	s_wait_dscnt 0x8
	v_add_f64_e32 v[22:23], v[20:21], v[18:19]
	v_xor_b32_e32 v20, 1, v36
	s_wait_dscnt 0x6
	v_add_f64_e32 v[11:12], v[15:16], v[28:29]
	s_wait_dscnt 0x4
	v_add_f64_e32 v[18:19], v[13:14], v[30:31]
	;; [unrolled: 2-line block ×3, first 2 shown]
	v_cmp_gt_i32_e32 vcc_lo, 32, v20
	s_wait_dscnt 0x0
	v_add_f64_e32 v[15:16], v[26:27], v[34:35]
	s_wait_alu 0xfffd
	v_cndmask_b32_e32 v20, v36, v20, vcc_lo
	v_cmp_eq_u32_e32 vcc_lo, 7, v0
	s_delay_alu instid0(VALU_DEP_2)
	v_lshlrev_b32_e32 v29, 2, v20
	ds_bpermute_b32 v20, v29, v9
	ds_bpermute_b32 v21, v29, v10
	;; [unrolled: 1-line block ×12, first 2 shown]
	s_and_b32 exec_lo, exec_lo, vcc_lo
	s_cbranch_execz .LBB136_8
; %bb.24:
	s_wait_dscnt 0x8
	v_add_f64_e32 v[22:23], v[22:23], v[32:33]
	s_wait_dscnt 0x4
	v_add_f64_e32 v[18:19], v[18:19], v[30:31]
	;; [unrolled: 2-line block ×3, first 2 shown]
	v_add_f64_e32 v[9:10], v[9:10], v[20:21]
	v_add_f64_e32 v[11:12], v[11:12], v[24:25]
	;; [unrolled: 1-line block ×3, first 2 shown]
	v_cmp_eq_f64_e32 vcc_lo, 0, v[1:2]
	v_cmp_eq_f64_e64 s2, 0, v[3:4]
	s_load_b64 s[0:1], s[0:1], 0x60
	v_lshl_add_u32 v17, v17, 1, v17
	v_mul_f64_e64 v[13:14], v[22:23], -v[7:8]
	v_mul_f64_e32 v[22:23], v[5:6], v[22:23]
	v_mul_f64_e64 v[24:25], v[18:19], -v[7:8]
	v_mul_f64_e32 v[18:19], v[5:6], v[18:19]
	v_mul_f64_e64 v[26:27], v[15:16], -v[7:8]
	v_mul_f64_e32 v[28:29], v[5:6], v[15:16]
	s_and_b32 s2, vcc_lo, s2
	v_fma_f64 v[13:14], v[5:6], v[9:10], v[13:14]
	v_fma_f64 v[15:16], v[7:8], v[9:10], v[22:23]
	;; [unrolled: 1-line block ×6, first 2 shown]
	v_ashrrev_i32_e32 v18, 31, v17
	s_wait_alu 0xfffe
	s_and_saveexec_b32 s3, s2
	s_wait_alu 0xfffe
	s_xor_b32 s2, exec_lo, s3
	s_cbranch_execz .LBB136_26
; %bb.25:
	v_lshlrev_b64_e32 v[0:1], 4, v[17:18]
                                        ; implicit-def: $vgpr17
	s_wait_kmcnt 0x0
	s_delay_alu instid0(VALU_DEP_1) | instskip(SKIP_1) | instid1(VALU_DEP_2)
	v_add_co_u32 v0, vcc_lo, s0, v0
	s_wait_alu 0xfffd
	v_add_co_ci_u32_e64 v1, null, s1, v1, vcc_lo
	s_clause 0x2
	global_store_b128 v[0:1], v[13:16], off
	global_store_b128 v[0:1], v[9:12], off offset:16
	global_store_b128 v[0:1], v[5:8], off offset:32
                                        ; implicit-def: $vgpr3_vgpr4
                                        ; implicit-def: $vgpr13_vgpr14
                                        ; implicit-def: $vgpr9_vgpr10
                                        ; implicit-def: $vgpr5_vgpr6
.LBB136_26:
	s_wait_alu 0xfffe
	s_and_not1_saveexec_b32 s2, s2
	s_cbranch_execz .LBB136_8
; %bb.27:
	v_lshlrev_b64_e32 v[17:18], 4, v[17:18]
	s_wait_kmcnt 0x0
	s_delay_alu instid0(VALU_DEP_1) | instskip(SKIP_1) | instid1(VALU_DEP_2)
	v_add_co_u32 v29, vcc_lo, s0, v17
	s_wait_alu 0xfffd
	v_add_co_ci_u32_e64 v30, null, s1, v18, vcc_lo
	s_clause 0x2
	global_load_b128 v[17:20], v[29:30], off
	global_load_b128 v[21:24], v[29:30], off offset:16
	global_load_b128 v[25:28], v[29:30], off offset:32
	s_wait_loadcnt 0x2
	v_fma_f64 v[13:14], v[1:2], v[17:18], v[13:14]
	v_fma_f64 v[15:16], v[3:4], v[17:18], v[15:16]
	s_wait_loadcnt 0x1
	v_fma_f64 v[9:10], v[1:2], v[21:22], v[9:10]
	v_fma_f64 v[11:12], v[3:4], v[21:22], v[11:12]
	;; [unrolled: 3-line block ×3, first 2 shown]
	v_fma_f64 v[5:6], -v[3:4], v[19:20], v[13:14]
	v_fma_f64 v[7:8], v[1:2], v[19:20], v[15:16]
	v_fma_f64 v[9:10], -v[3:4], v[23:24], v[9:10]
	v_fma_f64 v[11:12], v[1:2], v[23:24], v[11:12]
	;; [unrolled: 2-line block ×3, first 2 shown]
	s_clause 0x2
	global_store_b128 v[29:30], v[5:8], off
	global_store_b128 v[29:30], v[9:12], off offset:16
	global_store_b128 v[29:30], v[13:16], off offset:32
	s_endpgm
	.section	.rodata,"a",@progbits
	.p2align	6, 0x0
	.amdhsa_kernel _ZN9rocsparseL18bsrxmvn_3x3_kernelILj256ELj8E21rocsparse_complex_numIdEiidS2_S2_EEvT3_20rocsparse_direction_NS_24const_host_device_scalarIT1_EES3_PKS3_PKT2_SC_S9_PKT4_PKT5_S7_PT6_21rocsparse_index_base_b
		.amdhsa_group_segment_fixed_size 0
		.amdhsa_private_segment_fixed_size 0
		.amdhsa_kernarg_size 112
		.amdhsa_user_sgpr_count 2
		.amdhsa_user_sgpr_dispatch_ptr 0
		.amdhsa_user_sgpr_queue_ptr 0
		.amdhsa_user_sgpr_kernarg_segment_ptr 1
		.amdhsa_user_sgpr_dispatch_id 0
		.amdhsa_user_sgpr_private_segment_size 0
		.amdhsa_wavefront_size32 1
		.amdhsa_uses_dynamic_stack 0
		.amdhsa_enable_private_segment 0
		.amdhsa_system_sgpr_workgroup_id_x 1
		.amdhsa_system_sgpr_workgroup_id_y 0
		.amdhsa_system_sgpr_workgroup_id_z 0
		.amdhsa_system_sgpr_workgroup_info 0
		.amdhsa_system_vgpr_workitem_id 0
		.amdhsa_next_free_vgpr 61
		.amdhsa_next_free_sgpr 14
		.amdhsa_reserve_vcc 1
		.amdhsa_float_round_mode_32 0
		.amdhsa_float_round_mode_16_64 0
		.amdhsa_float_denorm_mode_32 3
		.amdhsa_float_denorm_mode_16_64 3
		.amdhsa_fp16_overflow 0
		.amdhsa_workgroup_processor_mode 1
		.amdhsa_memory_ordered 1
		.amdhsa_forward_progress 1
		.amdhsa_inst_pref_size 24
		.amdhsa_round_robin_scheduling 0
		.amdhsa_exception_fp_ieee_invalid_op 0
		.amdhsa_exception_fp_denorm_src 0
		.amdhsa_exception_fp_ieee_div_zero 0
		.amdhsa_exception_fp_ieee_overflow 0
		.amdhsa_exception_fp_ieee_underflow 0
		.amdhsa_exception_fp_ieee_inexact 0
		.amdhsa_exception_int_div_zero 0
	.end_amdhsa_kernel
	.section	.text._ZN9rocsparseL18bsrxmvn_3x3_kernelILj256ELj8E21rocsparse_complex_numIdEiidS2_S2_EEvT3_20rocsparse_direction_NS_24const_host_device_scalarIT1_EES3_PKS3_PKT2_SC_S9_PKT4_PKT5_S7_PT6_21rocsparse_index_base_b,"axG",@progbits,_ZN9rocsparseL18bsrxmvn_3x3_kernelILj256ELj8E21rocsparse_complex_numIdEiidS2_S2_EEvT3_20rocsparse_direction_NS_24const_host_device_scalarIT1_EES3_PKS3_PKT2_SC_S9_PKT4_PKT5_S7_PT6_21rocsparse_index_base_b,comdat
.Lfunc_end136:
	.size	_ZN9rocsparseL18bsrxmvn_3x3_kernelILj256ELj8E21rocsparse_complex_numIdEiidS2_S2_EEvT3_20rocsparse_direction_NS_24const_host_device_scalarIT1_EES3_PKS3_PKT2_SC_S9_PKT4_PKT5_S7_PT6_21rocsparse_index_base_b, .Lfunc_end136-_ZN9rocsparseL18bsrxmvn_3x3_kernelILj256ELj8E21rocsparse_complex_numIdEiidS2_S2_EEvT3_20rocsparse_direction_NS_24const_host_device_scalarIT1_EES3_PKS3_PKT2_SC_S9_PKT4_PKT5_S7_PT6_21rocsparse_index_base_b
                                        ; -- End function
	.set _ZN9rocsparseL18bsrxmvn_3x3_kernelILj256ELj8E21rocsparse_complex_numIdEiidS2_S2_EEvT3_20rocsparse_direction_NS_24const_host_device_scalarIT1_EES3_PKS3_PKT2_SC_S9_PKT4_PKT5_S7_PT6_21rocsparse_index_base_b.num_vgpr, 61
	.set _ZN9rocsparseL18bsrxmvn_3x3_kernelILj256ELj8E21rocsparse_complex_numIdEiidS2_S2_EEvT3_20rocsparse_direction_NS_24const_host_device_scalarIT1_EES3_PKS3_PKT2_SC_S9_PKT4_PKT5_S7_PT6_21rocsparse_index_base_b.num_agpr, 0
	.set _ZN9rocsparseL18bsrxmvn_3x3_kernelILj256ELj8E21rocsparse_complex_numIdEiidS2_S2_EEvT3_20rocsparse_direction_NS_24const_host_device_scalarIT1_EES3_PKS3_PKT2_SC_S9_PKT4_PKT5_S7_PT6_21rocsparse_index_base_b.numbered_sgpr, 14
	.set _ZN9rocsparseL18bsrxmvn_3x3_kernelILj256ELj8E21rocsparse_complex_numIdEiidS2_S2_EEvT3_20rocsparse_direction_NS_24const_host_device_scalarIT1_EES3_PKS3_PKT2_SC_S9_PKT4_PKT5_S7_PT6_21rocsparse_index_base_b.num_named_barrier, 0
	.set _ZN9rocsparseL18bsrxmvn_3x3_kernelILj256ELj8E21rocsparse_complex_numIdEiidS2_S2_EEvT3_20rocsparse_direction_NS_24const_host_device_scalarIT1_EES3_PKS3_PKT2_SC_S9_PKT4_PKT5_S7_PT6_21rocsparse_index_base_b.private_seg_size, 0
	.set _ZN9rocsparseL18bsrxmvn_3x3_kernelILj256ELj8E21rocsparse_complex_numIdEiidS2_S2_EEvT3_20rocsparse_direction_NS_24const_host_device_scalarIT1_EES3_PKS3_PKT2_SC_S9_PKT4_PKT5_S7_PT6_21rocsparse_index_base_b.uses_vcc, 1
	.set _ZN9rocsparseL18bsrxmvn_3x3_kernelILj256ELj8E21rocsparse_complex_numIdEiidS2_S2_EEvT3_20rocsparse_direction_NS_24const_host_device_scalarIT1_EES3_PKS3_PKT2_SC_S9_PKT4_PKT5_S7_PT6_21rocsparse_index_base_b.uses_flat_scratch, 0
	.set _ZN9rocsparseL18bsrxmvn_3x3_kernelILj256ELj8E21rocsparse_complex_numIdEiidS2_S2_EEvT3_20rocsparse_direction_NS_24const_host_device_scalarIT1_EES3_PKS3_PKT2_SC_S9_PKT4_PKT5_S7_PT6_21rocsparse_index_base_b.has_dyn_sized_stack, 0
	.set _ZN9rocsparseL18bsrxmvn_3x3_kernelILj256ELj8E21rocsparse_complex_numIdEiidS2_S2_EEvT3_20rocsparse_direction_NS_24const_host_device_scalarIT1_EES3_PKS3_PKT2_SC_S9_PKT4_PKT5_S7_PT6_21rocsparse_index_base_b.has_recursion, 0
	.set _ZN9rocsparseL18bsrxmvn_3x3_kernelILj256ELj8E21rocsparse_complex_numIdEiidS2_S2_EEvT3_20rocsparse_direction_NS_24const_host_device_scalarIT1_EES3_PKS3_PKT2_SC_S9_PKT4_PKT5_S7_PT6_21rocsparse_index_base_b.has_indirect_call, 0
	.section	.AMDGPU.csdata,"",@progbits
; Kernel info:
; codeLenInByte = 3052
; TotalNumSgprs: 16
; NumVgprs: 61
; ScratchSize: 0
; MemoryBound: 0
; FloatMode: 240
; IeeeMode: 1
; LDSByteSize: 0 bytes/workgroup (compile time only)
; SGPRBlocks: 0
; VGPRBlocks: 7
; NumSGPRsForWavesPerEU: 16
; NumVGPRsForWavesPerEU: 61
; Occupancy: 16
; WaveLimiterHint : 1
; COMPUTE_PGM_RSRC2:SCRATCH_EN: 0
; COMPUTE_PGM_RSRC2:USER_SGPR: 2
; COMPUTE_PGM_RSRC2:TRAP_HANDLER: 0
; COMPUTE_PGM_RSRC2:TGID_X_EN: 1
; COMPUTE_PGM_RSRC2:TGID_Y_EN: 0
; COMPUTE_PGM_RSRC2:TGID_Z_EN: 0
; COMPUTE_PGM_RSRC2:TIDIG_COMP_CNT: 0
	.section	.text._ZN9rocsparseL18bsrxmvn_3x3_kernelILj256ELj16E21rocsparse_complex_numIdEiidS2_S2_EEvT3_20rocsparse_direction_NS_24const_host_device_scalarIT1_EES3_PKS3_PKT2_SC_S9_PKT4_PKT5_S7_PT6_21rocsparse_index_base_b,"axG",@progbits,_ZN9rocsparseL18bsrxmvn_3x3_kernelILj256ELj16E21rocsparse_complex_numIdEiidS2_S2_EEvT3_20rocsparse_direction_NS_24const_host_device_scalarIT1_EES3_PKS3_PKT2_SC_S9_PKT4_PKT5_S7_PT6_21rocsparse_index_base_b,comdat
	.globl	_ZN9rocsparseL18bsrxmvn_3x3_kernelILj256ELj16E21rocsparse_complex_numIdEiidS2_S2_EEvT3_20rocsparse_direction_NS_24const_host_device_scalarIT1_EES3_PKS3_PKT2_SC_S9_PKT4_PKT5_S7_PT6_21rocsparse_index_base_b ; -- Begin function _ZN9rocsparseL18bsrxmvn_3x3_kernelILj256ELj16E21rocsparse_complex_numIdEiidS2_S2_EEvT3_20rocsparse_direction_NS_24const_host_device_scalarIT1_EES3_PKS3_PKT2_SC_S9_PKT4_PKT5_S7_PT6_21rocsparse_index_base_b
	.p2align	8
	.type	_ZN9rocsparseL18bsrxmvn_3x3_kernelILj256ELj16E21rocsparse_complex_numIdEiidS2_S2_EEvT3_20rocsparse_direction_NS_24const_host_device_scalarIT1_EES3_PKS3_PKT2_SC_S9_PKT4_PKT5_S7_PT6_21rocsparse_index_base_b,@function
_ZN9rocsparseL18bsrxmvn_3x3_kernelILj256ELj16E21rocsparse_complex_numIdEiidS2_S2_EEvT3_20rocsparse_direction_NS_24const_host_device_scalarIT1_EES3_PKS3_PKT2_SC_S9_PKT4_PKT5_S7_PT6_21rocsparse_index_base_b: ; @_ZN9rocsparseL18bsrxmvn_3x3_kernelILj256ELj16E21rocsparse_complex_numIdEiidS2_S2_EEvT3_20rocsparse_direction_NS_24const_host_device_scalarIT1_EES3_PKS3_PKT2_SC_S9_PKT4_PKT5_S7_PT6_21rocsparse_index_base_b
; %bb.0:
	s_clause 0x1
	s_load_b64 s[12:13], s[0:1], 0x68
	s_load_b64 s[2:3], s[0:1], 0x8
	s_add_nc_u64 s[4:5], s[0:1], 8
	s_load_b64 s[6:7], s[0:1], 0x50
	s_wait_kmcnt 0x0
	s_bitcmp1_b32 s13, 0
	s_cselect_b32 s2, s4, s2
	s_cselect_b32 s3, s5, s3
	s_delay_alu instid0(SALU_CYCLE_1)
	v_dual_mov_b32 v1, s2 :: v_dual_mov_b32 v2, s3
	s_add_nc_u64 s[2:3], s[0:1], 0x50
	s_wait_alu 0xfffe
	s_cselect_b32 s2, s2, s6
	s_cselect_b32 s3, s3, s7
	flat_load_b128 v[5:8], v[1:2]
	s_wait_alu 0xfffe
	v_dual_mov_b32 v1, s2 :: v_dual_mov_b32 v2, s3
	flat_load_b128 v[1:4], v[1:2]
	s_wait_loadcnt_dscnt 0x101
	v_cmp_eq_f64_e32 vcc_lo, 0, v[5:6]
	v_cmp_eq_f64_e64 s2, 0, v[7:8]
	s_and_b32 s4, vcc_lo, s2
	s_mov_b32 s2, -1
	s_and_saveexec_b32 s3, s4
	s_cbranch_execz .LBB137_2
; %bb.1:
	s_wait_loadcnt_dscnt 0x0
	v_cmp_neq_f64_e32 vcc_lo, 1.0, v[1:2]
	v_cmp_neq_f64_e64 s2, 0, v[3:4]
	s_wait_alu 0xfffe
	s_or_b32 s2, vcc_lo, s2
	s_wait_alu 0xfffe
	s_or_not1_b32 s2, s2, exec_lo
.LBB137_2:
	s_wait_alu 0xfffe
	s_or_b32 exec_lo, exec_lo, s3
	s_and_saveexec_b32 s3, s2
	s_cbranch_execz .LBB137_8
; %bb.3:
	s_clause 0x1
	s_load_b64 s[4:5], s[0:1], 0x20
	s_load_b64 s[2:3], s[0:1], 0x0
	v_lshrrev_b32_e32 v9, 4, v0
	s_delay_alu instid0(VALU_DEP_1)
	v_lshl_or_b32 v17, ttmp9, 4, v9
	s_wait_kmcnt 0x0
	s_cmp_lg_u64 s[4:5], 0
	s_cbranch_scc0 .LBB137_9
; %bb.4:
	s_load_b32 s6, s[0:1], 0x18
	s_mov_b32 s7, 0
                                        ; implicit-def: $vgpr9
	s_wait_kmcnt 0x0
	v_cmp_gt_i32_e32 vcc_lo, s6, v17
	s_mov_b32 s6, 0
	s_and_saveexec_b32 s8, vcc_lo
	s_delay_alu instid0(SALU_CYCLE_1)
	s_xor_b32 s8, exec_lo, s8
	s_cbranch_execz .LBB137_6
; %bb.5:
	v_ashrrev_i32_e32 v18, 31, v17
	s_mov_b32 s6, exec_lo
	s_delay_alu instid0(VALU_DEP_1) | instskip(NEXT) | instid1(VALU_DEP_1)
	v_lshlrev_b64_e32 v[9:10], 2, v[17:18]
	v_add_co_u32 v9, vcc_lo, s4, v9
	s_delay_alu instid0(VALU_DEP_1)
	v_add_co_ci_u32_e64 v10, null, s5, v10, vcc_lo
	global_load_b32 v9, v[9:10], off
	s_wait_loadcnt 0x0
	v_subrev_nc_u32_e32 v9, s12, v9
.LBB137_6:
	s_or_b32 exec_lo, exec_lo, s8
	s_delay_alu instid0(SALU_CYCLE_1)
	s_and_b32 vcc_lo, exec_lo, s7
	s_wait_alu 0xfffe
	s_cbranch_vccz .LBB137_10
.LBB137_7:
	v_cmp_gt_i32_e32 vcc_lo, s2, v17
	s_and_not1_b32 s2, s6, exec_lo
	s_and_b32 s4, vcc_lo, exec_lo
	s_wait_alu 0xfffe
	s_or_b32 s6, s2, s4
	s_wait_alu 0xfffe
	s_and_b32 exec_lo, exec_lo, s6
	s_cbranch_execnz .LBB137_11
.LBB137_8:
	s_endpgm
.LBB137_9:
	s_mov_b32 s6, 0
                                        ; implicit-def: $vgpr9
	s_cbranch_execnz .LBB137_7
.LBB137_10:
	v_mov_b32_e32 v17, v9
	s_and_b32 exec_lo, exec_lo, s6
	s_cbranch_execz .LBB137_8
.LBB137_11:
	s_load_b256 s[4:11], s[0:1], 0x28
	s_delay_alu instid0(VALU_DEP_1) | instskip(SKIP_1) | instid1(VALU_DEP_2)
	v_ashrrev_i32_e32 v18, 31, v17
	v_and_b32_e32 v0, 15, v0
	v_lshlrev_b64_e32 v[9:10], 2, v[17:18]
	s_wait_kmcnt 0x0
	s_delay_alu instid0(VALU_DEP_1) | instskip(SKIP_1) | instid1(VALU_DEP_2)
	v_add_co_u32 v11, vcc_lo, s4, v9
	s_wait_alu 0xfffd
	v_add_co_ci_u32_e64 v12, null, s5, v10, vcc_lo
	v_add_co_u32 v9, vcc_lo, s6, v9
	s_wait_alu 0xfffd
	v_add_co_ci_u32_e64 v10, null, s7, v10, vcc_lo
	;; [unrolled: 3-line block ×3, first 2 shown]
	s_cmp_eq_u64 s[6:7], 0
	global_load_b32 v11, v[11:12], off
	s_cselect_b32 vcc_lo, -1, 0
	s_load_b64 s[4:5], s[0:1], 0x48
	v_dual_cndmask_b32 v10, v10, v14 :: v_dual_cndmask_b32 v9, v9, v13
	s_cmp_eq_u32 s3, 1
	global_load_b32 v9, v[9:10], off
	s_wait_loadcnt 0x1
	v_subrev_nc_u32_e32 v10, s12, v11
	s_delay_alu instid0(VALU_DEP_1) | instskip(SKIP_2) | instid1(VALU_DEP_2)
	v_add_nc_u32_e32 v22, v10, v0
	s_wait_loadcnt 0x0
	v_subrev_nc_u32_e32 v30, s12, v9
	v_mad_co_i64_i32 v[24:25], null, 0x48, v22, s[10:11]
	s_delay_alu instid0(VALU_DEP_2)
	v_cmp_lt_i32_e64 s2, v22, v30
	s_cbranch_scc1 .LBB137_17
; %bb.12:
	v_mov_b32_e32 v9, 0
	v_dual_mov_b32 v13, 0 :: v_dual_mov_b32 v18, 0
	v_dual_mov_b32 v10, 0 :: v_dual_mov_b32 v11, 0
	;; [unrolled: 1-line block ×4, first 2 shown]
	v_mov_b32_e32 v12, 0
	v_dual_mov_b32 v16, 0 :: v_dual_mov_b32 v21, 0
	s_and_saveexec_b32 s6, s2
	s_cbranch_execz .LBB137_16
; %bb.13:
	v_dual_mov_b32 v9, 0 :: v_dual_mov_b32 v26, v22
	v_dual_mov_b32 v10, 0 :: v_dual_mov_b32 v11, 0
	;; [unrolled: 1-line block ×4, first 2 shown]
	v_mov_b32_e32 v18, 0
	v_dual_mov_b32 v20, 0 :: v_dual_mov_b32 v29, v25
	v_dual_mov_b32 v16, 0 :: v_dual_mov_b32 v19, 0
	;; [unrolled: 1-line block ×3, first 2 shown]
	s_mov_b32 s7, 0
.LBB137_14:                             ; =>This Inner Loop Header: Depth=1
	v_ashrrev_i32_e32 v27, 31, v26
	s_delay_alu instid0(VALU_DEP_1) | instskip(SKIP_1) | instid1(VALU_DEP_2)
	v_lshlrev_b64_e32 v[31:32], 2, v[26:27]
	v_add_nc_u32_e32 v26, 16, v26
	v_add_co_u32 v31, vcc_lo, s8, v31
	s_wait_alu 0xfffd
	s_delay_alu instid0(VALU_DEP_3)
	v_add_co_ci_u32_e64 v32, null, s9, v32, vcc_lo
	global_load_b32 v23, v[31:32], off
	s_clause 0x2
	global_load_b128 v[31:34], v[28:29], off offset:48
	global_load_b128 v[35:38], v[28:29], off offset:16
	global_load_b128 v[39:42], v[28:29], off
	s_wait_loadcnt 0x3
	v_subrev_nc_u32_e32 v23, s12, v23
	s_delay_alu instid0(VALU_DEP_1) | instskip(NEXT) | instid1(VALU_DEP_1)
	v_lshl_add_u32 v43, v23, 1, v23
	v_ashrrev_i32_e32 v44, 31, v43
	s_delay_alu instid0(VALU_DEP_1) | instskip(SKIP_1) | instid1(VALU_DEP_1)
	v_lshlrev_b64_e32 v[43:44], 4, v[43:44]
	s_wait_kmcnt 0x0
	v_add_co_u32 v55, vcc_lo, s4, v43
	s_wait_alu 0xfffd
	s_delay_alu instid0(VALU_DEP_2)
	v_add_co_ci_u32_e64 v56, null, s5, v44, vcc_lo
	v_cmp_ge_i32_e32 vcc_lo, v26, v30
	s_clause 0x1
	global_load_b128 v[43:46], v[55:56], off
	global_load_b128 v[47:50], v[55:56], off offset:16
	s_clause 0x1
	global_load_b128 v[51:54], v[28:29], off offset:32
	global_load_b64 v[59:60], v[28:29], off offset:64
	global_load_b128 v[55:58], v[55:56], off offset:32
	v_add_co_u32 v28, s3, 0x480, v28
	s_wait_alu 0xf1ff
	v_add_co_ci_u32_e64 v29, null, 0, v29, s3
	s_wait_alu 0xfffe
	s_or_b32 s7, vcc_lo, s7
	s_wait_loadcnt 0x4
	v_fma_f64 v[11:12], v[39:40], v[43:44], v[11:12]
	v_fma_f64 v[9:10], v[43:44], 0, v[9:10]
	;; [unrolled: 1-line block ×12, first 2 shown]
	s_wait_loadcnt 0x3
	v_fma_f64 v[11:12], v[41:42], v[47:48], v[11:12]
	v_fma_f64 v[9:10], v[47:48], 0, v[9:10]
	s_wait_loadcnt 0x2
	v_fma_f64 v[15:16], v[51:52], v[47:48], v[15:16]
	v_fma_f64 v[13:14], v[47:48], 0, v[13:14]
	;; [unrolled: 1-line block ×10, first 2 shown]
	s_wait_loadcnt 0x0
	v_fma_f64 v[11:12], v[35:36], v[55:56], v[11:12]
	v_fma_f64 v[9:10], v[55:56], 0, v[9:10]
	;; [unrolled: 1-line block ×12, first 2 shown]
	s_wait_alu 0xfffe
	s_and_not1_b32 exec_lo, exec_lo, s7
	s_cbranch_execnz .LBB137_14
; %bb.15:
	s_or_b32 exec_lo, exec_lo, s7
.LBB137_16:
	s_wait_alu 0xfffe
	s_or_b32 exec_lo, exec_lo, s6
	s_cbranch_execz .LBB137_18
	s_branch .LBB137_23
.LBB137_17:
                                        ; implicit-def: $vgpr9_vgpr10
                                        ; implicit-def: $vgpr11_vgpr12
                                        ; implicit-def: $vgpr13_vgpr14
                                        ; implicit-def: $vgpr15_vgpr16
                                        ; implicit-def: $vgpr18_vgpr19
                                        ; implicit-def: $vgpr20_vgpr21
.LBB137_18:
	v_mov_b32_e32 v9, 0
	v_dual_mov_b32 v13, 0 :: v_dual_mov_b32 v18, 0
	v_dual_mov_b32 v10, 0 :: v_dual_mov_b32 v11, 0
	v_dual_mov_b32 v14, 0 :: v_dual_mov_b32 v15, 0
	v_dual_mov_b32 v19, 0 :: v_dual_mov_b32 v20, 0
	v_mov_b32_e32 v12, 0
	v_dual_mov_b32 v16, 0 :: v_dual_mov_b32 v21, 0
	s_and_saveexec_b32 s3, s2
	s_cbranch_execz .LBB137_22
; %bb.19:
	v_mov_b32_e32 v9, 0
	v_dual_mov_b32 v13, 0 :: v_dual_mov_b32 v18, 0
	v_dual_mov_b32 v10, 0 :: v_dual_mov_b32 v11, 0
	;; [unrolled: 1-line block ×4, first 2 shown]
	v_mov_b32_e32 v12, 0
	v_dual_mov_b32 v16, 0 :: v_dual_mov_b32 v21, 0
	s_mov_b32 s6, 0
.LBB137_20:                             ; =>This Inner Loop Header: Depth=1
	v_ashrrev_i32_e32 v23, 31, v22
	s_delay_alu instid0(VALU_DEP_1) | instskip(SKIP_1) | instid1(VALU_DEP_2)
	v_lshlrev_b64_e32 v[26:27], 2, v[22:23]
	v_add_nc_u32_e32 v22, 16, v22
	v_add_co_u32 v26, vcc_lo, s8, v26
	s_wait_alu 0xfffd
	s_delay_alu instid0(VALU_DEP_3)
	v_add_co_ci_u32_e64 v27, null, s9, v27, vcc_lo
	global_load_b32 v23, v[26:27], off
	s_clause 0x1
	global_load_b128 v[26:29], v[24:25], off offset:16
	global_load_b128 v[31:34], v[24:25], off
	s_wait_loadcnt 0x2
	v_subrev_nc_u32_e32 v23, s12, v23
	s_delay_alu instid0(VALU_DEP_1) | instskip(NEXT) | instid1(VALU_DEP_1)
	v_lshl_add_u32 v35, v23, 1, v23
	v_ashrrev_i32_e32 v36, 31, v35
	s_delay_alu instid0(VALU_DEP_1) | instskip(SKIP_1) | instid1(VALU_DEP_1)
	v_lshlrev_b64_e32 v[35:36], 4, v[35:36]
	s_wait_kmcnt 0x0
	v_add_co_u32 v51, vcc_lo, s4, v35
	s_wait_alu 0xfffd
	s_delay_alu instid0(VALU_DEP_2)
	v_add_co_ci_u32_e64 v52, null, s5, v36, vcc_lo
	v_cmp_ge_i32_e32 vcc_lo, v22, v30
	s_clause 0x1
	global_load_b128 v[35:38], v[51:52], off
	global_load_b128 v[39:42], v[51:52], off offset:16
	s_clause 0x2
	global_load_b128 v[43:46], v[24:25], off offset:32
	global_load_b128 v[47:50], v[24:25], off offset:48
	global_load_b64 v[55:56], v[24:25], off offset:64
	global_load_b128 v[51:54], v[51:52], off offset:32
	v_add_co_u32 v24, s2, 0x480, v24
	s_wait_alu 0xf1ff
	v_add_co_ci_u32_e64 v25, null, 0, v25, s2
	s_wait_alu 0xfffe
	s_or_b32 s6, vcc_lo, s6
	s_wait_loadcnt 0x5
	v_fma_f64 v[11:12], v[31:32], v[35:36], v[11:12]
	v_fma_f64 v[9:10], v[35:36], 0, v[9:10]
	;; [unrolled: 1-line block ×12, first 2 shown]
	s_wait_loadcnt 0x4
	v_fma_f64 v[11:12], v[28:29], v[39:40], v[11:12]
	v_fma_f64 v[9:10], v[39:40], 0, v[9:10]
	s_wait_loadcnt 0x3
	v_fma_f64 v[15:16], v[43:44], v[39:40], v[15:16]
	v_fma_f64 v[13:14], v[39:40], 0, v[13:14]
	;; [unrolled: 1-line block ×10, first 2 shown]
	s_wait_loadcnt 0x0
	v_fma_f64 v[11:12], v[47:48], v[51:52], v[11:12]
	v_fma_f64 v[9:10], v[51:52], 0, v[9:10]
	;; [unrolled: 1-line block ×12, first 2 shown]
	s_wait_alu 0xfffe
	s_and_not1_b32 exec_lo, exec_lo, s6
	s_cbranch_execnz .LBB137_20
; %bb.21:
	s_or_b32 exec_lo, exec_lo, s6
.LBB137_22:
	s_wait_alu 0xfffe
	s_or_b32 exec_lo, exec_lo, s3
.LBB137_23:
	v_mbcnt_lo_u32_b32 v34, -1, 0
	s_delay_alu instid0(VALU_DEP_1) | instskip(NEXT) | instid1(VALU_DEP_1)
	v_xor_b32_e32 v22, 8, v34
	v_cmp_gt_i32_e32 vcc_lo, 32, v22
	s_wait_alu 0xfffd
	v_cndmask_b32_e32 v22, v34, v22, vcc_lo
	s_delay_alu instid0(VALU_DEP_1)
	v_lshlrev_b32_e32 v33, 2, v22
	ds_bpermute_b32 v22, v33, v11
	ds_bpermute_b32 v23, v33, v12
	;; [unrolled: 1-line block ×12, first 2 shown]
	s_wait_dscnt 0xa
	v_add_f64_e32 v[11:12], v[11:12], v[22:23]
	v_xor_b32_e32 v22, 4, v34
	s_wait_dscnt 0x8
	v_add_f64_e32 v[9:10], v[9:10], v[24:25]
	s_wait_dscnt 0x6
	v_add_f64_e32 v[15:16], v[15:16], v[26:27]
	;; [unrolled: 2-line block ×3, first 2 shown]
	v_cmp_gt_i32_e32 vcc_lo, 32, v22
	s_wait_dscnt 0x2
	v_add_f64_e32 v[20:21], v[20:21], v[30:31]
	s_wait_dscnt 0x0
	v_add_f64_e32 v[18:19], v[18:19], v[32:33]
	s_wait_alu 0xfffd
	v_cndmask_b32_e32 v22, v34, v22, vcc_lo
	s_delay_alu instid0(VALU_DEP_1)
	v_lshlrev_b32_e32 v33, 2, v22
	ds_bpermute_b32 v22, v33, v11
	ds_bpermute_b32 v23, v33, v12
	;; [unrolled: 1-line block ×12, first 2 shown]
	s_wait_dscnt 0xa
	v_add_f64_e32 v[11:12], v[11:12], v[22:23]
	s_wait_dscnt 0x8
	v_add_f64_e32 v[22:23], v[9:10], v[24:25]
	v_xor_b32_e32 v9, 2, v34
	s_wait_dscnt 0x6
	v_add_f64_e32 v[15:16], v[15:16], v[26:27]
	s_wait_dscnt 0x4
	v_add_f64_e32 v[13:14], v[13:14], v[28:29]
	;; [unrolled: 2-line block ×3, first 2 shown]
	v_cmp_gt_i32_e32 vcc_lo, 32, v9
	s_wait_dscnt 0x0
	v_add_f64_e32 v[24:25], v[18:19], v[32:33]
	s_wait_alu 0xfffd
	v_cndmask_b32_e32 v9, v34, v9, vcc_lo
	s_delay_alu instid0(VALU_DEP_1)
	v_lshlrev_b32_e32 v33, 2, v9
	ds_bpermute_b32 v9, v33, v11
	ds_bpermute_b32 v10, v33, v12
	;; [unrolled: 1-line block ×12, first 2 shown]
	s_wait_dscnt 0xa
	v_add_f64_e32 v[9:10], v[11:12], v[9:10]
	s_wait_dscnt 0x8
	v_add_f64_e32 v[22:23], v[22:23], v[18:19]
	s_wait_dscnt 0x6
	v_add_f64_e32 v[11:12], v[15:16], v[26:27]
	s_wait_dscnt 0x4
	v_add_f64_e32 v[18:19], v[13:14], v[28:29]
	s_wait_dscnt 0x2
	v_add_f64_e32 v[13:14], v[20:21], v[30:31]
	v_xor_b32_e32 v20, 1, v34
	s_wait_dscnt 0x0
	v_add_f64_e32 v[15:16], v[24:25], v[32:33]
	s_delay_alu instid0(VALU_DEP_2) | instskip(SKIP_3) | instid1(VALU_DEP_2)
	v_cmp_gt_i32_e32 vcc_lo, 32, v20
	s_wait_alu 0xfffd
	v_cndmask_b32_e32 v20, v34, v20, vcc_lo
	v_cmp_eq_u32_e32 vcc_lo, 15, v0
	v_lshlrev_b32_e32 v29, 2, v20
	ds_bpermute_b32 v20, v29, v9
	ds_bpermute_b32 v21, v29, v10
	;; [unrolled: 1-line block ×12, first 2 shown]
	s_and_b32 exec_lo, exec_lo, vcc_lo
	s_cbranch_execz .LBB137_8
; %bb.24:
	s_wait_dscnt 0x8
	v_add_f64_e32 v[22:23], v[22:23], v[32:33]
	s_wait_dscnt 0x4
	v_add_f64_e32 v[18:19], v[18:19], v[30:31]
	;; [unrolled: 2-line block ×3, first 2 shown]
	v_add_f64_e32 v[9:10], v[9:10], v[20:21]
	v_add_f64_e32 v[11:12], v[11:12], v[24:25]
	;; [unrolled: 1-line block ×3, first 2 shown]
	v_cmp_eq_f64_e32 vcc_lo, 0, v[1:2]
	v_cmp_eq_f64_e64 s2, 0, v[3:4]
	s_load_b64 s[0:1], s[0:1], 0x60
	v_lshl_add_u32 v17, v17, 1, v17
	v_mul_f64_e64 v[13:14], v[22:23], -v[7:8]
	v_mul_f64_e32 v[22:23], v[5:6], v[22:23]
	v_mul_f64_e64 v[24:25], v[18:19], -v[7:8]
	v_mul_f64_e32 v[18:19], v[5:6], v[18:19]
	;; [unrolled: 2-line block ×3, first 2 shown]
	s_and_b32 s2, vcc_lo, s2
	v_fma_f64 v[13:14], v[5:6], v[9:10], v[13:14]
	v_fma_f64 v[15:16], v[7:8], v[9:10], v[22:23]
	;; [unrolled: 1-line block ×6, first 2 shown]
	v_ashrrev_i32_e32 v18, 31, v17
	s_wait_alu 0xfffe
	s_and_saveexec_b32 s3, s2
	s_wait_alu 0xfffe
	s_xor_b32 s2, exec_lo, s3
	s_cbranch_execz .LBB137_26
; %bb.25:
	v_lshlrev_b64_e32 v[0:1], 4, v[17:18]
                                        ; implicit-def: $vgpr17
	s_wait_kmcnt 0x0
	s_delay_alu instid0(VALU_DEP_1) | instskip(SKIP_1) | instid1(VALU_DEP_2)
	v_add_co_u32 v0, vcc_lo, s0, v0
	s_wait_alu 0xfffd
	v_add_co_ci_u32_e64 v1, null, s1, v1, vcc_lo
	s_clause 0x2
	global_store_b128 v[0:1], v[13:16], off
	global_store_b128 v[0:1], v[9:12], off offset:16
	global_store_b128 v[0:1], v[5:8], off offset:32
                                        ; implicit-def: $vgpr3_vgpr4
                                        ; implicit-def: $vgpr13_vgpr14
                                        ; implicit-def: $vgpr9_vgpr10
                                        ; implicit-def: $vgpr5_vgpr6
.LBB137_26:
	s_wait_alu 0xfffe
	s_and_not1_saveexec_b32 s2, s2
	s_cbranch_execz .LBB137_8
; %bb.27:
	v_lshlrev_b64_e32 v[17:18], 4, v[17:18]
	s_wait_kmcnt 0x0
	s_delay_alu instid0(VALU_DEP_1) | instskip(SKIP_1) | instid1(VALU_DEP_2)
	v_add_co_u32 v29, vcc_lo, s0, v17
	s_wait_alu 0xfffd
	v_add_co_ci_u32_e64 v30, null, s1, v18, vcc_lo
	s_clause 0x2
	global_load_b128 v[17:20], v[29:30], off
	global_load_b128 v[21:24], v[29:30], off offset:16
	global_load_b128 v[25:28], v[29:30], off offset:32
	s_wait_loadcnt 0x2
	v_fma_f64 v[13:14], v[1:2], v[17:18], v[13:14]
	v_fma_f64 v[15:16], v[3:4], v[17:18], v[15:16]
	s_wait_loadcnt 0x1
	v_fma_f64 v[9:10], v[1:2], v[21:22], v[9:10]
	v_fma_f64 v[11:12], v[3:4], v[21:22], v[11:12]
	s_wait_loadcnt 0x0
	v_fma_f64 v[17:18], v[1:2], v[25:26], v[5:6]
	v_fma_f64 v[21:22], v[3:4], v[25:26], v[7:8]
	v_fma_f64 v[5:6], -v[3:4], v[19:20], v[13:14]
	v_fma_f64 v[7:8], v[1:2], v[19:20], v[15:16]
	v_fma_f64 v[9:10], -v[3:4], v[23:24], v[9:10]
	v_fma_f64 v[11:12], v[1:2], v[23:24], v[11:12]
	;; [unrolled: 2-line block ×3, first 2 shown]
	s_clause 0x2
	global_store_b128 v[29:30], v[5:8], off
	global_store_b128 v[29:30], v[9:12], off offset:16
	global_store_b128 v[29:30], v[13:16], off offset:32
	s_endpgm
	.section	.rodata,"a",@progbits
	.p2align	6, 0x0
	.amdhsa_kernel _ZN9rocsparseL18bsrxmvn_3x3_kernelILj256ELj16E21rocsparse_complex_numIdEiidS2_S2_EEvT3_20rocsparse_direction_NS_24const_host_device_scalarIT1_EES3_PKS3_PKT2_SC_S9_PKT4_PKT5_S7_PT6_21rocsparse_index_base_b
		.amdhsa_group_segment_fixed_size 0
		.amdhsa_private_segment_fixed_size 0
		.amdhsa_kernarg_size 112
		.amdhsa_user_sgpr_count 2
		.amdhsa_user_sgpr_dispatch_ptr 0
		.amdhsa_user_sgpr_queue_ptr 0
		.amdhsa_user_sgpr_kernarg_segment_ptr 1
		.amdhsa_user_sgpr_dispatch_id 0
		.amdhsa_user_sgpr_private_segment_size 0
		.amdhsa_wavefront_size32 1
		.amdhsa_uses_dynamic_stack 0
		.amdhsa_enable_private_segment 0
		.amdhsa_system_sgpr_workgroup_id_x 1
		.amdhsa_system_sgpr_workgroup_id_y 0
		.amdhsa_system_sgpr_workgroup_id_z 0
		.amdhsa_system_sgpr_workgroup_info 0
		.amdhsa_system_vgpr_workitem_id 0
		.amdhsa_next_free_vgpr 61
		.amdhsa_next_free_sgpr 14
		.amdhsa_reserve_vcc 1
		.amdhsa_float_round_mode_32 0
		.amdhsa_float_round_mode_16_64 0
		.amdhsa_float_denorm_mode_32 3
		.amdhsa_float_denorm_mode_16_64 3
		.amdhsa_fp16_overflow 0
		.amdhsa_workgroup_processor_mode 1
		.amdhsa_memory_ordered 1
		.amdhsa_forward_progress 1
		.amdhsa_inst_pref_size 26
		.amdhsa_round_robin_scheduling 0
		.amdhsa_exception_fp_ieee_invalid_op 0
		.amdhsa_exception_fp_denorm_src 0
		.amdhsa_exception_fp_ieee_div_zero 0
		.amdhsa_exception_fp_ieee_overflow 0
		.amdhsa_exception_fp_ieee_underflow 0
		.amdhsa_exception_fp_ieee_inexact 0
		.amdhsa_exception_int_div_zero 0
	.end_amdhsa_kernel
	.section	.text._ZN9rocsparseL18bsrxmvn_3x3_kernelILj256ELj16E21rocsparse_complex_numIdEiidS2_S2_EEvT3_20rocsparse_direction_NS_24const_host_device_scalarIT1_EES3_PKS3_PKT2_SC_S9_PKT4_PKT5_S7_PT6_21rocsparse_index_base_b,"axG",@progbits,_ZN9rocsparseL18bsrxmvn_3x3_kernelILj256ELj16E21rocsparse_complex_numIdEiidS2_S2_EEvT3_20rocsparse_direction_NS_24const_host_device_scalarIT1_EES3_PKS3_PKT2_SC_S9_PKT4_PKT5_S7_PT6_21rocsparse_index_base_b,comdat
.Lfunc_end137:
	.size	_ZN9rocsparseL18bsrxmvn_3x3_kernelILj256ELj16E21rocsparse_complex_numIdEiidS2_S2_EEvT3_20rocsparse_direction_NS_24const_host_device_scalarIT1_EES3_PKS3_PKT2_SC_S9_PKT4_PKT5_S7_PT6_21rocsparse_index_base_b, .Lfunc_end137-_ZN9rocsparseL18bsrxmvn_3x3_kernelILj256ELj16E21rocsparse_complex_numIdEiidS2_S2_EEvT3_20rocsparse_direction_NS_24const_host_device_scalarIT1_EES3_PKS3_PKT2_SC_S9_PKT4_PKT5_S7_PT6_21rocsparse_index_base_b
                                        ; -- End function
	.set _ZN9rocsparseL18bsrxmvn_3x3_kernelILj256ELj16E21rocsparse_complex_numIdEiidS2_S2_EEvT3_20rocsparse_direction_NS_24const_host_device_scalarIT1_EES3_PKS3_PKT2_SC_S9_PKT4_PKT5_S7_PT6_21rocsparse_index_base_b.num_vgpr, 61
	.set _ZN9rocsparseL18bsrxmvn_3x3_kernelILj256ELj16E21rocsparse_complex_numIdEiidS2_S2_EEvT3_20rocsparse_direction_NS_24const_host_device_scalarIT1_EES3_PKS3_PKT2_SC_S9_PKT4_PKT5_S7_PT6_21rocsparse_index_base_b.num_agpr, 0
	.set _ZN9rocsparseL18bsrxmvn_3x3_kernelILj256ELj16E21rocsparse_complex_numIdEiidS2_S2_EEvT3_20rocsparse_direction_NS_24const_host_device_scalarIT1_EES3_PKS3_PKT2_SC_S9_PKT4_PKT5_S7_PT6_21rocsparse_index_base_b.numbered_sgpr, 14
	.set _ZN9rocsparseL18bsrxmvn_3x3_kernelILj256ELj16E21rocsparse_complex_numIdEiidS2_S2_EEvT3_20rocsparse_direction_NS_24const_host_device_scalarIT1_EES3_PKS3_PKT2_SC_S9_PKT4_PKT5_S7_PT6_21rocsparse_index_base_b.num_named_barrier, 0
	.set _ZN9rocsparseL18bsrxmvn_3x3_kernelILj256ELj16E21rocsparse_complex_numIdEiidS2_S2_EEvT3_20rocsparse_direction_NS_24const_host_device_scalarIT1_EES3_PKS3_PKT2_SC_S9_PKT4_PKT5_S7_PT6_21rocsparse_index_base_b.private_seg_size, 0
	.set _ZN9rocsparseL18bsrxmvn_3x3_kernelILj256ELj16E21rocsparse_complex_numIdEiidS2_S2_EEvT3_20rocsparse_direction_NS_24const_host_device_scalarIT1_EES3_PKS3_PKT2_SC_S9_PKT4_PKT5_S7_PT6_21rocsparse_index_base_b.uses_vcc, 1
	.set _ZN9rocsparseL18bsrxmvn_3x3_kernelILj256ELj16E21rocsparse_complex_numIdEiidS2_S2_EEvT3_20rocsparse_direction_NS_24const_host_device_scalarIT1_EES3_PKS3_PKT2_SC_S9_PKT4_PKT5_S7_PT6_21rocsparse_index_base_b.uses_flat_scratch, 0
	.set _ZN9rocsparseL18bsrxmvn_3x3_kernelILj256ELj16E21rocsparse_complex_numIdEiidS2_S2_EEvT3_20rocsparse_direction_NS_24const_host_device_scalarIT1_EES3_PKS3_PKT2_SC_S9_PKT4_PKT5_S7_PT6_21rocsparse_index_base_b.has_dyn_sized_stack, 0
	.set _ZN9rocsparseL18bsrxmvn_3x3_kernelILj256ELj16E21rocsparse_complex_numIdEiidS2_S2_EEvT3_20rocsparse_direction_NS_24const_host_device_scalarIT1_EES3_PKS3_PKT2_SC_S9_PKT4_PKT5_S7_PT6_21rocsparse_index_base_b.has_recursion, 0
	.set _ZN9rocsparseL18bsrxmvn_3x3_kernelILj256ELj16E21rocsparse_complex_numIdEiidS2_S2_EEvT3_20rocsparse_direction_NS_24const_host_device_scalarIT1_EES3_PKS3_PKT2_SC_S9_PKT4_PKT5_S7_PT6_21rocsparse_index_base_b.has_indirect_call, 0
	.section	.AMDGPU.csdata,"",@progbits
; Kernel info:
; codeLenInByte = 3220
; TotalNumSgprs: 16
; NumVgprs: 61
; ScratchSize: 0
; MemoryBound: 0
; FloatMode: 240
; IeeeMode: 1
; LDSByteSize: 0 bytes/workgroup (compile time only)
; SGPRBlocks: 0
; VGPRBlocks: 7
; NumSGPRsForWavesPerEU: 16
; NumVGPRsForWavesPerEU: 61
; Occupancy: 16
; WaveLimiterHint : 1
; COMPUTE_PGM_RSRC2:SCRATCH_EN: 0
; COMPUTE_PGM_RSRC2:USER_SGPR: 2
; COMPUTE_PGM_RSRC2:TRAP_HANDLER: 0
; COMPUTE_PGM_RSRC2:TGID_X_EN: 1
; COMPUTE_PGM_RSRC2:TGID_Y_EN: 0
; COMPUTE_PGM_RSRC2:TGID_Z_EN: 0
; COMPUTE_PGM_RSRC2:TIDIG_COMP_CNT: 0
	.section	.text._ZN9rocsparseL18bsrxmvn_3x3_kernelILj256ELj32E21rocsparse_complex_numIdEiidS2_S2_EEvT3_20rocsparse_direction_NS_24const_host_device_scalarIT1_EES3_PKS3_PKT2_SC_S9_PKT4_PKT5_S7_PT6_21rocsparse_index_base_b,"axG",@progbits,_ZN9rocsparseL18bsrxmvn_3x3_kernelILj256ELj32E21rocsparse_complex_numIdEiidS2_S2_EEvT3_20rocsparse_direction_NS_24const_host_device_scalarIT1_EES3_PKS3_PKT2_SC_S9_PKT4_PKT5_S7_PT6_21rocsparse_index_base_b,comdat
	.globl	_ZN9rocsparseL18bsrxmvn_3x3_kernelILj256ELj32E21rocsparse_complex_numIdEiidS2_S2_EEvT3_20rocsparse_direction_NS_24const_host_device_scalarIT1_EES3_PKS3_PKT2_SC_S9_PKT4_PKT5_S7_PT6_21rocsparse_index_base_b ; -- Begin function _ZN9rocsparseL18bsrxmvn_3x3_kernelILj256ELj32E21rocsparse_complex_numIdEiidS2_S2_EEvT3_20rocsparse_direction_NS_24const_host_device_scalarIT1_EES3_PKS3_PKT2_SC_S9_PKT4_PKT5_S7_PT6_21rocsparse_index_base_b
	.p2align	8
	.type	_ZN9rocsparseL18bsrxmvn_3x3_kernelILj256ELj32E21rocsparse_complex_numIdEiidS2_S2_EEvT3_20rocsparse_direction_NS_24const_host_device_scalarIT1_EES3_PKS3_PKT2_SC_S9_PKT4_PKT5_S7_PT6_21rocsparse_index_base_b,@function
_ZN9rocsparseL18bsrxmvn_3x3_kernelILj256ELj32E21rocsparse_complex_numIdEiidS2_S2_EEvT3_20rocsparse_direction_NS_24const_host_device_scalarIT1_EES3_PKS3_PKT2_SC_S9_PKT4_PKT5_S7_PT6_21rocsparse_index_base_b: ; @_ZN9rocsparseL18bsrxmvn_3x3_kernelILj256ELj32E21rocsparse_complex_numIdEiidS2_S2_EEvT3_20rocsparse_direction_NS_24const_host_device_scalarIT1_EES3_PKS3_PKT2_SC_S9_PKT4_PKT5_S7_PT6_21rocsparse_index_base_b
; %bb.0:
	s_clause 0x1
	s_load_b64 s[12:13], s[0:1], 0x68
	s_load_b64 s[2:3], s[0:1], 0x8
	s_add_nc_u64 s[4:5], s[0:1], 8
	s_load_b64 s[6:7], s[0:1], 0x50
	s_wait_kmcnt 0x0
	s_bitcmp1_b32 s13, 0
	s_cselect_b32 s2, s4, s2
	s_cselect_b32 s3, s5, s3
	s_delay_alu instid0(SALU_CYCLE_1)
	v_dual_mov_b32 v1, s2 :: v_dual_mov_b32 v2, s3
	s_add_nc_u64 s[2:3], s[0:1], 0x50
	s_wait_alu 0xfffe
	s_cselect_b32 s2, s2, s6
	s_cselect_b32 s3, s3, s7
	flat_load_b128 v[5:8], v[1:2]
	s_wait_alu 0xfffe
	v_dual_mov_b32 v1, s2 :: v_dual_mov_b32 v2, s3
	flat_load_b128 v[1:4], v[1:2]
	s_wait_loadcnt_dscnt 0x101
	v_cmp_eq_f64_e32 vcc_lo, 0, v[5:6]
	v_cmp_eq_f64_e64 s2, 0, v[7:8]
	s_and_b32 s4, vcc_lo, s2
	s_mov_b32 s2, -1
	s_and_saveexec_b32 s3, s4
	s_cbranch_execz .LBB138_2
; %bb.1:
	s_wait_loadcnt_dscnt 0x0
	v_cmp_neq_f64_e32 vcc_lo, 1.0, v[1:2]
	v_cmp_neq_f64_e64 s2, 0, v[3:4]
	s_wait_alu 0xfffe
	s_or_b32 s2, vcc_lo, s2
	s_wait_alu 0xfffe
	s_or_not1_b32 s2, s2, exec_lo
.LBB138_2:
	s_wait_alu 0xfffe
	s_or_b32 exec_lo, exec_lo, s3
	s_and_saveexec_b32 s3, s2
	s_cbranch_execz .LBB138_8
; %bb.3:
	s_clause 0x1
	s_load_b64 s[4:5], s[0:1], 0x20
	s_load_b64 s[2:3], s[0:1], 0x0
	v_lshrrev_b32_e32 v9, 5, v0
	s_delay_alu instid0(VALU_DEP_1)
	v_lshl_or_b32 v17, ttmp9, 3, v9
	s_wait_kmcnt 0x0
	s_cmp_lg_u64 s[4:5], 0
	s_cbranch_scc0 .LBB138_9
; %bb.4:
	s_load_b32 s6, s[0:1], 0x18
	s_mov_b32 s7, 0
                                        ; implicit-def: $vgpr9
	s_wait_kmcnt 0x0
	v_cmp_gt_i32_e32 vcc_lo, s6, v17
	s_mov_b32 s6, 0
	s_and_saveexec_b32 s8, vcc_lo
	s_delay_alu instid0(SALU_CYCLE_1)
	s_xor_b32 s8, exec_lo, s8
	s_cbranch_execz .LBB138_6
; %bb.5:
	v_ashrrev_i32_e32 v18, 31, v17
	s_mov_b32 s6, exec_lo
	s_delay_alu instid0(VALU_DEP_1) | instskip(NEXT) | instid1(VALU_DEP_1)
	v_lshlrev_b64_e32 v[9:10], 2, v[17:18]
	v_add_co_u32 v9, vcc_lo, s4, v9
	s_delay_alu instid0(VALU_DEP_1)
	v_add_co_ci_u32_e64 v10, null, s5, v10, vcc_lo
	global_load_b32 v9, v[9:10], off
	s_wait_loadcnt 0x0
	v_subrev_nc_u32_e32 v9, s12, v9
.LBB138_6:
	s_or_b32 exec_lo, exec_lo, s8
	s_delay_alu instid0(SALU_CYCLE_1)
	s_and_b32 vcc_lo, exec_lo, s7
	s_wait_alu 0xfffe
	s_cbranch_vccz .LBB138_10
.LBB138_7:
	v_cmp_gt_i32_e32 vcc_lo, s2, v17
	s_and_not1_b32 s2, s6, exec_lo
	s_and_b32 s4, vcc_lo, exec_lo
	s_wait_alu 0xfffe
	s_or_b32 s6, s2, s4
	s_wait_alu 0xfffe
	s_and_b32 exec_lo, exec_lo, s6
	s_cbranch_execnz .LBB138_11
.LBB138_8:
	s_endpgm
.LBB138_9:
	s_mov_b32 s6, 0
                                        ; implicit-def: $vgpr9
	s_cbranch_execnz .LBB138_7
.LBB138_10:
	v_mov_b32_e32 v17, v9
	s_and_b32 exec_lo, exec_lo, s6
	s_cbranch_execz .LBB138_8
.LBB138_11:
	s_load_b256 s[4:11], s[0:1], 0x28
	s_delay_alu instid0(VALU_DEP_1) | instskip(SKIP_1) | instid1(VALU_DEP_2)
	v_ashrrev_i32_e32 v18, 31, v17
	v_and_b32_e32 v0, 31, v0
	v_lshlrev_b64_e32 v[9:10], 2, v[17:18]
	s_wait_kmcnt 0x0
	s_delay_alu instid0(VALU_DEP_1) | instskip(SKIP_1) | instid1(VALU_DEP_2)
	v_add_co_u32 v11, vcc_lo, s4, v9
	s_wait_alu 0xfffd
	v_add_co_ci_u32_e64 v12, null, s5, v10, vcc_lo
	v_add_co_u32 v9, vcc_lo, s6, v9
	s_wait_alu 0xfffd
	v_add_co_ci_u32_e64 v10, null, s7, v10, vcc_lo
	;; [unrolled: 3-line block ×3, first 2 shown]
	s_cmp_eq_u64 s[6:7], 0
	global_load_b32 v11, v[11:12], off
	s_cselect_b32 vcc_lo, -1, 0
	s_load_b64 s[4:5], s[0:1], 0x48
	v_dual_cndmask_b32 v10, v10, v14 :: v_dual_cndmask_b32 v9, v9, v13
	s_cmp_eq_u32 s3, 1
	global_load_b32 v9, v[9:10], off
	s_wait_loadcnt 0x1
	v_subrev_nc_u32_e32 v10, s12, v11
	s_delay_alu instid0(VALU_DEP_1) | instskip(SKIP_2) | instid1(VALU_DEP_2)
	v_add_nc_u32_e32 v22, v10, v0
	s_wait_loadcnt 0x0
	v_subrev_nc_u32_e32 v30, s12, v9
	v_mad_co_i64_i32 v[24:25], null, 0x48, v22, s[10:11]
	s_delay_alu instid0(VALU_DEP_2)
	v_cmp_lt_i32_e64 s2, v22, v30
	s_cbranch_scc1 .LBB138_17
; %bb.12:
	v_mov_b32_e32 v9, 0
	v_dual_mov_b32 v13, 0 :: v_dual_mov_b32 v18, 0
	v_dual_mov_b32 v10, 0 :: v_dual_mov_b32 v11, 0
	;; [unrolled: 1-line block ×4, first 2 shown]
	v_mov_b32_e32 v12, 0
	v_dual_mov_b32 v16, 0 :: v_dual_mov_b32 v21, 0
	s_and_saveexec_b32 s6, s2
	s_cbranch_execz .LBB138_16
; %bb.13:
	v_dual_mov_b32 v9, 0 :: v_dual_mov_b32 v26, v22
	v_dual_mov_b32 v10, 0 :: v_dual_mov_b32 v11, 0
	;; [unrolled: 1-line block ×4, first 2 shown]
	v_mov_b32_e32 v18, 0
	v_dual_mov_b32 v20, 0 :: v_dual_mov_b32 v29, v25
	v_dual_mov_b32 v16, 0 :: v_dual_mov_b32 v19, 0
	;; [unrolled: 1-line block ×3, first 2 shown]
	s_mov_b32 s7, 0
.LBB138_14:                             ; =>This Inner Loop Header: Depth=1
	v_ashrrev_i32_e32 v27, 31, v26
	s_delay_alu instid0(VALU_DEP_1) | instskip(SKIP_1) | instid1(VALU_DEP_2)
	v_lshlrev_b64_e32 v[31:32], 2, v[26:27]
	v_add_nc_u32_e32 v26, 32, v26
	v_add_co_u32 v31, vcc_lo, s8, v31
	s_wait_alu 0xfffd
	s_delay_alu instid0(VALU_DEP_3)
	v_add_co_ci_u32_e64 v32, null, s9, v32, vcc_lo
	global_load_b32 v23, v[31:32], off
	s_clause 0x2
	global_load_b128 v[31:34], v[28:29], off offset:48
	global_load_b128 v[35:38], v[28:29], off offset:16
	global_load_b128 v[39:42], v[28:29], off
	s_wait_loadcnt 0x3
	v_subrev_nc_u32_e32 v23, s12, v23
	s_delay_alu instid0(VALU_DEP_1) | instskip(NEXT) | instid1(VALU_DEP_1)
	v_lshl_add_u32 v43, v23, 1, v23
	v_ashrrev_i32_e32 v44, 31, v43
	s_delay_alu instid0(VALU_DEP_1) | instskip(SKIP_1) | instid1(VALU_DEP_1)
	v_lshlrev_b64_e32 v[43:44], 4, v[43:44]
	s_wait_kmcnt 0x0
	v_add_co_u32 v55, vcc_lo, s4, v43
	s_wait_alu 0xfffd
	s_delay_alu instid0(VALU_DEP_2)
	v_add_co_ci_u32_e64 v56, null, s5, v44, vcc_lo
	v_cmp_ge_i32_e32 vcc_lo, v26, v30
	s_clause 0x1
	global_load_b128 v[43:46], v[55:56], off
	global_load_b128 v[47:50], v[55:56], off offset:16
	s_clause 0x1
	global_load_b128 v[51:54], v[28:29], off offset:32
	global_load_b64 v[59:60], v[28:29], off offset:64
	global_load_b128 v[55:58], v[55:56], off offset:32
	v_add_co_u32 v28, s3, 0x900, v28
	s_wait_alu 0xf1ff
	v_add_co_ci_u32_e64 v29, null, 0, v29, s3
	s_wait_alu 0xfffe
	s_or_b32 s7, vcc_lo, s7
	s_wait_loadcnt 0x4
	v_fma_f64 v[11:12], v[39:40], v[43:44], v[11:12]
	v_fma_f64 v[9:10], v[43:44], 0, v[9:10]
	v_fma_f64 v[15:16], v[37:38], v[43:44], v[15:16]
	v_fma_f64 v[13:14], v[43:44], 0, v[13:14]
	v_fma_f64 v[20:21], v[31:32], v[43:44], v[20:21]
	v_fma_f64 v[18:19], v[43:44], 0, v[18:19]
	v_fma_f64 v[11:12], 0x80000000, v[45:46], v[11:12]
	v_fma_f64 v[9:10], v[39:40], v[45:46], v[9:10]
	v_fma_f64 v[15:16], 0x80000000, v[45:46], v[15:16]
	v_fma_f64 v[13:14], v[37:38], v[45:46], v[13:14]
	v_fma_f64 v[20:21], 0x80000000, v[45:46], v[20:21]
	v_fma_f64 v[18:19], v[31:32], v[45:46], v[18:19]
	s_wait_loadcnt 0x3
	v_fma_f64 v[11:12], v[41:42], v[47:48], v[11:12]
	v_fma_f64 v[9:10], v[47:48], 0, v[9:10]
	s_wait_loadcnt 0x2
	v_fma_f64 v[15:16], v[51:52], v[47:48], v[15:16]
	v_fma_f64 v[13:14], v[47:48], 0, v[13:14]
	;; [unrolled: 1-line block ×10, first 2 shown]
	s_wait_loadcnt 0x0
	v_fma_f64 v[11:12], v[35:36], v[55:56], v[11:12]
	v_fma_f64 v[9:10], v[55:56], 0, v[9:10]
	;; [unrolled: 1-line block ×12, first 2 shown]
	s_wait_alu 0xfffe
	s_and_not1_b32 exec_lo, exec_lo, s7
	s_cbranch_execnz .LBB138_14
; %bb.15:
	s_or_b32 exec_lo, exec_lo, s7
.LBB138_16:
	s_wait_alu 0xfffe
	s_or_b32 exec_lo, exec_lo, s6
	s_cbranch_execz .LBB138_18
	s_branch .LBB138_23
.LBB138_17:
                                        ; implicit-def: $vgpr9_vgpr10
                                        ; implicit-def: $vgpr11_vgpr12
                                        ; implicit-def: $vgpr13_vgpr14
                                        ; implicit-def: $vgpr15_vgpr16
                                        ; implicit-def: $vgpr18_vgpr19
                                        ; implicit-def: $vgpr20_vgpr21
.LBB138_18:
	v_mov_b32_e32 v9, 0
	v_dual_mov_b32 v13, 0 :: v_dual_mov_b32 v18, 0
	v_dual_mov_b32 v10, 0 :: v_dual_mov_b32 v11, 0
	;; [unrolled: 1-line block ×4, first 2 shown]
	v_mov_b32_e32 v12, 0
	v_dual_mov_b32 v16, 0 :: v_dual_mov_b32 v21, 0
	s_and_saveexec_b32 s3, s2
	s_cbranch_execz .LBB138_22
; %bb.19:
	v_mov_b32_e32 v9, 0
	v_dual_mov_b32 v13, 0 :: v_dual_mov_b32 v18, 0
	v_dual_mov_b32 v10, 0 :: v_dual_mov_b32 v11, 0
	;; [unrolled: 1-line block ×4, first 2 shown]
	v_mov_b32_e32 v12, 0
	v_dual_mov_b32 v16, 0 :: v_dual_mov_b32 v21, 0
	s_mov_b32 s6, 0
.LBB138_20:                             ; =>This Inner Loop Header: Depth=1
	v_ashrrev_i32_e32 v23, 31, v22
	s_delay_alu instid0(VALU_DEP_1) | instskip(SKIP_1) | instid1(VALU_DEP_2)
	v_lshlrev_b64_e32 v[26:27], 2, v[22:23]
	v_add_nc_u32_e32 v22, 32, v22
	v_add_co_u32 v26, vcc_lo, s8, v26
	s_wait_alu 0xfffd
	s_delay_alu instid0(VALU_DEP_3)
	v_add_co_ci_u32_e64 v27, null, s9, v27, vcc_lo
	global_load_b32 v23, v[26:27], off
	s_clause 0x1
	global_load_b128 v[26:29], v[24:25], off offset:16
	global_load_b128 v[31:34], v[24:25], off
	s_wait_loadcnt 0x2
	v_subrev_nc_u32_e32 v23, s12, v23
	s_delay_alu instid0(VALU_DEP_1) | instskip(NEXT) | instid1(VALU_DEP_1)
	v_lshl_add_u32 v35, v23, 1, v23
	v_ashrrev_i32_e32 v36, 31, v35
	s_delay_alu instid0(VALU_DEP_1) | instskip(SKIP_1) | instid1(VALU_DEP_1)
	v_lshlrev_b64_e32 v[35:36], 4, v[35:36]
	s_wait_kmcnt 0x0
	v_add_co_u32 v51, vcc_lo, s4, v35
	s_wait_alu 0xfffd
	s_delay_alu instid0(VALU_DEP_2)
	v_add_co_ci_u32_e64 v52, null, s5, v36, vcc_lo
	v_cmp_ge_i32_e32 vcc_lo, v22, v30
	s_clause 0x1
	global_load_b128 v[35:38], v[51:52], off
	global_load_b128 v[39:42], v[51:52], off offset:16
	s_clause 0x2
	global_load_b128 v[43:46], v[24:25], off offset:32
	global_load_b128 v[47:50], v[24:25], off offset:48
	global_load_b64 v[55:56], v[24:25], off offset:64
	global_load_b128 v[51:54], v[51:52], off offset:32
	v_add_co_u32 v24, s2, 0x900, v24
	s_wait_alu 0xf1ff
	v_add_co_ci_u32_e64 v25, null, 0, v25, s2
	s_wait_alu 0xfffe
	s_or_b32 s6, vcc_lo, s6
	s_wait_loadcnt 0x5
	v_fma_f64 v[11:12], v[31:32], v[35:36], v[11:12]
	v_fma_f64 v[9:10], v[35:36], 0, v[9:10]
	;; [unrolled: 1-line block ×12, first 2 shown]
	s_wait_loadcnt 0x4
	v_fma_f64 v[11:12], v[28:29], v[39:40], v[11:12]
	v_fma_f64 v[9:10], v[39:40], 0, v[9:10]
	s_wait_loadcnt 0x3
	v_fma_f64 v[15:16], v[43:44], v[39:40], v[15:16]
	v_fma_f64 v[13:14], v[39:40], 0, v[13:14]
	;; [unrolled: 1-line block ×10, first 2 shown]
	s_wait_loadcnt 0x0
	v_fma_f64 v[11:12], v[47:48], v[51:52], v[11:12]
	v_fma_f64 v[9:10], v[51:52], 0, v[9:10]
	;; [unrolled: 1-line block ×12, first 2 shown]
	s_wait_alu 0xfffe
	s_and_not1_b32 exec_lo, exec_lo, s6
	s_cbranch_execnz .LBB138_20
; %bb.21:
	s_or_b32 exec_lo, exec_lo, s6
.LBB138_22:
	s_wait_alu 0xfffe
	s_or_b32 exec_lo, exec_lo, s3
.LBB138_23:
	v_mbcnt_lo_u32_b32 v34, -1, 0
	s_delay_alu instid0(VALU_DEP_1) | instskip(NEXT) | instid1(VALU_DEP_1)
	v_xor_b32_e32 v22, 16, v34
	v_cmp_gt_i32_e32 vcc_lo, 32, v22
	s_wait_alu 0xfffd
	v_cndmask_b32_e32 v22, v34, v22, vcc_lo
	s_delay_alu instid0(VALU_DEP_1)
	v_lshlrev_b32_e32 v33, 2, v22
	ds_bpermute_b32 v22, v33, v11
	ds_bpermute_b32 v23, v33, v12
	ds_bpermute_b32 v24, v33, v9
	ds_bpermute_b32 v25, v33, v10
	ds_bpermute_b32 v26, v33, v15
	ds_bpermute_b32 v27, v33, v16
	ds_bpermute_b32 v28, v33, v13
	ds_bpermute_b32 v29, v33, v14
	ds_bpermute_b32 v30, v33, v20
	ds_bpermute_b32 v31, v33, v21
	ds_bpermute_b32 v32, v33, v18
	ds_bpermute_b32 v33, v33, v19
	s_wait_dscnt 0xa
	v_add_f64_e32 v[11:12], v[11:12], v[22:23]
	v_xor_b32_e32 v22, 8, v34
	s_wait_dscnt 0x8
	v_add_f64_e32 v[9:10], v[9:10], v[24:25]
	s_wait_dscnt 0x6
	v_add_f64_e32 v[15:16], v[15:16], v[26:27]
	;; [unrolled: 2-line block ×3, first 2 shown]
	v_cmp_gt_i32_e32 vcc_lo, 32, v22
	s_wait_dscnt 0x2
	v_add_f64_e32 v[20:21], v[20:21], v[30:31]
	s_wait_dscnt 0x0
	v_add_f64_e32 v[18:19], v[18:19], v[32:33]
	s_wait_alu 0xfffd
	v_cndmask_b32_e32 v22, v34, v22, vcc_lo
	s_delay_alu instid0(VALU_DEP_1)
	v_lshlrev_b32_e32 v33, 2, v22
	ds_bpermute_b32 v22, v33, v11
	ds_bpermute_b32 v23, v33, v12
	;; [unrolled: 1-line block ×12, first 2 shown]
	s_wait_dscnt 0xa
	v_add_f64_e32 v[11:12], v[11:12], v[22:23]
	v_xor_b32_e32 v22, 4, v34
	s_wait_dscnt 0x8
	v_add_f64_e32 v[9:10], v[9:10], v[24:25]
	s_wait_dscnt 0x6
	v_add_f64_e32 v[15:16], v[15:16], v[26:27]
	;; [unrolled: 2-line block ×3, first 2 shown]
	v_cmp_gt_i32_e32 vcc_lo, 32, v22
	s_wait_dscnt 0x2
	v_add_f64_e32 v[20:21], v[20:21], v[30:31]
	s_wait_dscnt 0x0
	v_add_f64_e32 v[18:19], v[18:19], v[32:33]
	s_wait_alu 0xfffd
	v_cndmask_b32_e32 v22, v34, v22, vcc_lo
	s_delay_alu instid0(VALU_DEP_1)
	v_lshlrev_b32_e32 v33, 2, v22
	ds_bpermute_b32 v22, v33, v11
	ds_bpermute_b32 v23, v33, v12
	;; [unrolled: 1-line block ×12, first 2 shown]
	s_wait_dscnt 0xa
	v_add_f64_e32 v[11:12], v[11:12], v[22:23]
	s_wait_dscnt 0x8
	v_add_f64_e32 v[22:23], v[9:10], v[24:25]
	v_xor_b32_e32 v9, 2, v34
	s_wait_dscnt 0x6
	v_add_f64_e32 v[15:16], v[15:16], v[26:27]
	s_wait_dscnt 0x4
	v_add_f64_e32 v[13:14], v[13:14], v[28:29]
	;; [unrolled: 2-line block ×3, first 2 shown]
	v_cmp_gt_i32_e32 vcc_lo, 32, v9
	s_wait_dscnt 0x0
	v_add_f64_e32 v[24:25], v[18:19], v[32:33]
	s_wait_alu 0xfffd
	v_cndmask_b32_e32 v9, v34, v9, vcc_lo
	s_delay_alu instid0(VALU_DEP_1)
	v_lshlrev_b32_e32 v33, 2, v9
	ds_bpermute_b32 v9, v33, v11
	ds_bpermute_b32 v10, v33, v12
	;; [unrolled: 1-line block ×12, first 2 shown]
	s_wait_dscnt 0xa
	v_add_f64_e32 v[9:10], v[11:12], v[9:10]
	s_wait_dscnt 0x8
	v_add_f64_e32 v[22:23], v[22:23], v[18:19]
	;; [unrolled: 2-line block ×5, first 2 shown]
	v_xor_b32_e32 v20, 1, v34
	s_wait_dscnt 0x0
	v_add_f64_e32 v[15:16], v[24:25], v[32:33]
	s_delay_alu instid0(VALU_DEP_2) | instskip(SKIP_3) | instid1(VALU_DEP_2)
	v_cmp_gt_i32_e32 vcc_lo, 32, v20
	s_wait_alu 0xfffd
	v_cndmask_b32_e32 v20, v34, v20, vcc_lo
	v_cmp_eq_u32_e32 vcc_lo, 31, v0
	v_lshlrev_b32_e32 v29, 2, v20
	ds_bpermute_b32 v20, v29, v9
	ds_bpermute_b32 v21, v29, v10
	;; [unrolled: 1-line block ×12, first 2 shown]
	s_and_b32 exec_lo, exec_lo, vcc_lo
	s_cbranch_execz .LBB138_8
; %bb.24:
	s_wait_dscnt 0x8
	v_add_f64_e32 v[22:23], v[22:23], v[32:33]
	s_wait_dscnt 0x4
	v_add_f64_e32 v[18:19], v[18:19], v[30:31]
	;; [unrolled: 2-line block ×3, first 2 shown]
	v_add_f64_e32 v[9:10], v[9:10], v[20:21]
	v_add_f64_e32 v[11:12], v[11:12], v[24:25]
	;; [unrolled: 1-line block ×3, first 2 shown]
	v_cmp_eq_f64_e32 vcc_lo, 0, v[1:2]
	v_cmp_eq_f64_e64 s2, 0, v[3:4]
	s_load_b64 s[0:1], s[0:1], 0x60
	v_lshl_add_u32 v17, v17, 1, v17
	v_mul_f64_e64 v[13:14], v[22:23], -v[7:8]
	v_mul_f64_e32 v[22:23], v[5:6], v[22:23]
	v_mul_f64_e64 v[24:25], v[18:19], -v[7:8]
	v_mul_f64_e32 v[18:19], v[5:6], v[18:19]
	;; [unrolled: 2-line block ×3, first 2 shown]
	s_and_b32 s2, vcc_lo, s2
	v_fma_f64 v[13:14], v[5:6], v[9:10], v[13:14]
	v_fma_f64 v[15:16], v[7:8], v[9:10], v[22:23]
	;; [unrolled: 1-line block ×6, first 2 shown]
	v_ashrrev_i32_e32 v18, 31, v17
	s_wait_alu 0xfffe
	s_and_saveexec_b32 s3, s2
	s_wait_alu 0xfffe
	s_xor_b32 s2, exec_lo, s3
	s_cbranch_execz .LBB138_26
; %bb.25:
	v_lshlrev_b64_e32 v[0:1], 4, v[17:18]
                                        ; implicit-def: $vgpr17
	s_wait_kmcnt 0x0
	s_delay_alu instid0(VALU_DEP_1) | instskip(SKIP_1) | instid1(VALU_DEP_2)
	v_add_co_u32 v0, vcc_lo, s0, v0
	s_wait_alu 0xfffd
	v_add_co_ci_u32_e64 v1, null, s1, v1, vcc_lo
	s_clause 0x2
	global_store_b128 v[0:1], v[13:16], off
	global_store_b128 v[0:1], v[9:12], off offset:16
	global_store_b128 v[0:1], v[5:8], off offset:32
                                        ; implicit-def: $vgpr3_vgpr4
                                        ; implicit-def: $vgpr13_vgpr14
                                        ; implicit-def: $vgpr9_vgpr10
                                        ; implicit-def: $vgpr5_vgpr6
.LBB138_26:
	s_wait_alu 0xfffe
	s_and_not1_saveexec_b32 s2, s2
	s_cbranch_execz .LBB138_8
; %bb.27:
	v_lshlrev_b64_e32 v[17:18], 4, v[17:18]
	s_wait_kmcnt 0x0
	s_delay_alu instid0(VALU_DEP_1) | instskip(SKIP_1) | instid1(VALU_DEP_2)
	v_add_co_u32 v29, vcc_lo, s0, v17
	s_wait_alu 0xfffd
	v_add_co_ci_u32_e64 v30, null, s1, v18, vcc_lo
	s_clause 0x2
	global_load_b128 v[17:20], v[29:30], off
	global_load_b128 v[21:24], v[29:30], off offset:16
	global_load_b128 v[25:28], v[29:30], off offset:32
	s_wait_loadcnt 0x2
	v_fma_f64 v[13:14], v[1:2], v[17:18], v[13:14]
	v_fma_f64 v[15:16], v[3:4], v[17:18], v[15:16]
	s_wait_loadcnt 0x1
	v_fma_f64 v[9:10], v[1:2], v[21:22], v[9:10]
	v_fma_f64 v[11:12], v[3:4], v[21:22], v[11:12]
	;; [unrolled: 3-line block ×3, first 2 shown]
	v_fma_f64 v[5:6], -v[3:4], v[19:20], v[13:14]
	v_fma_f64 v[7:8], v[1:2], v[19:20], v[15:16]
	v_fma_f64 v[9:10], -v[3:4], v[23:24], v[9:10]
	v_fma_f64 v[11:12], v[1:2], v[23:24], v[11:12]
	;; [unrolled: 2-line block ×3, first 2 shown]
	s_clause 0x2
	global_store_b128 v[29:30], v[5:8], off
	global_store_b128 v[29:30], v[9:12], off offset:16
	global_store_b128 v[29:30], v[13:16], off offset:32
	s_endpgm
	.section	.rodata,"a",@progbits
	.p2align	6, 0x0
	.amdhsa_kernel _ZN9rocsparseL18bsrxmvn_3x3_kernelILj256ELj32E21rocsparse_complex_numIdEiidS2_S2_EEvT3_20rocsparse_direction_NS_24const_host_device_scalarIT1_EES3_PKS3_PKT2_SC_S9_PKT4_PKT5_S7_PT6_21rocsparse_index_base_b
		.amdhsa_group_segment_fixed_size 0
		.amdhsa_private_segment_fixed_size 0
		.amdhsa_kernarg_size 112
		.amdhsa_user_sgpr_count 2
		.amdhsa_user_sgpr_dispatch_ptr 0
		.amdhsa_user_sgpr_queue_ptr 0
		.amdhsa_user_sgpr_kernarg_segment_ptr 1
		.amdhsa_user_sgpr_dispatch_id 0
		.amdhsa_user_sgpr_private_segment_size 0
		.amdhsa_wavefront_size32 1
		.amdhsa_uses_dynamic_stack 0
		.amdhsa_enable_private_segment 0
		.amdhsa_system_sgpr_workgroup_id_x 1
		.amdhsa_system_sgpr_workgroup_id_y 0
		.amdhsa_system_sgpr_workgroup_id_z 0
		.amdhsa_system_sgpr_workgroup_info 0
		.amdhsa_system_vgpr_workitem_id 0
		.amdhsa_next_free_vgpr 61
		.amdhsa_next_free_sgpr 14
		.amdhsa_reserve_vcc 1
		.amdhsa_float_round_mode_32 0
		.amdhsa_float_round_mode_16_64 0
		.amdhsa_float_denorm_mode_32 3
		.amdhsa_float_denorm_mode_16_64 3
		.amdhsa_fp16_overflow 0
		.amdhsa_workgroup_processor_mode 1
		.amdhsa_memory_ordered 1
		.amdhsa_forward_progress 1
		.amdhsa_inst_pref_size 27
		.amdhsa_round_robin_scheduling 0
		.amdhsa_exception_fp_ieee_invalid_op 0
		.amdhsa_exception_fp_denorm_src 0
		.amdhsa_exception_fp_ieee_div_zero 0
		.amdhsa_exception_fp_ieee_overflow 0
		.amdhsa_exception_fp_ieee_underflow 0
		.amdhsa_exception_fp_ieee_inexact 0
		.amdhsa_exception_int_div_zero 0
	.end_amdhsa_kernel
	.section	.text._ZN9rocsparseL18bsrxmvn_3x3_kernelILj256ELj32E21rocsparse_complex_numIdEiidS2_S2_EEvT3_20rocsparse_direction_NS_24const_host_device_scalarIT1_EES3_PKS3_PKT2_SC_S9_PKT4_PKT5_S7_PT6_21rocsparse_index_base_b,"axG",@progbits,_ZN9rocsparseL18bsrxmvn_3x3_kernelILj256ELj32E21rocsparse_complex_numIdEiidS2_S2_EEvT3_20rocsparse_direction_NS_24const_host_device_scalarIT1_EES3_PKS3_PKT2_SC_S9_PKT4_PKT5_S7_PT6_21rocsparse_index_base_b,comdat
.Lfunc_end138:
	.size	_ZN9rocsparseL18bsrxmvn_3x3_kernelILj256ELj32E21rocsparse_complex_numIdEiidS2_S2_EEvT3_20rocsparse_direction_NS_24const_host_device_scalarIT1_EES3_PKS3_PKT2_SC_S9_PKT4_PKT5_S7_PT6_21rocsparse_index_base_b, .Lfunc_end138-_ZN9rocsparseL18bsrxmvn_3x3_kernelILj256ELj32E21rocsparse_complex_numIdEiidS2_S2_EEvT3_20rocsparse_direction_NS_24const_host_device_scalarIT1_EES3_PKS3_PKT2_SC_S9_PKT4_PKT5_S7_PT6_21rocsparse_index_base_b
                                        ; -- End function
	.set _ZN9rocsparseL18bsrxmvn_3x3_kernelILj256ELj32E21rocsparse_complex_numIdEiidS2_S2_EEvT3_20rocsparse_direction_NS_24const_host_device_scalarIT1_EES3_PKS3_PKT2_SC_S9_PKT4_PKT5_S7_PT6_21rocsparse_index_base_b.num_vgpr, 61
	.set _ZN9rocsparseL18bsrxmvn_3x3_kernelILj256ELj32E21rocsparse_complex_numIdEiidS2_S2_EEvT3_20rocsparse_direction_NS_24const_host_device_scalarIT1_EES3_PKS3_PKT2_SC_S9_PKT4_PKT5_S7_PT6_21rocsparse_index_base_b.num_agpr, 0
	.set _ZN9rocsparseL18bsrxmvn_3x3_kernelILj256ELj32E21rocsparse_complex_numIdEiidS2_S2_EEvT3_20rocsparse_direction_NS_24const_host_device_scalarIT1_EES3_PKS3_PKT2_SC_S9_PKT4_PKT5_S7_PT6_21rocsparse_index_base_b.numbered_sgpr, 14
	.set _ZN9rocsparseL18bsrxmvn_3x3_kernelILj256ELj32E21rocsparse_complex_numIdEiidS2_S2_EEvT3_20rocsparse_direction_NS_24const_host_device_scalarIT1_EES3_PKS3_PKT2_SC_S9_PKT4_PKT5_S7_PT6_21rocsparse_index_base_b.num_named_barrier, 0
	.set _ZN9rocsparseL18bsrxmvn_3x3_kernelILj256ELj32E21rocsparse_complex_numIdEiidS2_S2_EEvT3_20rocsparse_direction_NS_24const_host_device_scalarIT1_EES3_PKS3_PKT2_SC_S9_PKT4_PKT5_S7_PT6_21rocsparse_index_base_b.private_seg_size, 0
	.set _ZN9rocsparseL18bsrxmvn_3x3_kernelILj256ELj32E21rocsparse_complex_numIdEiidS2_S2_EEvT3_20rocsparse_direction_NS_24const_host_device_scalarIT1_EES3_PKS3_PKT2_SC_S9_PKT4_PKT5_S7_PT6_21rocsparse_index_base_b.uses_vcc, 1
	.set _ZN9rocsparseL18bsrxmvn_3x3_kernelILj256ELj32E21rocsparse_complex_numIdEiidS2_S2_EEvT3_20rocsparse_direction_NS_24const_host_device_scalarIT1_EES3_PKS3_PKT2_SC_S9_PKT4_PKT5_S7_PT6_21rocsparse_index_base_b.uses_flat_scratch, 0
	.set _ZN9rocsparseL18bsrxmvn_3x3_kernelILj256ELj32E21rocsparse_complex_numIdEiidS2_S2_EEvT3_20rocsparse_direction_NS_24const_host_device_scalarIT1_EES3_PKS3_PKT2_SC_S9_PKT4_PKT5_S7_PT6_21rocsparse_index_base_b.has_dyn_sized_stack, 0
	.set _ZN9rocsparseL18bsrxmvn_3x3_kernelILj256ELj32E21rocsparse_complex_numIdEiidS2_S2_EEvT3_20rocsparse_direction_NS_24const_host_device_scalarIT1_EES3_PKS3_PKT2_SC_S9_PKT4_PKT5_S7_PT6_21rocsparse_index_base_b.has_recursion, 0
	.set _ZN9rocsparseL18bsrxmvn_3x3_kernelILj256ELj32E21rocsparse_complex_numIdEiidS2_S2_EEvT3_20rocsparse_direction_NS_24const_host_device_scalarIT1_EES3_PKS3_PKT2_SC_S9_PKT4_PKT5_S7_PT6_21rocsparse_index_base_b.has_indirect_call, 0
	.section	.AMDGPU.csdata,"",@progbits
; Kernel info:
; codeLenInByte = 3388
; TotalNumSgprs: 16
; NumVgprs: 61
; ScratchSize: 0
; MemoryBound: 0
; FloatMode: 240
; IeeeMode: 1
; LDSByteSize: 0 bytes/workgroup (compile time only)
; SGPRBlocks: 0
; VGPRBlocks: 7
; NumSGPRsForWavesPerEU: 16
; NumVGPRsForWavesPerEU: 61
; Occupancy: 16
; WaveLimiterHint : 1
; COMPUTE_PGM_RSRC2:SCRATCH_EN: 0
; COMPUTE_PGM_RSRC2:USER_SGPR: 2
; COMPUTE_PGM_RSRC2:TRAP_HANDLER: 0
; COMPUTE_PGM_RSRC2:TGID_X_EN: 1
; COMPUTE_PGM_RSRC2:TGID_Y_EN: 0
; COMPUTE_PGM_RSRC2:TGID_Z_EN: 0
; COMPUTE_PGM_RSRC2:TIDIG_COMP_CNT: 0
	.section	.text._ZN9rocsparseL18bsrxmvn_3x3_kernelILj256ELj64E21rocsparse_complex_numIdEiidS2_S2_EEvT3_20rocsparse_direction_NS_24const_host_device_scalarIT1_EES3_PKS3_PKT2_SC_S9_PKT4_PKT5_S7_PT6_21rocsparse_index_base_b,"axG",@progbits,_ZN9rocsparseL18bsrxmvn_3x3_kernelILj256ELj64E21rocsparse_complex_numIdEiidS2_S2_EEvT3_20rocsparse_direction_NS_24const_host_device_scalarIT1_EES3_PKS3_PKT2_SC_S9_PKT4_PKT5_S7_PT6_21rocsparse_index_base_b,comdat
	.globl	_ZN9rocsparseL18bsrxmvn_3x3_kernelILj256ELj64E21rocsparse_complex_numIdEiidS2_S2_EEvT3_20rocsparse_direction_NS_24const_host_device_scalarIT1_EES3_PKS3_PKT2_SC_S9_PKT4_PKT5_S7_PT6_21rocsparse_index_base_b ; -- Begin function _ZN9rocsparseL18bsrxmvn_3x3_kernelILj256ELj64E21rocsparse_complex_numIdEiidS2_S2_EEvT3_20rocsparse_direction_NS_24const_host_device_scalarIT1_EES3_PKS3_PKT2_SC_S9_PKT4_PKT5_S7_PT6_21rocsparse_index_base_b
	.p2align	8
	.type	_ZN9rocsparseL18bsrxmvn_3x3_kernelILj256ELj64E21rocsparse_complex_numIdEiidS2_S2_EEvT3_20rocsparse_direction_NS_24const_host_device_scalarIT1_EES3_PKS3_PKT2_SC_S9_PKT4_PKT5_S7_PT6_21rocsparse_index_base_b,@function
_ZN9rocsparseL18bsrxmvn_3x3_kernelILj256ELj64E21rocsparse_complex_numIdEiidS2_S2_EEvT3_20rocsparse_direction_NS_24const_host_device_scalarIT1_EES3_PKS3_PKT2_SC_S9_PKT4_PKT5_S7_PT6_21rocsparse_index_base_b: ; @_ZN9rocsparseL18bsrxmvn_3x3_kernelILj256ELj64E21rocsparse_complex_numIdEiidS2_S2_EEvT3_20rocsparse_direction_NS_24const_host_device_scalarIT1_EES3_PKS3_PKT2_SC_S9_PKT4_PKT5_S7_PT6_21rocsparse_index_base_b
; %bb.0:
	s_clause 0x1
	s_load_b64 s[12:13], s[0:1], 0x68
	s_load_b64 s[2:3], s[0:1], 0x8
	s_add_nc_u64 s[4:5], s[0:1], 8
	s_load_b64 s[6:7], s[0:1], 0x50
	s_wait_kmcnt 0x0
	s_bitcmp1_b32 s13, 0
	s_cselect_b32 s2, s4, s2
	s_cselect_b32 s3, s5, s3
	s_delay_alu instid0(SALU_CYCLE_1)
	v_dual_mov_b32 v1, s2 :: v_dual_mov_b32 v2, s3
	s_add_nc_u64 s[2:3], s[0:1], 0x50
	s_wait_alu 0xfffe
	s_cselect_b32 s2, s2, s6
	s_cselect_b32 s3, s3, s7
	flat_load_b128 v[5:8], v[1:2]
	s_wait_alu 0xfffe
	v_dual_mov_b32 v1, s2 :: v_dual_mov_b32 v2, s3
	flat_load_b128 v[1:4], v[1:2]
	s_wait_loadcnt_dscnt 0x101
	v_cmp_eq_f64_e32 vcc_lo, 0, v[5:6]
	v_cmp_eq_f64_e64 s2, 0, v[7:8]
	s_and_b32 s4, vcc_lo, s2
	s_mov_b32 s2, -1
	s_and_saveexec_b32 s3, s4
	s_cbranch_execz .LBB139_2
; %bb.1:
	s_wait_loadcnt_dscnt 0x0
	v_cmp_neq_f64_e32 vcc_lo, 1.0, v[1:2]
	v_cmp_neq_f64_e64 s2, 0, v[3:4]
	s_wait_alu 0xfffe
	s_or_b32 s2, vcc_lo, s2
	s_wait_alu 0xfffe
	s_or_not1_b32 s2, s2, exec_lo
.LBB139_2:
	s_wait_alu 0xfffe
	s_or_b32 exec_lo, exec_lo, s3
	s_and_saveexec_b32 s3, s2
	s_cbranch_execz .LBB139_8
; %bb.3:
	s_clause 0x1
	s_load_b64 s[4:5], s[0:1], 0x20
	s_load_b64 s[2:3], s[0:1], 0x0
	v_lshrrev_b32_e32 v9, 6, v0
	s_delay_alu instid0(VALU_DEP_1)
	v_lshl_or_b32 v17, ttmp9, 2, v9
	s_wait_kmcnt 0x0
	s_cmp_lg_u64 s[4:5], 0
	s_cbranch_scc0 .LBB139_9
; %bb.4:
	s_load_b32 s6, s[0:1], 0x18
	s_mov_b32 s7, 0
                                        ; implicit-def: $vgpr9
	s_wait_kmcnt 0x0
	v_cmp_gt_i32_e32 vcc_lo, s6, v17
	s_mov_b32 s6, 0
	s_and_saveexec_b32 s8, vcc_lo
	s_delay_alu instid0(SALU_CYCLE_1)
	s_xor_b32 s8, exec_lo, s8
	s_cbranch_execz .LBB139_6
; %bb.5:
	v_ashrrev_i32_e32 v18, 31, v17
	s_mov_b32 s6, exec_lo
	s_delay_alu instid0(VALU_DEP_1) | instskip(NEXT) | instid1(VALU_DEP_1)
	v_lshlrev_b64_e32 v[9:10], 2, v[17:18]
	v_add_co_u32 v9, vcc_lo, s4, v9
	s_delay_alu instid0(VALU_DEP_1)
	v_add_co_ci_u32_e64 v10, null, s5, v10, vcc_lo
	global_load_b32 v9, v[9:10], off
	s_wait_loadcnt 0x0
	v_subrev_nc_u32_e32 v9, s12, v9
.LBB139_6:
	s_or_b32 exec_lo, exec_lo, s8
	s_delay_alu instid0(SALU_CYCLE_1)
	s_and_b32 vcc_lo, exec_lo, s7
	s_wait_alu 0xfffe
	s_cbranch_vccz .LBB139_10
.LBB139_7:
	v_cmp_gt_i32_e32 vcc_lo, s2, v17
	s_and_not1_b32 s2, s6, exec_lo
	s_and_b32 s4, vcc_lo, exec_lo
	s_wait_alu 0xfffe
	s_or_b32 s6, s2, s4
	s_wait_alu 0xfffe
	s_and_b32 exec_lo, exec_lo, s6
	s_cbranch_execnz .LBB139_11
.LBB139_8:
	s_endpgm
.LBB139_9:
	s_mov_b32 s6, 0
                                        ; implicit-def: $vgpr9
	s_cbranch_execnz .LBB139_7
.LBB139_10:
	v_mov_b32_e32 v17, v9
	s_and_b32 exec_lo, exec_lo, s6
	s_cbranch_execz .LBB139_8
.LBB139_11:
	s_load_b256 s[4:11], s[0:1], 0x28
	s_delay_alu instid0(VALU_DEP_1) | instskip(SKIP_1) | instid1(VALU_DEP_2)
	v_ashrrev_i32_e32 v18, 31, v17
	v_and_b32_e32 v0, 63, v0
	v_lshlrev_b64_e32 v[9:10], 2, v[17:18]
	s_wait_kmcnt 0x0
	s_delay_alu instid0(VALU_DEP_1) | instskip(SKIP_1) | instid1(VALU_DEP_2)
	v_add_co_u32 v11, vcc_lo, s4, v9
	s_wait_alu 0xfffd
	v_add_co_ci_u32_e64 v12, null, s5, v10, vcc_lo
	v_add_co_u32 v9, vcc_lo, s6, v9
	s_wait_alu 0xfffd
	v_add_co_ci_u32_e64 v10, null, s7, v10, vcc_lo
	;; [unrolled: 3-line block ×3, first 2 shown]
	s_cmp_eq_u64 s[6:7], 0
	global_load_b32 v11, v[11:12], off
	s_cselect_b32 vcc_lo, -1, 0
	s_load_b64 s[4:5], s[0:1], 0x48
	v_dual_cndmask_b32 v10, v10, v14 :: v_dual_cndmask_b32 v9, v9, v13
	s_cmp_eq_u32 s3, 1
	global_load_b32 v9, v[9:10], off
	s_wait_loadcnt 0x1
	v_subrev_nc_u32_e32 v10, s12, v11
	s_delay_alu instid0(VALU_DEP_1) | instskip(SKIP_2) | instid1(VALU_DEP_2)
	v_add_nc_u32_e32 v22, v10, v0
	s_wait_loadcnt 0x0
	v_subrev_nc_u32_e32 v30, s12, v9
	v_mad_co_i64_i32 v[24:25], null, 0x48, v22, s[10:11]
	s_delay_alu instid0(VALU_DEP_2)
	v_cmp_lt_i32_e64 s2, v22, v30
	s_cbranch_scc1 .LBB139_17
; %bb.12:
	v_mov_b32_e32 v9, 0
	v_dual_mov_b32 v13, 0 :: v_dual_mov_b32 v18, 0
	v_dual_mov_b32 v10, 0 :: v_dual_mov_b32 v11, 0
	;; [unrolled: 1-line block ×4, first 2 shown]
	v_mov_b32_e32 v12, 0
	v_dual_mov_b32 v16, 0 :: v_dual_mov_b32 v21, 0
	s_and_saveexec_b32 s6, s2
	s_cbranch_execz .LBB139_16
; %bb.13:
	v_dual_mov_b32 v9, 0 :: v_dual_mov_b32 v26, v22
	v_dual_mov_b32 v10, 0 :: v_dual_mov_b32 v11, 0
	;; [unrolled: 1-line block ×4, first 2 shown]
	v_mov_b32_e32 v18, 0
	v_dual_mov_b32 v20, 0 :: v_dual_mov_b32 v29, v25
	v_dual_mov_b32 v16, 0 :: v_dual_mov_b32 v19, 0
	;; [unrolled: 1-line block ×3, first 2 shown]
	s_mov_b32 s7, 0
.LBB139_14:                             ; =>This Inner Loop Header: Depth=1
	v_ashrrev_i32_e32 v27, 31, v26
	s_delay_alu instid0(VALU_DEP_1) | instskip(SKIP_1) | instid1(VALU_DEP_2)
	v_lshlrev_b64_e32 v[31:32], 2, v[26:27]
	v_add_nc_u32_e32 v26, 64, v26
	v_add_co_u32 v31, vcc_lo, s8, v31
	s_wait_alu 0xfffd
	s_delay_alu instid0(VALU_DEP_3)
	v_add_co_ci_u32_e64 v32, null, s9, v32, vcc_lo
	global_load_b32 v23, v[31:32], off
	s_clause 0x2
	global_load_b128 v[31:34], v[28:29], off offset:48
	global_load_b128 v[35:38], v[28:29], off offset:16
	global_load_b128 v[39:42], v[28:29], off
	s_wait_loadcnt 0x3
	v_subrev_nc_u32_e32 v23, s12, v23
	s_delay_alu instid0(VALU_DEP_1) | instskip(NEXT) | instid1(VALU_DEP_1)
	v_lshl_add_u32 v43, v23, 1, v23
	v_ashrrev_i32_e32 v44, 31, v43
	s_delay_alu instid0(VALU_DEP_1) | instskip(SKIP_1) | instid1(VALU_DEP_1)
	v_lshlrev_b64_e32 v[43:44], 4, v[43:44]
	s_wait_kmcnt 0x0
	v_add_co_u32 v55, vcc_lo, s4, v43
	s_wait_alu 0xfffd
	s_delay_alu instid0(VALU_DEP_2)
	v_add_co_ci_u32_e64 v56, null, s5, v44, vcc_lo
	v_cmp_ge_i32_e32 vcc_lo, v26, v30
	s_clause 0x1
	global_load_b128 v[43:46], v[55:56], off
	global_load_b128 v[47:50], v[55:56], off offset:16
	s_clause 0x1
	global_load_b128 v[51:54], v[28:29], off offset:32
	global_load_b64 v[59:60], v[28:29], off offset:64
	global_load_b128 v[55:58], v[55:56], off offset:32
	v_add_co_u32 v28, s3, 0x1200, v28
	s_wait_alu 0xf1ff
	v_add_co_ci_u32_e64 v29, null, 0, v29, s3
	s_wait_alu 0xfffe
	s_or_b32 s7, vcc_lo, s7
	s_wait_loadcnt 0x4
	v_fma_f64 v[11:12], v[39:40], v[43:44], v[11:12]
	v_fma_f64 v[9:10], v[43:44], 0, v[9:10]
	v_fma_f64 v[15:16], v[37:38], v[43:44], v[15:16]
	v_fma_f64 v[13:14], v[43:44], 0, v[13:14]
	v_fma_f64 v[20:21], v[31:32], v[43:44], v[20:21]
	v_fma_f64 v[18:19], v[43:44], 0, v[18:19]
	v_fma_f64 v[11:12], 0x80000000, v[45:46], v[11:12]
	v_fma_f64 v[9:10], v[39:40], v[45:46], v[9:10]
	v_fma_f64 v[15:16], 0x80000000, v[45:46], v[15:16]
	v_fma_f64 v[13:14], v[37:38], v[45:46], v[13:14]
	v_fma_f64 v[20:21], 0x80000000, v[45:46], v[20:21]
	v_fma_f64 v[18:19], v[31:32], v[45:46], v[18:19]
	s_wait_loadcnt 0x3
	v_fma_f64 v[11:12], v[41:42], v[47:48], v[11:12]
	v_fma_f64 v[9:10], v[47:48], 0, v[9:10]
	s_wait_loadcnt 0x2
	v_fma_f64 v[15:16], v[51:52], v[47:48], v[15:16]
	v_fma_f64 v[13:14], v[47:48], 0, v[13:14]
	;; [unrolled: 1-line block ×10, first 2 shown]
	s_wait_loadcnt 0x0
	v_fma_f64 v[11:12], v[35:36], v[55:56], v[11:12]
	v_fma_f64 v[9:10], v[55:56], 0, v[9:10]
	;; [unrolled: 1-line block ×12, first 2 shown]
	s_wait_alu 0xfffe
	s_and_not1_b32 exec_lo, exec_lo, s7
	s_cbranch_execnz .LBB139_14
; %bb.15:
	s_or_b32 exec_lo, exec_lo, s7
.LBB139_16:
	s_wait_alu 0xfffe
	s_or_b32 exec_lo, exec_lo, s6
	s_cbranch_execz .LBB139_18
	s_branch .LBB139_23
.LBB139_17:
                                        ; implicit-def: $vgpr9_vgpr10
                                        ; implicit-def: $vgpr11_vgpr12
                                        ; implicit-def: $vgpr13_vgpr14
                                        ; implicit-def: $vgpr15_vgpr16
                                        ; implicit-def: $vgpr18_vgpr19
                                        ; implicit-def: $vgpr20_vgpr21
.LBB139_18:
	v_mov_b32_e32 v9, 0
	v_dual_mov_b32 v13, 0 :: v_dual_mov_b32 v18, 0
	v_dual_mov_b32 v10, 0 :: v_dual_mov_b32 v11, 0
	;; [unrolled: 1-line block ×4, first 2 shown]
	v_mov_b32_e32 v12, 0
	v_dual_mov_b32 v16, 0 :: v_dual_mov_b32 v21, 0
	s_and_saveexec_b32 s3, s2
	s_cbranch_execz .LBB139_22
; %bb.19:
	v_mov_b32_e32 v9, 0
	v_dual_mov_b32 v13, 0 :: v_dual_mov_b32 v18, 0
	v_dual_mov_b32 v10, 0 :: v_dual_mov_b32 v11, 0
	;; [unrolled: 1-line block ×4, first 2 shown]
	v_mov_b32_e32 v12, 0
	v_dual_mov_b32 v16, 0 :: v_dual_mov_b32 v21, 0
	s_mov_b32 s6, 0
.LBB139_20:                             ; =>This Inner Loop Header: Depth=1
	v_ashrrev_i32_e32 v23, 31, v22
	s_delay_alu instid0(VALU_DEP_1) | instskip(SKIP_1) | instid1(VALU_DEP_2)
	v_lshlrev_b64_e32 v[26:27], 2, v[22:23]
	v_add_nc_u32_e32 v22, 64, v22
	v_add_co_u32 v26, vcc_lo, s8, v26
	s_wait_alu 0xfffd
	s_delay_alu instid0(VALU_DEP_3)
	v_add_co_ci_u32_e64 v27, null, s9, v27, vcc_lo
	global_load_b32 v23, v[26:27], off
	s_clause 0x1
	global_load_b128 v[26:29], v[24:25], off offset:16
	global_load_b128 v[31:34], v[24:25], off
	s_wait_loadcnt 0x2
	v_subrev_nc_u32_e32 v23, s12, v23
	s_delay_alu instid0(VALU_DEP_1) | instskip(NEXT) | instid1(VALU_DEP_1)
	v_lshl_add_u32 v35, v23, 1, v23
	v_ashrrev_i32_e32 v36, 31, v35
	s_delay_alu instid0(VALU_DEP_1) | instskip(SKIP_1) | instid1(VALU_DEP_1)
	v_lshlrev_b64_e32 v[35:36], 4, v[35:36]
	s_wait_kmcnt 0x0
	v_add_co_u32 v51, vcc_lo, s4, v35
	s_wait_alu 0xfffd
	s_delay_alu instid0(VALU_DEP_2)
	v_add_co_ci_u32_e64 v52, null, s5, v36, vcc_lo
	v_cmp_ge_i32_e32 vcc_lo, v22, v30
	s_clause 0x1
	global_load_b128 v[35:38], v[51:52], off
	global_load_b128 v[39:42], v[51:52], off offset:16
	s_clause 0x2
	global_load_b128 v[43:46], v[24:25], off offset:32
	global_load_b128 v[47:50], v[24:25], off offset:48
	global_load_b64 v[55:56], v[24:25], off offset:64
	global_load_b128 v[51:54], v[51:52], off offset:32
	v_add_co_u32 v24, s2, 0x1200, v24
	s_wait_alu 0xf1ff
	v_add_co_ci_u32_e64 v25, null, 0, v25, s2
	s_wait_alu 0xfffe
	s_or_b32 s6, vcc_lo, s6
	s_wait_loadcnt 0x5
	v_fma_f64 v[11:12], v[31:32], v[35:36], v[11:12]
	v_fma_f64 v[9:10], v[35:36], 0, v[9:10]
	v_fma_f64 v[15:16], v[33:34], v[35:36], v[15:16]
	v_fma_f64 v[13:14], v[35:36], 0, v[13:14]
	v_fma_f64 v[20:21], v[26:27], v[35:36], v[20:21]
	v_fma_f64 v[18:19], v[35:36], 0, v[18:19]
	v_fma_f64 v[11:12], 0x80000000, v[37:38], v[11:12]
	v_fma_f64 v[9:10], v[31:32], v[37:38], v[9:10]
	v_fma_f64 v[15:16], 0x80000000, v[37:38], v[15:16]
	v_fma_f64 v[13:14], v[33:34], v[37:38], v[13:14]
	v_fma_f64 v[20:21], 0x80000000, v[37:38], v[20:21]
	v_fma_f64 v[18:19], v[26:27], v[37:38], v[18:19]
	s_wait_loadcnt 0x4
	v_fma_f64 v[11:12], v[28:29], v[39:40], v[11:12]
	v_fma_f64 v[9:10], v[39:40], 0, v[9:10]
	s_wait_loadcnt 0x3
	v_fma_f64 v[15:16], v[43:44], v[39:40], v[15:16]
	v_fma_f64 v[13:14], v[39:40], 0, v[13:14]
	;; [unrolled: 1-line block ×10, first 2 shown]
	s_wait_loadcnt 0x0
	v_fma_f64 v[11:12], v[47:48], v[51:52], v[11:12]
	v_fma_f64 v[9:10], v[51:52], 0, v[9:10]
	v_fma_f64 v[15:16], v[49:50], v[51:52], v[15:16]
	v_fma_f64 v[13:14], v[51:52], 0, v[13:14]
	v_fma_f64 v[20:21], v[55:56], v[51:52], v[20:21]
	v_fma_f64 v[18:19], v[51:52], 0, v[18:19]
	v_fma_f64 v[11:12], 0x80000000, v[53:54], v[11:12]
	v_fma_f64 v[9:10], v[47:48], v[53:54], v[9:10]
	v_fma_f64 v[15:16], 0x80000000, v[53:54], v[15:16]
	v_fma_f64 v[13:14], v[49:50], v[53:54], v[13:14]
	v_fma_f64 v[20:21], 0x80000000, v[53:54], v[20:21]
	v_fma_f64 v[18:19], v[55:56], v[53:54], v[18:19]
	s_wait_alu 0xfffe
	s_and_not1_b32 exec_lo, exec_lo, s6
	s_cbranch_execnz .LBB139_20
; %bb.21:
	s_or_b32 exec_lo, exec_lo, s6
.LBB139_22:
	s_wait_alu 0xfffe
	s_or_b32 exec_lo, exec_lo, s3
.LBB139_23:
	v_mbcnt_lo_u32_b32 v34, -1, 0
	s_delay_alu instid0(VALU_DEP_1) | instskip(NEXT) | instid1(VALU_DEP_1)
	v_or_b32_e32 v22, 32, v34
	v_cmp_gt_i32_e32 vcc_lo, 32, v22
	s_wait_alu 0xfffd
	v_cndmask_b32_e32 v22, v34, v22, vcc_lo
	s_delay_alu instid0(VALU_DEP_1)
	v_lshlrev_b32_e32 v33, 2, v22
	ds_bpermute_b32 v22, v33, v11
	ds_bpermute_b32 v23, v33, v12
	ds_bpermute_b32 v24, v33, v9
	ds_bpermute_b32 v25, v33, v10
	ds_bpermute_b32 v26, v33, v15
	ds_bpermute_b32 v27, v33, v16
	ds_bpermute_b32 v28, v33, v13
	ds_bpermute_b32 v29, v33, v14
	ds_bpermute_b32 v30, v33, v20
	ds_bpermute_b32 v31, v33, v21
	ds_bpermute_b32 v32, v33, v18
	ds_bpermute_b32 v33, v33, v19
	s_wait_dscnt 0xa
	v_add_f64_e32 v[11:12], v[11:12], v[22:23]
	v_xor_b32_e32 v22, 16, v34
	s_wait_dscnt 0x8
	v_add_f64_e32 v[9:10], v[9:10], v[24:25]
	s_wait_dscnt 0x6
	v_add_f64_e32 v[15:16], v[15:16], v[26:27]
	s_wait_dscnt 0x4
	v_add_f64_e32 v[13:14], v[13:14], v[28:29]
	v_cmp_gt_i32_e32 vcc_lo, 32, v22
	s_wait_dscnt 0x2
	v_add_f64_e32 v[20:21], v[20:21], v[30:31]
	s_wait_dscnt 0x0
	v_add_f64_e32 v[18:19], v[18:19], v[32:33]
	s_wait_alu 0xfffd
	v_cndmask_b32_e32 v22, v34, v22, vcc_lo
	s_delay_alu instid0(VALU_DEP_1)
	v_lshlrev_b32_e32 v33, 2, v22
	ds_bpermute_b32 v22, v33, v11
	ds_bpermute_b32 v23, v33, v12
	ds_bpermute_b32 v24, v33, v9
	ds_bpermute_b32 v25, v33, v10
	ds_bpermute_b32 v26, v33, v15
	ds_bpermute_b32 v27, v33, v16
	ds_bpermute_b32 v28, v33, v13
	ds_bpermute_b32 v29, v33, v14
	ds_bpermute_b32 v30, v33, v20
	ds_bpermute_b32 v31, v33, v21
	ds_bpermute_b32 v32, v33, v18
	ds_bpermute_b32 v33, v33, v19
	s_wait_dscnt 0xa
	v_add_f64_e32 v[11:12], v[11:12], v[22:23]
	v_xor_b32_e32 v22, 8, v34
	s_wait_dscnt 0x8
	v_add_f64_e32 v[9:10], v[9:10], v[24:25]
	s_wait_dscnt 0x6
	v_add_f64_e32 v[15:16], v[15:16], v[26:27]
	s_wait_dscnt 0x4
	v_add_f64_e32 v[13:14], v[13:14], v[28:29]
	v_cmp_gt_i32_e32 vcc_lo, 32, v22
	s_wait_dscnt 0x2
	v_add_f64_e32 v[20:21], v[20:21], v[30:31]
	s_wait_dscnt 0x0
	v_add_f64_e32 v[18:19], v[18:19], v[32:33]
	;; [unrolled: 30-line block ×3, first 2 shown]
	s_wait_alu 0xfffd
	v_cndmask_b32_e32 v22, v34, v22, vcc_lo
	s_delay_alu instid0(VALU_DEP_1)
	v_lshlrev_b32_e32 v33, 2, v22
	ds_bpermute_b32 v22, v33, v11
	ds_bpermute_b32 v23, v33, v12
	;; [unrolled: 1-line block ×12, first 2 shown]
	s_wait_dscnt 0xa
	v_add_f64_e32 v[11:12], v[11:12], v[22:23]
	s_wait_dscnt 0x8
	v_add_f64_e32 v[22:23], v[9:10], v[24:25]
	v_xor_b32_e32 v9, 2, v34
	s_wait_dscnt 0x6
	v_add_f64_e32 v[15:16], v[15:16], v[26:27]
	s_wait_dscnt 0x4
	v_add_f64_e32 v[13:14], v[13:14], v[28:29]
	;; [unrolled: 2-line block ×3, first 2 shown]
	v_cmp_gt_i32_e32 vcc_lo, 32, v9
	s_wait_dscnt 0x0
	v_add_f64_e32 v[24:25], v[18:19], v[32:33]
	s_wait_alu 0xfffd
	v_cndmask_b32_e32 v9, v34, v9, vcc_lo
	s_delay_alu instid0(VALU_DEP_1)
	v_lshlrev_b32_e32 v33, 2, v9
	ds_bpermute_b32 v9, v33, v11
	ds_bpermute_b32 v10, v33, v12
	;; [unrolled: 1-line block ×12, first 2 shown]
	s_wait_dscnt 0xa
	v_add_f64_e32 v[9:10], v[11:12], v[9:10]
	s_wait_dscnt 0x8
	v_add_f64_e32 v[22:23], v[22:23], v[18:19]
	;; [unrolled: 2-line block ×5, first 2 shown]
	v_xor_b32_e32 v20, 1, v34
	s_wait_dscnt 0x0
	v_add_f64_e32 v[15:16], v[24:25], v[32:33]
	s_delay_alu instid0(VALU_DEP_2) | instskip(SKIP_3) | instid1(VALU_DEP_2)
	v_cmp_gt_i32_e32 vcc_lo, 32, v20
	s_wait_alu 0xfffd
	v_cndmask_b32_e32 v20, v34, v20, vcc_lo
	v_cmp_eq_u32_e32 vcc_lo, 63, v0
	v_lshlrev_b32_e32 v29, 2, v20
	ds_bpermute_b32 v20, v29, v9
	ds_bpermute_b32 v21, v29, v10
	;; [unrolled: 1-line block ×12, first 2 shown]
	s_and_b32 exec_lo, exec_lo, vcc_lo
	s_cbranch_execz .LBB139_8
; %bb.24:
	s_wait_dscnt 0x8
	v_add_f64_e32 v[22:23], v[22:23], v[32:33]
	s_wait_dscnt 0x4
	v_add_f64_e32 v[18:19], v[18:19], v[30:31]
	;; [unrolled: 2-line block ×3, first 2 shown]
	v_add_f64_e32 v[9:10], v[9:10], v[20:21]
	v_add_f64_e32 v[11:12], v[11:12], v[24:25]
	v_add_f64_e32 v[20:21], v[13:14], v[26:27]
	v_cmp_eq_f64_e32 vcc_lo, 0, v[1:2]
	v_cmp_eq_f64_e64 s2, 0, v[3:4]
	s_load_b64 s[0:1], s[0:1], 0x60
	v_lshl_add_u32 v17, v17, 1, v17
	v_mul_f64_e64 v[13:14], v[22:23], -v[7:8]
	v_mul_f64_e32 v[22:23], v[5:6], v[22:23]
	v_mul_f64_e64 v[24:25], v[18:19], -v[7:8]
	v_mul_f64_e32 v[18:19], v[5:6], v[18:19]
	v_mul_f64_e64 v[26:27], v[15:16], -v[7:8]
	v_mul_f64_e32 v[28:29], v[5:6], v[15:16]
	s_and_b32 s2, vcc_lo, s2
	v_fma_f64 v[13:14], v[5:6], v[9:10], v[13:14]
	v_fma_f64 v[15:16], v[7:8], v[9:10], v[22:23]
	;; [unrolled: 1-line block ×6, first 2 shown]
	v_ashrrev_i32_e32 v18, 31, v17
	s_wait_alu 0xfffe
	s_and_saveexec_b32 s3, s2
	s_wait_alu 0xfffe
	s_xor_b32 s2, exec_lo, s3
	s_cbranch_execz .LBB139_26
; %bb.25:
	v_lshlrev_b64_e32 v[0:1], 4, v[17:18]
                                        ; implicit-def: $vgpr17
	s_wait_kmcnt 0x0
	s_delay_alu instid0(VALU_DEP_1) | instskip(SKIP_1) | instid1(VALU_DEP_2)
	v_add_co_u32 v0, vcc_lo, s0, v0
	s_wait_alu 0xfffd
	v_add_co_ci_u32_e64 v1, null, s1, v1, vcc_lo
	s_clause 0x2
	global_store_b128 v[0:1], v[13:16], off
	global_store_b128 v[0:1], v[9:12], off offset:16
	global_store_b128 v[0:1], v[5:8], off offset:32
                                        ; implicit-def: $vgpr3_vgpr4
                                        ; implicit-def: $vgpr13_vgpr14
                                        ; implicit-def: $vgpr9_vgpr10
                                        ; implicit-def: $vgpr5_vgpr6
.LBB139_26:
	s_wait_alu 0xfffe
	s_and_not1_saveexec_b32 s2, s2
	s_cbranch_execz .LBB139_8
; %bb.27:
	v_lshlrev_b64_e32 v[17:18], 4, v[17:18]
	s_wait_kmcnt 0x0
	s_delay_alu instid0(VALU_DEP_1) | instskip(SKIP_1) | instid1(VALU_DEP_2)
	v_add_co_u32 v29, vcc_lo, s0, v17
	s_wait_alu 0xfffd
	v_add_co_ci_u32_e64 v30, null, s1, v18, vcc_lo
	s_clause 0x2
	global_load_b128 v[17:20], v[29:30], off
	global_load_b128 v[21:24], v[29:30], off offset:16
	global_load_b128 v[25:28], v[29:30], off offset:32
	s_wait_loadcnt 0x2
	v_fma_f64 v[13:14], v[1:2], v[17:18], v[13:14]
	v_fma_f64 v[15:16], v[3:4], v[17:18], v[15:16]
	s_wait_loadcnt 0x1
	v_fma_f64 v[9:10], v[1:2], v[21:22], v[9:10]
	v_fma_f64 v[11:12], v[3:4], v[21:22], v[11:12]
	;; [unrolled: 3-line block ×3, first 2 shown]
	v_fma_f64 v[5:6], -v[3:4], v[19:20], v[13:14]
	v_fma_f64 v[7:8], v[1:2], v[19:20], v[15:16]
	v_fma_f64 v[9:10], -v[3:4], v[23:24], v[9:10]
	v_fma_f64 v[11:12], v[1:2], v[23:24], v[11:12]
	;; [unrolled: 2-line block ×3, first 2 shown]
	s_clause 0x2
	global_store_b128 v[29:30], v[5:8], off
	global_store_b128 v[29:30], v[9:12], off offset:16
	global_store_b128 v[29:30], v[13:16], off offset:32
	s_endpgm
	.section	.rodata,"a",@progbits
	.p2align	6, 0x0
	.amdhsa_kernel _ZN9rocsparseL18bsrxmvn_3x3_kernelILj256ELj64E21rocsparse_complex_numIdEiidS2_S2_EEvT3_20rocsparse_direction_NS_24const_host_device_scalarIT1_EES3_PKS3_PKT2_SC_S9_PKT4_PKT5_S7_PT6_21rocsparse_index_base_b
		.amdhsa_group_segment_fixed_size 0
		.amdhsa_private_segment_fixed_size 0
		.amdhsa_kernarg_size 112
		.amdhsa_user_sgpr_count 2
		.amdhsa_user_sgpr_dispatch_ptr 0
		.amdhsa_user_sgpr_queue_ptr 0
		.amdhsa_user_sgpr_kernarg_segment_ptr 1
		.amdhsa_user_sgpr_dispatch_id 0
		.amdhsa_user_sgpr_private_segment_size 0
		.amdhsa_wavefront_size32 1
		.amdhsa_uses_dynamic_stack 0
		.amdhsa_enable_private_segment 0
		.amdhsa_system_sgpr_workgroup_id_x 1
		.amdhsa_system_sgpr_workgroup_id_y 0
		.amdhsa_system_sgpr_workgroup_id_z 0
		.amdhsa_system_sgpr_workgroup_info 0
		.amdhsa_system_vgpr_workitem_id 0
		.amdhsa_next_free_vgpr 61
		.amdhsa_next_free_sgpr 14
		.amdhsa_reserve_vcc 1
		.amdhsa_float_round_mode_32 0
		.amdhsa_float_round_mode_16_64 0
		.amdhsa_float_denorm_mode_32 3
		.amdhsa_float_denorm_mode_16_64 3
		.amdhsa_fp16_overflow 0
		.amdhsa_workgroup_processor_mode 1
		.amdhsa_memory_ordered 1
		.amdhsa_forward_progress 1
		.amdhsa_inst_pref_size 28
		.amdhsa_round_robin_scheduling 0
		.amdhsa_exception_fp_ieee_invalid_op 0
		.amdhsa_exception_fp_denorm_src 0
		.amdhsa_exception_fp_ieee_div_zero 0
		.amdhsa_exception_fp_ieee_overflow 0
		.amdhsa_exception_fp_ieee_underflow 0
		.amdhsa_exception_fp_ieee_inexact 0
		.amdhsa_exception_int_div_zero 0
	.end_amdhsa_kernel
	.section	.text._ZN9rocsparseL18bsrxmvn_3x3_kernelILj256ELj64E21rocsparse_complex_numIdEiidS2_S2_EEvT3_20rocsparse_direction_NS_24const_host_device_scalarIT1_EES3_PKS3_PKT2_SC_S9_PKT4_PKT5_S7_PT6_21rocsparse_index_base_b,"axG",@progbits,_ZN9rocsparseL18bsrxmvn_3x3_kernelILj256ELj64E21rocsparse_complex_numIdEiidS2_S2_EEvT3_20rocsparse_direction_NS_24const_host_device_scalarIT1_EES3_PKS3_PKT2_SC_S9_PKT4_PKT5_S7_PT6_21rocsparse_index_base_b,comdat
.Lfunc_end139:
	.size	_ZN9rocsparseL18bsrxmvn_3x3_kernelILj256ELj64E21rocsparse_complex_numIdEiidS2_S2_EEvT3_20rocsparse_direction_NS_24const_host_device_scalarIT1_EES3_PKS3_PKT2_SC_S9_PKT4_PKT5_S7_PT6_21rocsparse_index_base_b, .Lfunc_end139-_ZN9rocsparseL18bsrxmvn_3x3_kernelILj256ELj64E21rocsparse_complex_numIdEiidS2_S2_EEvT3_20rocsparse_direction_NS_24const_host_device_scalarIT1_EES3_PKS3_PKT2_SC_S9_PKT4_PKT5_S7_PT6_21rocsparse_index_base_b
                                        ; -- End function
	.set _ZN9rocsparseL18bsrxmvn_3x3_kernelILj256ELj64E21rocsparse_complex_numIdEiidS2_S2_EEvT3_20rocsparse_direction_NS_24const_host_device_scalarIT1_EES3_PKS3_PKT2_SC_S9_PKT4_PKT5_S7_PT6_21rocsparse_index_base_b.num_vgpr, 61
	.set _ZN9rocsparseL18bsrxmvn_3x3_kernelILj256ELj64E21rocsparse_complex_numIdEiidS2_S2_EEvT3_20rocsparse_direction_NS_24const_host_device_scalarIT1_EES3_PKS3_PKT2_SC_S9_PKT4_PKT5_S7_PT6_21rocsparse_index_base_b.num_agpr, 0
	.set _ZN9rocsparseL18bsrxmvn_3x3_kernelILj256ELj64E21rocsparse_complex_numIdEiidS2_S2_EEvT3_20rocsparse_direction_NS_24const_host_device_scalarIT1_EES3_PKS3_PKT2_SC_S9_PKT4_PKT5_S7_PT6_21rocsparse_index_base_b.numbered_sgpr, 14
	.set _ZN9rocsparseL18bsrxmvn_3x3_kernelILj256ELj64E21rocsparse_complex_numIdEiidS2_S2_EEvT3_20rocsparse_direction_NS_24const_host_device_scalarIT1_EES3_PKS3_PKT2_SC_S9_PKT4_PKT5_S7_PT6_21rocsparse_index_base_b.num_named_barrier, 0
	.set _ZN9rocsparseL18bsrxmvn_3x3_kernelILj256ELj64E21rocsparse_complex_numIdEiidS2_S2_EEvT3_20rocsparse_direction_NS_24const_host_device_scalarIT1_EES3_PKS3_PKT2_SC_S9_PKT4_PKT5_S7_PT6_21rocsparse_index_base_b.private_seg_size, 0
	.set _ZN9rocsparseL18bsrxmvn_3x3_kernelILj256ELj64E21rocsparse_complex_numIdEiidS2_S2_EEvT3_20rocsparse_direction_NS_24const_host_device_scalarIT1_EES3_PKS3_PKT2_SC_S9_PKT4_PKT5_S7_PT6_21rocsparse_index_base_b.uses_vcc, 1
	.set _ZN9rocsparseL18bsrxmvn_3x3_kernelILj256ELj64E21rocsparse_complex_numIdEiidS2_S2_EEvT3_20rocsparse_direction_NS_24const_host_device_scalarIT1_EES3_PKS3_PKT2_SC_S9_PKT4_PKT5_S7_PT6_21rocsparse_index_base_b.uses_flat_scratch, 0
	.set _ZN9rocsparseL18bsrxmvn_3x3_kernelILj256ELj64E21rocsparse_complex_numIdEiidS2_S2_EEvT3_20rocsparse_direction_NS_24const_host_device_scalarIT1_EES3_PKS3_PKT2_SC_S9_PKT4_PKT5_S7_PT6_21rocsparse_index_base_b.has_dyn_sized_stack, 0
	.set _ZN9rocsparseL18bsrxmvn_3x3_kernelILj256ELj64E21rocsparse_complex_numIdEiidS2_S2_EEvT3_20rocsparse_direction_NS_24const_host_device_scalarIT1_EES3_PKS3_PKT2_SC_S9_PKT4_PKT5_S7_PT6_21rocsparse_index_base_b.has_recursion, 0
	.set _ZN9rocsparseL18bsrxmvn_3x3_kernelILj256ELj64E21rocsparse_complex_numIdEiidS2_S2_EEvT3_20rocsparse_direction_NS_24const_host_device_scalarIT1_EES3_PKS3_PKT2_SC_S9_PKT4_PKT5_S7_PT6_21rocsparse_index_base_b.has_indirect_call, 0
	.section	.AMDGPU.csdata,"",@progbits
; Kernel info:
; codeLenInByte = 3556
; TotalNumSgprs: 16
; NumVgprs: 61
; ScratchSize: 0
; MemoryBound: 0
; FloatMode: 240
; IeeeMode: 1
; LDSByteSize: 0 bytes/workgroup (compile time only)
; SGPRBlocks: 0
; VGPRBlocks: 7
; NumSGPRsForWavesPerEU: 16
; NumVGPRsForWavesPerEU: 61
; Occupancy: 16
; WaveLimiterHint : 1
; COMPUTE_PGM_RSRC2:SCRATCH_EN: 0
; COMPUTE_PGM_RSRC2:USER_SGPR: 2
; COMPUTE_PGM_RSRC2:TRAP_HANDLER: 0
; COMPUTE_PGM_RSRC2:TGID_X_EN: 1
; COMPUTE_PGM_RSRC2:TGID_Y_EN: 0
; COMPUTE_PGM_RSRC2:TGID_Z_EN: 0
; COMPUTE_PGM_RSRC2:TIDIG_COMP_CNT: 0
	.section	.text._ZN9rocsparseL18bsrxmvn_3x3_kernelILj256ELj4E21rocsparse_complex_numIdElidS2_S2_EEvT3_20rocsparse_direction_NS_24const_host_device_scalarIT1_EES3_PKS3_PKT2_SC_S9_PKT4_PKT5_S7_PT6_21rocsparse_index_base_b,"axG",@progbits,_ZN9rocsparseL18bsrxmvn_3x3_kernelILj256ELj4E21rocsparse_complex_numIdElidS2_S2_EEvT3_20rocsparse_direction_NS_24const_host_device_scalarIT1_EES3_PKS3_PKT2_SC_S9_PKT4_PKT5_S7_PT6_21rocsparse_index_base_b,comdat
	.globl	_ZN9rocsparseL18bsrxmvn_3x3_kernelILj256ELj4E21rocsparse_complex_numIdElidS2_S2_EEvT3_20rocsparse_direction_NS_24const_host_device_scalarIT1_EES3_PKS3_PKT2_SC_S9_PKT4_PKT5_S7_PT6_21rocsparse_index_base_b ; -- Begin function _ZN9rocsparseL18bsrxmvn_3x3_kernelILj256ELj4E21rocsparse_complex_numIdElidS2_S2_EEvT3_20rocsparse_direction_NS_24const_host_device_scalarIT1_EES3_PKS3_PKT2_SC_S9_PKT4_PKT5_S7_PT6_21rocsparse_index_base_b
	.p2align	8
	.type	_ZN9rocsparseL18bsrxmvn_3x3_kernelILj256ELj4E21rocsparse_complex_numIdElidS2_S2_EEvT3_20rocsparse_direction_NS_24const_host_device_scalarIT1_EES3_PKS3_PKT2_SC_S9_PKT4_PKT5_S7_PT6_21rocsparse_index_base_b,@function
_ZN9rocsparseL18bsrxmvn_3x3_kernelILj256ELj4E21rocsparse_complex_numIdElidS2_S2_EEvT3_20rocsparse_direction_NS_24const_host_device_scalarIT1_EES3_PKS3_PKT2_SC_S9_PKT4_PKT5_S7_PT6_21rocsparse_index_base_b: ; @_ZN9rocsparseL18bsrxmvn_3x3_kernelILj256ELj4E21rocsparse_complex_numIdElidS2_S2_EEvT3_20rocsparse_direction_NS_24const_host_device_scalarIT1_EES3_PKS3_PKT2_SC_S9_PKT4_PKT5_S7_PT6_21rocsparse_index_base_b
; %bb.0:
	s_clause 0x1
	s_load_b64 s[12:13], s[0:1], 0x68
	s_load_b64 s[2:3], s[0:1], 0x8
	s_add_nc_u64 s[4:5], s[0:1], 8
	s_load_b64 s[6:7], s[0:1], 0x50
	s_wait_kmcnt 0x0
	s_bitcmp1_b32 s13, 0
	s_cselect_b32 s2, s4, s2
	s_cselect_b32 s3, s5, s3
	s_delay_alu instid0(SALU_CYCLE_1)
	v_dual_mov_b32 v1, s2 :: v_dual_mov_b32 v2, s3
	s_add_nc_u64 s[2:3], s[0:1], 0x50
	s_wait_alu 0xfffe
	s_cselect_b32 s2, s2, s6
	s_cselect_b32 s3, s3, s7
	flat_load_b128 v[5:8], v[1:2]
	s_wait_alu 0xfffe
	v_dual_mov_b32 v1, s2 :: v_dual_mov_b32 v2, s3
	flat_load_b128 v[1:4], v[1:2]
	s_wait_loadcnt_dscnt 0x101
	v_cmp_eq_f64_e32 vcc_lo, 0, v[5:6]
	v_cmp_eq_f64_e64 s2, 0, v[7:8]
	s_and_b32 s4, vcc_lo, s2
	s_mov_b32 s2, -1
	s_and_saveexec_b32 s3, s4
	s_cbranch_execz .LBB140_2
; %bb.1:
	s_wait_loadcnt_dscnt 0x0
	v_cmp_neq_f64_e32 vcc_lo, 1.0, v[1:2]
	v_cmp_neq_f64_e64 s2, 0, v[3:4]
	s_wait_alu 0xfffe
	s_or_b32 s2, vcc_lo, s2
	s_wait_alu 0xfffe
	s_or_not1_b32 s2, s2, exec_lo
.LBB140_2:
	s_wait_alu 0xfffe
	s_or_b32 exec_lo, exec_lo, s3
	s_and_saveexec_b32 s3, s2
	s_cbranch_execz .LBB140_8
; %bb.3:
	s_clause 0x1
	s_load_b64 s[4:5], s[0:1], 0x20
	s_load_b64 s[2:3], s[0:1], 0x0
	v_lshrrev_b32_e32 v9, 2, v0
	s_delay_alu instid0(VALU_DEP_1)
	v_lshl_or_b32 v17, ttmp9, 6, v9
	s_wait_kmcnt 0x0
	s_cmp_lg_u64 s[4:5], 0
	s_cbranch_scc0 .LBB140_9
; %bb.4:
	s_load_b32 s6, s[0:1], 0x18
	s_mov_b32 s7, 0
                                        ; implicit-def: $vgpr9
	s_wait_kmcnt 0x0
	v_cmp_gt_i32_e32 vcc_lo, s6, v17
	s_mov_b32 s6, 0
	s_and_saveexec_b32 s8, vcc_lo
	s_delay_alu instid0(SALU_CYCLE_1)
	s_xor_b32 s8, exec_lo, s8
	s_cbranch_execz .LBB140_6
; %bb.5:
	v_ashrrev_i32_e32 v18, 31, v17
	s_mov_b32 s6, exec_lo
	s_delay_alu instid0(VALU_DEP_1) | instskip(NEXT) | instid1(VALU_DEP_1)
	v_lshlrev_b64_e32 v[9:10], 2, v[17:18]
	v_add_co_u32 v9, vcc_lo, s4, v9
	s_delay_alu instid0(VALU_DEP_1)
	v_add_co_ci_u32_e64 v10, null, s5, v10, vcc_lo
	global_load_b32 v9, v[9:10], off
	s_wait_loadcnt 0x0
	v_subrev_nc_u32_e32 v9, s12, v9
.LBB140_6:
	s_or_b32 exec_lo, exec_lo, s8
	s_delay_alu instid0(SALU_CYCLE_1)
	s_and_b32 vcc_lo, exec_lo, s7
	s_wait_alu 0xfffe
	s_cbranch_vccz .LBB140_10
.LBB140_7:
	v_cmp_gt_i32_e32 vcc_lo, s2, v17
	s_and_not1_b32 s2, s6, exec_lo
	s_and_b32 s4, vcc_lo, exec_lo
	s_wait_alu 0xfffe
	s_or_b32 s6, s2, s4
	s_wait_alu 0xfffe
	s_and_b32 exec_lo, exec_lo, s6
	s_cbranch_execnz .LBB140_11
.LBB140_8:
	s_endpgm
.LBB140_9:
	s_mov_b32 s6, 0
                                        ; implicit-def: $vgpr9
	s_cbranch_execnz .LBB140_7
.LBB140_10:
	v_mov_b32_e32 v17, v9
	s_and_b32 exec_lo, exec_lo, s6
	s_cbranch_execz .LBB140_8
.LBB140_11:
	s_load_b256 s[4:11], s[0:1], 0x28
	s_delay_alu instid0(VALU_DEP_1) | instskip(SKIP_1) | instid1(VALU_DEP_2)
	v_ashrrev_i32_e32 v18, 31, v17
	v_and_b32_e32 v0, 3, v0
	v_lshlrev_b64_e32 v[9:10], 3, v[17:18]
	s_wait_kmcnt 0x0
	s_delay_alu instid0(VALU_DEP_1) | instskip(SKIP_1) | instid1(VALU_DEP_2)
	v_add_co_u32 v11, vcc_lo, s4, v9
	s_wait_alu 0xfffd
	v_add_co_ci_u32_e64 v12, null, s5, v10, vcc_lo
	v_add_co_u32 v9, vcc_lo, s6, v9
	s_wait_alu 0xfffd
	v_add_co_ci_u32_e64 v10, null, s7, v10, vcc_lo
	global_load_b64 v[13:14], v[11:12], off
	v_add_co_u32 v11, vcc_lo, v11, 8
	s_wait_alu 0xfffd
	v_add_co_ci_u32_e64 v12, null, 0, v12, vcc_lo
	s_cmp_eq_u64 s[6:7], 0
	s_load_b64 s[4:5], s[0:1], 0x48
	s_cselect_b32 vcc_lo, -1, 0
	s_cmp_eq_u32 s3, 1
	s_wait_alu 0xfffe
	v_dual_cndmask_b32 v10, v10, v12 :: v_dual_cndmask_b32 v9, v9, v11
	global_load_b64 v[15:16], v[9:10], off
	s_wait_loadcnt 0x1
	v_sub_co_u32 v9, vcc_lo, v13, s12
	s_wait_alu 0xfffd
	v_subrev_co_ci_u32_e64 v10, null, 0, v14, vcc_lo
	s_delay_alu instid0(VALU_DEP_2) | instskip(SKIP_1) | instid1(VALU_DEP_2)
	v_add_co_u32 v9, vcc_lo, v9, v0
	s_wait_alu 0xfffd
	v_add_co_ci_u32_e64 v10, null, 0, v10, vcc_lo
	s_delay_alu instid0(VALU_DEP_2) | instskip(NEXT) | instid1(VALU_DEP_1)
	v_mad_co_u64_u32 v[11:12], null, 0x48, v9, s[10:11]
	v_mad_co_u64_u32 v[12:13], null, 0x48, v10, v[12:13]
	s_wait_loadcnt 0x0
	v_sub_co_u32 v13, vcc_lo, v15, s12
	s_wait_alu 0xfffd
	v_subrev_co_ci_u32_e64 v14, null, 0, v16, vcc_lo
	s_delay_alu instid0(VALU_DEP_1)
	v_cmp_lt_i64_e64 s2, v[9:10], v[13:14]
	s_cbranch_scc1 .LBB140_17
; %bb.12:
	v_mov_b32_e32 v20, 0
	v_dual_mov_b32 v24, 0 :: v_dual_mov_b32 v15, 0
	v_dual_mov_b32 v18, 0 :: v_dual_mov_b32 v21, 0
	;; [unrolled: 1-line block ×3, first 2 shown]
	v_mov_b32_e32 v26, 0
	v_dual_mov_b32 v16, 0 :: v_dual_mov_b32 v19, 0
	v_mov_b32_e32 v23, 0
	v_mov_b32_e32 v27, 0
	s_and_saveexec_b32 s6, s2
	s_cbranch_execz .LBB140_16
; %bb.13:
	v_lshlrev_b64_e32 v[18:19], 2, v[9:10]
	v_dual_mov_b32 v15, 0 :: v_dual_mov_b32 v22, 0
	v_dual_mov_b32 v16, 0 :: v_dual_mov_b32 v29, v10
	v_dual_mov_b32 v23, 0 :: v_dual_mov_b32 v24, 0
	s_delay_alu instid0(VALU_DEP_4)
	v_add_co_u32 v30, vcc_lo, s8, v18
	s_wait_alu 0xfffd
	v_add_co_ci_u32_e64 v31, null, s9, v19, vcc_lo
	v_mov_b32_e32 v18, 0
	v_dual_mov_b32 v19, 0 :: v_dual_mov_b32 v20, 0
	v_dual_mov_b32 v26, 0 :: v_dual_mov_b32 v33, v12
	;; [unrolled: 1-line block ×3, first 2 shown]
	v_mov_b32_e32 v25, 0
	v_dual_mov_b32 v27, 0 :: v_dual_mov_b32 v32, v11
	s_mov_b32 s7, 0
.LBB140_14:                             ; =>This Inner Loop Header: Depth=1
	global_load_b32 v46, v[30:31], off
	s_clause 0x2
	global_load_b128 v[34:37], v[32:33], off offset:48
	global_load_b128 v[38:41], v[32:33], off offset:16
	global_load_b128 v[42:45], v[32:33], off
	v_add_co_u32 v30, s3, v30, 16
	s_wait_alu 0xf1ff
	v_add_co_ci_u32_e64 v31, null, 0, v31, s3
	s_wait_loadcnt 0x3
	v_subrev_nc_u32_e32 v46, s12, v46
	s_delay_alu instid0(VALU_DEP_1) | instskip(NEXT) | instid1(VALU_DEP_1)
	v_lshl_add_u32 v46, v46, 1, v46
	v_ashrrev_i32_e32 v47, 31, v46
	s_delay_alu instid0(VALU_DEP_1) | instskip(SKIP_1) | instid1(VALU_DEP_1)
	v_lshlrev_b64_e32 v[46:47], 4, v[46:47]
	s_wait_kmcnt 0x0
	v_add_co_u32 v58, vcc_lo, s4, v46
	s_wait_alu 0xfffd
	s_delay_alu instid0(VALU_DEP_2)
	v_add_co_ci_u32_e64 v59, null, s5, v47, vcc_lo
	v_add_co_u32 v28, vcc_lo, v28, 4
	s_wait_alu 0xfffd
	v_add_co_ci_u32_e64 v29, null, 0, v29, vcc_lo
	s_clause 0x1
	global_load_b128 v[46:49], v[58:59], off
	global_load_b128 v[50:53], v[58:59], off offset:16
	s_clause 0x1
	global_load_b128 v[54:57], v[32:33], off offset:32
	global_load_b64 v[62:63], v[32:33], off offset:64
	global_load_b128 v[58:61], v[58:59], off offset:32
	v_add_co_u32 v32, vcc_lo, 0x120, v32
	s_wait_alu 0xfffd
	v_add_co_ci_u32_e64 v33, null, 0, v33, vcc_lo
	v_cmp_ge_i64_e32 vcc_lo, v[28:29], v[13:14]
	s_wait_alu 0xfffe
	s_or_b32 s7, vcc_lo, s7
	s_wait_loadcnt 0x4
	v_fma_f64 v[18:19], v[42:43], v[46:47], v[18:19]
	v_fma_f64 v[15:16], v[46:47], 0, v[15:16]
	;; [unrolled: 1-line block ×12, first 2 shown]
	s_wait_loadcnt 0x3
	v_fma_f64 v[18:19], v[44:45], v[50:51], v[18:19]
	v_fma_f64 v[15:16], v[50:51], 0, v[15:16]
	s_wait_loadcnt 0x2
	v_fma_f64 v[22:23], v[54:55], v[50:51], v[22:23]
	v_fma_f64 v[20:21], v[50:51], 0, v[20:21]
	;; [unrolled: 1-line block ×10, first 2 shown]
	s_wait_loadcnt 0x0
	v_fma_f64 v[18:19], v[38:39], v[58:59], v[18:19]
	v_fma_f64 v[15:16], v[58:59], 0, v[15:16]
	;; [unrolled: 1-line block ×12, first 2 shown]
	s_wait_alu 0xfffe
	s_and_not1_b32 exec_lo, exec_lo, s7
	s_cbranch_execnz .LBB140_14
; %bb.15:
	s_or_b32 exec_lo, exec_lo, s7
.LBB140_16:
	s_wait_alu 0xfffe
	s_or_b32 exec_lo, exec_lo, s6
	s_cbranch_execz .LBB140_18
	s_branch .LBB140_23
.LBB140_17:
                                        ; implicit-def: $vgpr15_vgpr16
                                        ; implicit-def: $vgpr18_vgpr19
                                        ; implicit-def: $vgpr20_vgpr21
                                        ; implicit-def: $vgpr22_vgpr23
                                        ; implicit-def: $vgpr24_vgpr25
                                        ; implicit-def: $vgpr26_vgpr27
.LBB140_18:
	v_mov_b32_e32 v20, 0
	v_dual_mov_b32 v24, 0 :: v_dual_mov_b32 v15, 0
	v_dual_mov_b32 v18, 0 :: v_dual_mov_b32 v21, 0
	;; [unrolled: 1-line block ×3, first 2 shown]
	v_mov_b32_e32 v26, 0
	v_dual_mov_b32 v16, 0 :: v_dual_mov_b32 v19, 0
	v_mov_b32_e32 v23, 0
	v_mov_b32_e32 v27, 0
	s_and_saveexec_b32 s3, s2
	s_cbranch_execz .LBB140_22
; %bb.19:
	v_lshlrev_b64_e32 v[28:29], 2, v[9:10]
	v_mov_b32_e32 v20, 0
	v_dual_mov_b32 v24, 0 :: v_dual_mov_b32 v15, 0
	v_dual_mov_b32 v18, 0 :: v_dual_mov_b32 v21, 0
	v_mov_b32_e32 v22, 0
	v_add_co_u32 v28, vcc_lo, s8, v28
	v_dual_mov_b32 v25, 0 :: v_dual_mov_b32 v26, 0
	v_dual_mov_b32 v16, 0 :: v_dual_mov_b32 v19, 0
	v_mov_b32_e32 v23, 0
	v_mov_b32_e32 v27, 0
	s_wait_alu 0xfffd
	v_add_co_ci_u32_e64 v29, null, s9, v29, vcc_lo
	s_mov_b32 s6, 0
.LBB140_20:                             ; =>This Inner Loop Header: Depth=1
	global_load_b32 v38, v[28:29], off
	s_clause 0x1
	global_load_b128 v[30:33], v[11:12], off offset:16
	global_load_b128 v[34:37], v[11:12], off
	v_add_co_u32 v28, s2, v28, 16
	s_wait_alu 0xf1ff
	v_add_co_ci_u32_e64 v29, null, 0, v29, s2
	s_wait_loadcnt 0x2
	v_subrev_nc_u32_e32 v38, s12, v38
	s_delay_alu instid0(VALU_DEP_1) | instskip(NEXT) | instid1(VALU_DEP_1)
	v_lshl_add_u32 v38, v38, 1, v38
	v_ashrrev_i32_e32 v39, 31, v38
	s_delay_alu instid0(VALU_DEP_1) | instskip(SKIP_1) | instid1(VALU_DEP_1)
	v_lshlrev_b64_e32 v[38:39], 4, v[38:39]
	s_wait_kmcnt 0x0
	v_add_co_u32 v54, vcc_lo, s4, v38
	s_wait_alu 0xfffd
	s_delay_alu instid0(VALU_DEP_2)
	v_add_co_ci_u32_e64 v55, null, s5, v39, vcc_lo
	v_add_co_u32 v9, vcc_lo, v9, 4
	s_wait_alu 0xfffd
	v_add_co_ci_u32_e64 v10, null, 0, v10, vcc_lo
	s_clause 0x1
	global_load_b128 v[38:41], v[54:55], off
	global_load_b128 v[42:45], v[54:55], off offset:16
	s_clause 0x2
	global_load_b128 v[46:49], v[11:12], off offset:32
	global_load_b128 v[50:53], v[11:12], off offset:48
	global_load_b64 v[58:59], v[11:12], off offset:64
	global_load_b128 v[54:57], v[54:55], off offset:32
	v_add_co_u32 v11, vcc_lo, 0x120, v11
	s_wait_alu 0xfffd
	v_add_co_ci_u32_e64 v12, null, 0, v12, vcc_lo
	v_cmp_ge_i64_e32 vcc_lo, v[9:10], v[13:14]
	s_wait_alu 0xfffe
	s_or_b32 s6, vcc_lo, s6
	s_wait_loadcnt 0x5
	v_fma_f64 v[18:19], v[34:35], v[38:39], v[18:19]
	v_fma_f64 v[15:16], v[38:39], 0, v[15:16]
	v_fma_f64 v[22:23], v[36:37], v[38:39], v[22:23]
	v_fma_f64 v[20:21], v[38:39], 0, v[20:21]
	v_fma_f64 v[26:27], v[30:31], v[38:39], v[26:27]
	v_fma_f64 v[24:25], v[38:39], 0, v[24:25]
	v_fma_f64 v[18:19], 0x80000000, v[40:41], v[18:19]
	v_fma_f64 v[15:16], v[34:35], v[40:41], v[15:16]
	v_fma_f64 v[22:23], 0x80000000, v[40:41], v[22:23]
	v_fma_f64 v[20:21], v[36:37], v[40:41], v[20:21]
	v_fma_f64 v[26:27], 0x80000000, v[40:41], v[26:27]
	v_fma_f64 v[24:25], v[30:31], v[40:41], v[24:25]
	s_wait_loadcnt 0x4
	v_fma_f64 v[18:19], v[32:33], v[42:43], v[18:19]
	v_fma_f64 v[15:16], v[42:43], 0, v[15:16]
	s_wait_loadcnt 0x3
	v_fma_f64 v[22:23], v[46:47], v[42:43], v[22:23]
	v_fma_f64 v[20:21], v[42:43], 0, v[20:21]
	;; [unrolled: 1-line block ×10, first 2 shown]
	s_wait_loadcnt 0x0
	v_fma_f64 v[18:19], v[50:51], v[54:55], v[18:19]
	v_fma_f64 v[15:16], v[54:55], 0, v[15:16]
	;; [unrolled: 1-line block ×12, first 2 shown]
	s_wait_alu 0xfffe
	s_and_not1_b32 exec_lo, exec_lo, s6
	s_cbranch_execnz .LBB140_20
; %bb.21:
	s_or_b32 exec_lo, exec_lo, s6
.LBB140_22:
	s_wait_alu 0xfffe
	s_or_b32 exec_lo, exec_lo, s3
.LBB140_23:
	v_mbcnt_lo_u32_b32 v36, -1, 0
	s_delay_alu instid0(VALU_DEP_1) | instskip(NEXT) | instid1(VALU_DEP_1)
	v_xor_b32_e32 v9, 2, v36
	v_cmp_gt_i32_e32 vcc_lo, 32, v9
	s_wait_alu 0xfffd
	v_cndmask_b32_e32 v9, v36, v9, vcc_lo
	s_delay_alu instid0(VALU_DEP_1)
	v_lshlrev_b32_e32 v28, 2, v9
	ds_bpermute_b32 v9, v28, v18
	ds_bpermute_b32 v10, v28, v19
	ds_bpermute_b32 v11, v28, v15
	ds_bpermute_b32 v12, v28, v16
	ds_bpermute_b32 v13, v28, v22
	ds_bpermute_b32 v14, v28, v23
	ds_bpermute_b32 v30, v28, v20
	ds_bpermute_b32 v31, v28, v21
	ds_bpermute_b32 v32, v28, v26
	ds_bpermute_b32 v33, v28, v27
	ds_bpermute_b32 v34, v28, v24
	ds_bpermute_b32 v35, v28, v25
	s_wait_dscnt 0xa
	v_add_f64_e32 v[9:10], v[18:19], v[9:10]
	s_wait_dscnt 0x8
	v_add_f64_e32 v[28:29], v[15:16], v[11:12]
	;; [unrolled: 2-line block ×4, first 2 shown]
	v_xor_b32_e32 v20, 1, v36
	s_wait_dscnt 0x2
	v_add_f64_e32 v[13:14], v[26:27], v[32:33]
	s_wait_dscnt 0x0
	v_add_f64_e32 v[15:16], v[24:25], v[34:35]
	v_cmp_gt_i32_e32 vcc_lo, 32, v20
	s_wait_alu 0xfffd
	v_cndmask_b32_e32 v20, v36, v20, vcc_lo
	v_cmp_eq_u32_e32 vcc_lo, 3, v0
	s_delay_alu instid0(VALU_DEP_2)
	v_lshlrev_b32_e32 v27, 2, v20
	ds_bpermute_b32 v20, v27, v9
	ds_bpermute_b32 v21, v27, v10
	;; [unrolled: 1-line block ×12, first 2 shown]
	s_and_b32 exec_lo, exec_lo, vcc_lo
	s_cbranch_execz .LBB140_8
; %bb.24:
	s_wait_dscnt 0x8
	v_add_f64_e32 v[28:29], v[28:29], v[32:33]
	s_wait_dscnt 0x4
	v_add_f64_e32 v[18:19], v[18:19], v[30:31]
	;; [unrolled: 2-line block ×3, first 2 shown]
	v_add_f64_e32 v[9:10], v[9:10], v[20:21]
	v_add_f64_e32 v[11:12], v[11:12], v[22:23]
	;; [unrolled: 1-line block ×3, first 2 shown]
	v_cmp_eq_f64_e32 vcc_lo, 0, v[1:2]
	v_cmp_eq_f64_e64 s2, 0, v[3:4]
	s_load_b64 s[0:1], s[0:1], 0x60
	v_lshl_add_u32 v17, v17, 1, v17
	v_mul_f64_e64 v[13:14], v[28:29], -v[7:8]
	v_mul_f64_e32 v[22:23], v[5:6], v[28:29]
	v_mul_f64_e64 v[24:25], v[18:19], -v[7:8]
	v_mul_f64_e32 v[18:19], v[5:6], v[18:19]
	;; [unrolled: 2-line block ×3, first 2 shown]
	s_and_b32 s2, vcc_lo, s2
	v_fma_f64 v[13:14], v[5:6], v[9:10], v[13:14]
	v_fma_f64 v[15:16], v[7:8], v[9:10], v[22:23]
	;; [unrolled: 1-line block ×6, first 2 shown]
	v_ashrrev_i32_e32 v18, 31, v17
	s_wait_alu 0xfffe
	s_and_saveexec_b32 s3, s2
	s_wait_alu 0xfffe
	s_xor_b32 s2, exec_lo, s3
	s_cbranch_execz .LBB140_26
; %bb.25:
	v_lshlrev_b64_e32 v[0:1], 4, v[17:18]
                                        ; implicit-def: $vgpr17
	s_wait_kmcnt 0x0
	s_delay_alu instid0(VALU_DEP_1) | instskip(SKIP_1) | instid1(VALU_DEP_2)
	v_add_co_u32 v0, vcc_lo, s0, v0
	s_wait_alu 0xfffd
	v_add_co_ci_u32_e64 v1, null, s1, v1, vcc_lo
	s_clause 0x2
	global_store_b128 v[0:1], v[13:16], off
	global_store_b128 v[0:1], v[9:12], off offset:16
	global_store_b128 v[0:1], v[5:8], off offset:32
                                        ; implicit-def: $vgpr3_vgpr4
                                        ; implicit-def: $vgpr13_vgpr14
                                        ; implicit-def: $vgpr9_vgpr10
                                        ; implicit-def: $vgpr5_vgpr6
.LBB140_26:
	s_wait_alu 0xfffe
	s_and_not1_saveexec_b32 s2, s2
	s_cbranch_execz .LBB140_8
; %bb.27:
	v_lshlrev_b64_e32 v[17:18], 4, v[17:18]
	s_wait_kmcnt 0x0
	s_delay_alu instid0(VALU_DEP_1) | instskip(SKIP_1) | instid1(VALU_DEP_2)
	v_add_co_u32 v29, vcc_lo, s0, v17
	s_wait_alu 0xfffd
	v_add_co_ci_u32_e64 v30, null, s1, v18, vcc_lo
	s_clause 0x2
	global_load_b128 v[17:20], v[29:30], off
	global_load_b128 v[21:24], v[29:30], off offset:16
	global_load_b128 v[25:28], v[29:30], off offset:32
	s_wait_loadcnt 0x2
	v_fma_f64 v[13:14], v[1:2], v[17:18], v[13:14]
	v_fma_f64 v[15:16], v[3:4], v[17:18], v[15:16]
	s_wait_loadcnt 0x1
	v_fma_f64 v[9:10], v[1:2], v[21:22], v[9:10]
	v_fma_f64 v[11:12], v[3:4], v[21:22], v[11:12]
	;; [unrolled: 3-line block ×3, first 2 shown]
	v_fma_f64 v[5:6], -v[3:4], v[19:20], v[13:14]
	v_fma_f64 v[7:8], v[1:2], v[19:20], v[15:16]
	v_fma_f64 v[9:10], -v[3:4], v[23:24], v[9:10]
	v_fma_f64 v[11:12], v[1:2], v[23:24], v[11:12]
	;; [unrolled: 2-line block ×3, first 2 shown]
	s_clause 0x2
	global_store_b128 v[29:30], v[5:8], off
	global_store_b128 v[29:30], v[9:12], off offset:16
	global_store_b128 v[29:30], v[13:16], off offset:32
	s_endpgm
	.section	.rodata,"a",@progbits
	.p2align	6, 0x0
	.amdhsa_kernel _ZN9rocsparseL18bsrxmvn_3x3_kernelILj256ELj4E21rocsparse_complex_numIdElidS2_S2_EEvT3_20rocsparse_direction_NS_24const_host_device_scalarIT1_EES3_PKS3_PKT2_SC_S9_PKT4_PKT5_S7_PT6_21rocsparse_index_base_b
		.amdhsa_group_segment_fixed_size 0
		.amdhsa_private_segment_fixed_size 0
		.amdhsa_kernarg_size 112
		.amdhsa_user_sgpr_count 2
		.amdhsa_user_sgpr_dispatch_ptr 0
		.amdhsa_user_sgpr_queue_ptr 0
		.amdhsa_user_sgpr_kernarg_segment_ptr 1
		.amdhsa_user_sgpr_dispatch_id 0
		.amdhsa_user_sgpr_private_segment_size 0
		.amdhsa_wavefront_size32 1
		.amdhsa_uses_dynamic_stack 0
		.amdhsa_enable_private_segment 0
		.amdhsa_system_sgpr_workgroup_id_x 1
		.amdhsa_system_sgpr_workgroup_id_y 0
		.amdhsa_system_sgpr_workgroup_id_z 0
		.amdhsa_system_sgpr_workgroup_info 0
		.amdhsa_system_vgpr_workitem_id 0
		.amdhsa_next_free_vgpr 64
		.amdhsa_next_free_sgpr 14
		.amdhsa_reserve_vcc 1
		.amdhsa_float_round_mode_32 0
		.amdhsa_float_round_mode_16_64 0
		.amdhsa_float_denorm_mode_32 3
		.amdhsa_float_denorm_mode_16_64 3
		.amdhsa_fp16_overflow 0
		.amdhsa_workgroup_processor_mode 1
		.amdhsa_memory_ordered 1
		.amdhsa_forward_progress 1
		.amdhsa_inst_pref_size 24
		.amdhsa_round_robin_scheduling 0
		.amdhsa_exception_fp_ieee_invalid_op 0
		.amdhsa_exception_fp_denorm_src 0
		.amdhsa_exception_fp_ieee_div_zero 0
		.amdhsa_exception_fp_ieee_overflow 0
		.amdhsa_exception_fp_ieee_underflow 0
		.amdhsa_exception_fp_ieee_inexact 0
		.amdhsa_exception_int_div_zero 0
	.end_amdhsa_kernel
	.section	.text._ZN9rocsparseL18bsrxmvn_3x3_kernelILj256ELj4E21rocsparse_complex_numIdElidS2_S2_EEvT3_20rocsparse_direction_NS_24const_host_device_scalarIT1_EES3_PKS3_PKT2_SC_S9_PKT4_PKT5_S7_PT6_21rocsparse_index_base_b,"axG",@progbits,_ZN9rocsparseL18bsrxmvn_3x3_kernelILj256ELj4E21rocsparse_complex_numIdElidS2_S2_EEvT3_20rocsparse_direction_NS_24const_host_device_scalarIT1_EES3_PKS3_PKT2_SC_S9_PKT4_PKT5_S7_PT6_21rocsparse_index_base_b,comdat
.Lfunc_end140:
	.size	_ZN9rocsparseL18bsrxmvn_3x3_kernelILj256ELj4E21rocsparse_complex_numIdElidS2_S2_EEvT3_20rocsparse_direction_NS_24const_host_device_scalarIT1_EES3_PKS3_PKT2_SC_S9_PKT4_PKT5_S7_PT6_21rocsparse_index_base_b, .Lfunc_end140-_ZN9rocsparseL18bsrxmvn_3x3_kernelILj256ELj4E21rocsparse_complex_numIdElidS2_S2_EEvT3_20rocsparse_direction_NS_24const_host_device_scalarIT1_EES3_PKS3_PKT2_SC_S9_PKT4_PKT5_S7_PT6_21rocsparse_index_base_b
                                        ; -- End function
	.set _ZN9rocsparseL18bsrxmvn_3x3_kernelILj256ELj4E21rocsparse_complex_numIdElidS2_S2_EEvT3_20rocsparse_direction_NS_24const_host_device_scalarIT1_EES3_PKS3_PKT2_SC_S9_PKT4_PKT5_S7_PT6_21rocsparse_index_base_b.num_vgpr, 64
	.set _ZN9rocsparseL18bsrxmvn_3x3_kernelILj256ELj4E21rocsparse_complex_numIdElidS2_S2_EEvT3_20rocsparse_direction_NS_24const_host_device_scalarIT1_EES3_PKS3_PKT2_SC_S9_PKT4_PKT5_S7_PT6_21rocsparse_index_base_b.num_agpr, 0
	.set _ZN9rocsparseL18bsrxmvn_3x3_kernelILj256ELj4E21rocsparse_complex_numIdElidS2_S2_EEvT3_20rocsparse_direction_NS_24const_host_device_scalarIT1_EES3_PKS3_PKT2_SC_S9_PKT4_PKT5_S7_PT6_21rocsparse_index_base_b.numbered_sgpr, 14
	.set _ZN9rocsparseL18bsrxmvn_3x3_kernelILj256ELj4E21rocsparse_complex_numIdElidS2_S2_EEvT3_20rocsparse_direction_NS_24const_host_device_scalarIT1_EES3_PKS3_PKT2_SC_S9_PKT4_PKT5_S7_PT6_21rocsparse_index_base_b.num_named_barrier, 0
	.set _ZN9rocsparseL18bsrxmvn_3x3_kernelILj256ELj4E21rocsparse_complex_numIdElidS2_S2_EEvT3_20rocsparse_direction_NS_24const_host_device_scalarIT1_EES3_PKS3_PKT2_SC_S9_PKT4_PKT5_S7_PT6_21rocsparse_index_base_b.private_seg_size, 0
	.set _ZN9rocsparseL18bsrxmvn_3x3_kernelILj256ELj4E21rocsparse_complex_numIdElidS2_S2_EEvT3_20rocsparse_direction_NS_24const_host_device_scalarIT1_EES3_PKS3_PKT2_SC_S9_PKT4_PKT5_S7_PT6_21rocsparse_index_base_b.uses_vcc, 1
	.set _ZN9rocsparseL18bsrxmvn_3x3_kernelILj256ELj4E21rocsparse_complex_numIdElidS2_S2_EEvT3_20rocsparse_direction_NS_24const_host_device_scalarIT1_EES3_PKS3_PKT2_SC_S9_PKT4_PKT5_S7_PT6_21rocsparse_index_base_b.uses_flat_scratch, 0
	.set _ZN9rocsparseL18bsrxmvn_3x3_kernelILj256ELj4E21rocsparse_complex_numIdElidS2_S2_EEvT3_20rocsparse_direction_NS_24const_host_device_scalarIT1_EES3_PKS3_PKT2_SC_S9_PKT4_PKT5_S7_PT6_21rocsparse_index_base_b.has_dyn_sized_stack, 0
	.set _ZN9rocsparseL18bsrxmvn_3x3_kernelILj256ELj4E21rocsparse_complex_numIdElidS2_S2_EEvT3_20rocsparse_direction_NS_24const_host_device_scalarIT1_EES3_PKS3_PKT2_SC_S9_PKT4_PKT5_S7_PT6_21rocsparse_index_base_b.has_recursion, 0
	.set _ZN9rocsparseL18bsrxmvn_3x3_kernelILj256ELj4E21rocsparse_complex_numIdElidS2_S2_EEvT3_20rocsparse_direction_NS_24const_host_device_scalarIT1_EES3_PKS3_PKT2_SC_S9_PKT4_PKT5_S7_PT6_21rocsparse_index_base_b.has_indirect_call, 0
	.section	.AMDGPU.csdata,"",@progbits
; Kernel info:
; codeLenInByte = 3008
; TotalNumSgprs: 16
; NumVgprs: 64
; ScratchSize: 0
; MemoryBound: 0
; FloatMode: 240
; IeeeMode: 1
; LDSByteSize: 0 bytes/workgroup (compile time only)
; SGPRBlocks: 0
; VGPRBlocks: 7
; NumSGPRsForWavesPerEU: 16
; NumVGPRsForWavesPerEU: 64
; Occupancy: 16
; WaveLimiterHint : 1
; COMPUTE_PGM_RSRC2:SCRATCH_EN: 0
; COMPUTE_PGM_RSRC2:USER_SGPR: 2
; COMPUTE_PGM_RSRC2:TRAP_HANDLER: 0
; COMPUTE_PGM_RSRC2:TGID_X_EN: 1
; COMPUTE_PGM_RSRC2:TGID_Y_EN: 0
; COMPUTE_PGM_RSRC2:TGID_Z_EN: 0
; COMPUTE_PGM_RSRC2:TIDIG_COMP_CNT: 0
	.section	.text._ZN9rocsparseL18bsrxmvn_3x3_kernelILj256ELj8E21rocsparse_complex_numIdElidS2_S2_EEvT3_20rocsparse_direction_NS_24const_host_device_scalarIT1_EES3_PKS3_PKT2_SC_S9_PKT4_PKT5_S7_PT6_21rocsparse_index_base_b,"axG",@progbits,_ZN9rocsparseL18bsrxmvn_3x3_kernelILj256ELj8E21rocsparse_complex_numIdElidS2_S2_EEvT3_20rocsparse_direction_NS_24const_host_device_scalarIT1_EES3_PKS3_PKT2_SC_S9_PKT4_PKT5_S7_PT6_21rocsparse_index_base_b,comdat
	.globl	_ZN9rocsparseL18bsrxmvn_3x3_kernelILj256ELj8E21rocsparse_complex_numIdElidS2_S2_EEvT3_20rocsparse_direction_NS_24const_host_device_scalarIT1_EES3_PKS3_PKT2_SC_S9_PKT4_PKT5_S7_PT6_21rocsparse_index_base_b ; -- Begin function _ZN9rocsparseL18bsrxmvn_3x3_kernelILj256ELj8E21rocsparse_complex_numIdElidS2_S2_EEvT3_20rocsparse_direction_NS_24const_host_device_scalarIT1_EES3_PKS3_PKT2_SC_S9_PKT4_PKT5_S7_PT6_21rocsparse_index_base_b
	.p2align	8
	.type	_ZN9rocsparseL18bsrxmvn_3x3_kernelILj256ELj8E21rocsparse_complex_numIdElidS2_S2_EEvT3_20rocsparse_direction_NS_24const_host_device_scalarIT1_EES3_PKS3_PKT2_SC_S9_PKT4_PKT5_S7_PT6_21rocsparse_index_base_b,@function
_ZN9rocsparseL18bsrxmvn_3x3_kernelILj256ELj8E21rocsparse_complex_numIdElidS2_S2_EEvT3_20rocsparse_direction_NS_24const_host_device_scalarIT1_EES3_PKS3_PKT2_SC_S9_PKT4_PKT5_S7_PT6_21rocsparse_index_base_b: ; @_ZN9rocsparseL18bsrxmvn_3x3_kernelILj256ELj8E21rocsparse_complex_numIdElidS2_S2_EEvT3_20rocsparse_direction_NS_24const_host_device_scalarIT1_EES3_PKS3_PKT2_SC_S9_PKT4_PKT5_S7_PT6_21rocsparse_index_base_b
; %bb.0:
	s_clause 0x1
	s_load_b64 s[12:13], s[0:1], 0x68
	s_load_b64 s[2:3], s[0:1], 0x8
	s_add_nc_u64 s[4:5], s[0:1], 8
	s_load_b64 s[6:7], s[0:1], 0x50
	s_wait_kmcnt 0x0
	s_bitcmp1_b32 s13, 0
	s_cselect_b32 s2, s4, s2
	s_cselect_b32 s3, s5, s3
	s_delay_alu instid0(SALU_CYCLE_1)
	v_dual_mov_b32 v1, s2 :: v_dual_mov_b32 v2, s3
	s_add_nc_u64 s[2:3], s[0:1], 0x50
	s_wait_alu 0xfffe
	s_cselect_b32 s2, s2, s6
	s_cselect_b32 s3, s3, s7
	flat_load_b128 v[5:8], v[1:2]
	s_wait_alu 0xfffe
	v_dual_mov_b32 v1, s2 :: v_dual_mov_b32 v2, s3
	flat_load_b128 v[1:4], v[1:2]
	s_wait_loadcnt_dscnt 0x101
	v_cmp_eq_f64_e32 vcc_lo, 0, v[5:6]
	v_cmp_eq_f64_e64 s2, 0, v[7:8]
	s_and_b32 s4, vcc_lo, s2
	s_mov_b32 s2, -1
	s_and_saveexec_b32 s3, s4
	s_cbranch_execz .LBB141_2
; %bb.1:
	s_wait_loadcnt_dscnt 0x0
	v_cmp_neq_f64_e32 vcc_lo, 1.0, v[1:2]
	v_cmp_neq_f64_e64 s2, 0, v[3:4]
	s_wait_alu 0xfffe
	s_or_b32 s2, vcc_lo, s2
	s_wait_alu 0xfffe
	s_or_not1_b32 s2, s2, exec_lo
.LBB141_2:
	s_wait_alu 0xfffe
	s_or_b32 exec_lo, exec_lo, s3
	s_and_saveexec_b32 s3, s2
	s_cbranch_execz .LBB141_8
; %bb.3:
	s_clause 0x1
	s_load_b64 s[4:5], s[0:1], 0x20
	s_load_b64 s[2:3], s[0:1], 0x0
	v_lshrrev_b32_e32 v9, 3, v0
	s_delay_alu instid0(VALU_DEP_1)
	v_lshl_or_b32 v17, ttmp9, 5, v9
	s_wait_kmcnt 0x0
	s_cmp_lg_u64 s[4:5], 0
	s_cbranch_scc0 .LBB141_9
; %bb.4:
	s_load_b32 s6, s[0:1], 0x18
	s_mov_b32 s7, 0
                                        ; implicit-def: $vgpr9
	s_wait_kmcnt 0x0
	v_cmp_gt_i32_e32 vcc_lo, s6, v17
	s_mov_b32 s6, 0
	s_and_saveexec_b32 s8, vcc_lo
	s_delay_alu instid0(SALU_CYCLE_1)
	s_xor_b32 s8, exec_lo, s8
	s_cbranch_execz .LBB141_6
; %bb.5:
	v_ashrrev_i32_e32 v18, 31, v17
	s_mov_b32 s6, exec_lo
	s_delay_alu instid0(VALU_DEP_1) | instskip(NEXT) | instid1(VALU_DEP_1)
	v_lshlrev_b64_e32 v[9:10], 2, v[17:18]
	v_add_co_u32 v9, vcc_lo, s4, v9
	s_delay_alu instid0(VALU_DEP_1)
	v_add_co_ci_u32_e64 v10, null, s5, v10, vcc_lo
	global_load_b32 v9, v[9:10], off
	s_wait_loadcnt 0x0
	v_subrev_nc_u32_e32 v9, s12, v9
.LBB141_6:
	s_or_b32 exec_lo, exec_lo, s8
	s_delay_alu instid0(SALU_CYCLE_1)
	s_and_b32 vcc_lo, exec_lo, s7
	s_wait_alu 0xfffe
	s_cbranch_vccz .LBB141_10
.LBB141_7:
	v_cmp_gt_i32_e32 vcc_lo, s2, v17
	s_and_not1_b32 s2, s6, exec_lo
	s_and_b32 s4, vcc_lo, exec_lo
	s_wait_alu 0xfffe
	s_or_b32 s6, s2, s4
	s_wait_alu 0xfffe
	s_and_b32 exec_lo, exec_lo, s6
	s_cbranch_execnz .LBB141_11
.LBB141_8:
	s_endpgm
.LBB141_9:
	s_mov_b32 s6, 0
                                        ; implicit-def: $vgpr9
	s_cbranch_execnz .LBB141_7
.LBB141_10:
	v_mov_b32_e32 v17, v9
	s_and_b32 exec_lo, exec_lo, s6
	s_cbranch_execz .LBB141_8
.LBB141_11:
	s_load_b256 s[4:11], s[0:1], 0x28
	s_delay_alu instid0(VALU_DEP_1) | instskip(SKIP_1) | instid1(VALU_DEP_2)
	v_ashrrev_i32_e32 v18, 31, v17
	v_and_b32_e32 v0, 7, v0
	v_lshlrev_b64_e32 v[9:10], 3, v[17:18]
	s_wait_kmcnt 0x0
	s_delay_alu instid0(VALU_DEP_1) | instskip(SKIP_1) | instid1(VALU_DEP_2)
	v_add_co_u32 v11, vcc_lo, s4, v9
	s_wait_alu 0xfffd
	v_add_co_ci_u32_e64 v12, null, s5, v10, vcc_lo
	v_add_co_u32 v9, vcc_lo, s6, v9
	s_wait_alu 0xfffd
	v_add_co_ci_u32_e64 v10, null, s7, v10, vcc_lo
	global_load_b64 v[13:14], v[11:12], off
	v_add_co_u32 v11, vcc_lo, v11, 8
	s_wait_alu 0xfffd
	v_add_co_ci_u32_e64 v12, null, 0, v12, vcc_lo
	s_cmp_eq_u64 s[6:7], 0
	s_load_b64 s[4:5], s[0:1], 0x48
	s_cselect_b32 vcc_lo, -1, 0
	s_cmp_eq_u32 s3, 1
	s_wait_alu 0xfffe
	v_dual_cndmask_b32 v10, v10, v12 :: v_dual_cndmask_b32 v9, v9, v11
	global_load_b64 v[9:10], v[9:10], off
	s_wait_loadcnt 0x1
	v_sub_co_u32 v11, vcc_lo, v13, s12
	s_wait_alu 0xfffd
	v_subrev_co_ci_u32_e64 v12, null, 0, v14, vcc_lo
	s_delay_alu instid0(VALU_DEP_2) | instskip(SKIP_1) | instid1(VALU_DEP_2)
	v_add_co_u32 v11, vcc_lo, v11, v0
	s_wait_alu 0xfffd
	v_add_co_ci_u32_e64 v12, null, 0, v12, vcc_lo
	s_delay_alu instid0(VALU_DEP_2) | instskip(NEXT) | instid1(VALU_DEP_1)
	v_mad_co_u64_u32 v[13:14], null, 0x48, v11, s[10:11]
	v_mad_co_u64_u32 v[14:15], null, 0x48, v12, v[14:15]
	s_wait_loadcnt 0x0
	v_sub_co_u32 v15, vcc_lo, v9, s12
	s_wait_alu 0xfffd
	v_subrev_co_ci_u32_e64 v16, null, 0, v10, vcc_lo
	s_delay_alu instid0(VALU_DEP_1)
	v_cmp_lt_i64_e64 s2, v[11:12], v[15:16]
	s_cbranch_scc1 .LBB141_17
; %bb.12:
	v_mov_b32_e32 v20, 0
	v_dual_mov_b32 v24, 0 :: v_dual_mov_b32 v9, 0
	v_dual_mov_b32 v18, 0 :: v_dual_mov_b32 v21, 0
	;; [unrolled: 1-line block ×3, first 2 shown]
	v_mov_b32_e32 v26, 0
	v_dual_mov_b32 v10, 0 :: v_dual_mov_b32 v19, 0
	v_mov_b32_e32 v23, 0
	v_mov_b32_e32 v27, 0
	s_and_saveexec_b32 s6, s2
	s_cbranch_execz .LBB141_16
; %bb.13:
	v_lshlrev_b64_e32 v[18:19], 2, v[11:12]
	v_dual_mov_b32 v9, 0 :: v_dual_mov_b32 v22, 0
	v_dual_mov_b32 v10, 0 :: v_dual_mov_b32 v29, v12
	;; [unrolled: 1-line block ×3, first 2 shown]
	s_delay_alu instid0(VALU_DEP_4)
	v_add_co_u32 v30, vcc_lo, s8, v18
	s_wait_alu 0xfffd
	v_add_co_ci_u32_e64 v31, null, s9, v19, vcc_lo
	v_mov_b32_e32 v18, 0
	v_dual_mov_b32 v19, 0 :: v_dual_mov_b32 v20, 0
	v_dual_mov_b32 v26, 0 :: v_dual_mov_b32 v33, v14
	;; [unrolled: 1-line block ×3, first 2 shown]
	v_mov_b32_e32 v25, 0
	v_dual_mov_b32 v27, 0 :: v_dual_mov_b32 v32, v13
	s_mov_b32 s7, 0
.LBB141_14:                             ; =>This Inner Loop Header: Depth=1
	global_load_b32 v46, v[30:31], off
	s_clause 0x2
	global_load_b128 v[34:37], v[32:33], off offset:48
	global_load_b128 v[38:41], v[32:33], off offset:16
	global_load_b128 v[42:45], v[32:33], off
	v_add_co_u32 v30, s3, v30, 32
	s_wait_alu 0xf1ff
	v_add_co_ci_u32_e64 v31, null, 0, v31, s3
	s_wait_loadcnt 0x3
	v_subrev_nc_u32_e32 v46, s12, v46
	s_delay_alu instid0(VALU_DEP_1) | instskip(NEXT) | instid1(VALU_DEP_1)
	v_lshl_add_u32 v46, v46, 1, v46
	v_ashrrev_i32_e32 v47, 31, v46
	s_delay_alu instid0(VALU_DEP_1) | instskip(SKIP_1) | instid1(VALU_DEP_1)
	v_lshlrev_b64_e32 v[46:47], 4, v[46:47]
	s_wait_kmcnt 0x0
	v_add_co_u32 v58, vcc_lo, s4, v46
	s_wait_alu 0xfffd
	s_delay_alu instid0(VALU_DEP_2)
	v_add_co_ci_u32_e64 v59, null, s5, v47, vcc_lo
	v_add_co_u32 v28, vcc_lo, v28, 8
	s_wait_alu 0xfffd
	v_add_co_ci_u32_e64 v29, null, 0, v29, vcc_lo
	s_clause 0x1
	global_load_b128 v[46:49], v[58:59], off
	global_load_b128 v[50:53], v[58:59], off offset:16
	s_clause 0x1
	global_load_b128 v[54:57], v[32:33], off offset:32
	global_load_b64 v[62:63], v[32:33], off offset:64
	global_load_b128 v[58:61], v[58:59], off offset:32
	v_add_co_u32 v32, vcc_lo, 0x240, v32
	s_wait_alu 0xfffd
	v_add_co_ci_u32_e64 v33, null, 0, v33, vcc_lo
	v_cmp_ge_i64_e32 vcc_lo, v[28:29], v[15:16]
	s_wait_alu 0xfffe
	s_or_b32 s7, vcc_lo, s7
	s_wait_loadcnt 0x4
	v_fma_f64 v[18:19], v[42:43], v[46:47], v[18:19]
	v_fma_f64 v[9:10], v[46:47], 0, v[9:10]
	;; [unrolled: 1-line block ×12, first 2 shown]
	s_wait_loadcnt 0x3
	v_fma_f64 v[18:19], v[44:45], v[50:51], v[18:19]
	v_fma_f64 v[9:10], v[50:51], 0, v[9:10]
	s_wait_loadcnt 0x2
	v_fma_f64 v[22:23], v[54:55], v[50:51], v[22:23]
	v_fma_f64 v[20:21], v[50:51], 0, v[20:21]
	;; [unrolled: 1-line block ×10, first 2 shown]
	s_wait_loadcnt 0x0
	v_fma_f64 v[18:19], v[38:39], v[58:59], v[18:19]
	v_fma_f64 v[9:10], v[58:59], 0, v[9:10]
	;; [unrolled: 1-line block ×12, first 2 shown]
	s_wait_alu 0xfffe
	s_and_not1_b32 exec_lo, exec_lo, s7
	s_cbranch_execnz .LBB141_14
; %bb.15:
	s_or_b32 exec_lo, exec_lo, s7
.LBB141_16:
	s_wait_alu 0xfffe
	s_or_b32 exec_lo, exec_lo, s6
	s_cbranch_execz .LBB141_18
	s_branch .LBB141_23
.LBB141_17:
                                        ; implicit-def: $vgpr9_vgpr10
                                        ; implicit-def: $vgpr18_vgpr19
                                        ; implicit-def: $vgpr20_vgpr21
                                        ; implicit-def: $vgpr22_vgpr23
                                        ; implicit-def: $vgpr24_vgpr25
                                        ; implicit-def: $vgpr26_vgpr27
.LBB141_18:
	v_mov_b32_e32 v20, 0
	v_dual_mov_b32 v24, 0 :: v_dual_mov_b32 v9, 0
	v_dual_mov_b32 v18, 0 :: v_dual_mov_b32 v21, 0
	;; [unrolled: 1-line block ×3, first 2 shown]
	v_mov_b32_e32 v26, 0
	v_dual_mov_b32 v10, 0 :: v_dual_mov_b32 v19, 0
	v_mov_b32_e32 v23, 0
	v_mov_b32_e32 v27, 0
	s_and_saveexec_b32 s3, s2
	s_cbranch_execz .LBB141_22
; %bb.19:
	v_lshlrev_b64_e32 v[28:29], 2, v[11:12]
	v_mov_b32_e32 v20, 0
	v_dual_mov_b32 v24, 0 :: v_dual_mov_b32 v9, 0
	v_dual_mov_b32 v18, 0 :: v_dual_mov_b32 v21, 0
	v_mov_b32_e32 v22, 0
	v_add_co_u32 v28, vcc_lo, s8, v28
	v_dual_mov_b32 v25, 0 :: v_dual_mov_b32 v26, 0
	v_dual_mov_b32 v10, 0 :: v_dual_mov_b32 v19, 0
	v_mov_b32_e32 v23, 0
	v_mov_b32_e32 v27, 0
	s_wait_alu 0xfffd
	v_add_co_ci_u32_e64 v29, null, s9, v29, vcc_lo
	s_mov_b32 s6, 0
.LBB141_20:                             ; =>This Inner Loop Header: Depth=1
	global_load_b32 v38, v[28:29], off
	s_clause 0x1
	global_load_b128 v[30:33], v[13:14], off offset:16
	global_load_b128 v[34:37], v[13:14], off
	v_add_co_u32 v28, s2, v28, 32
	s_wait_alu 0xf1ff
	v_add_co_ci_u32_e64 v29, null, 0, v29, s2
	s_wait_loadcnt 0x2
	v_subrev_nc_u32_e32 v38, s12, v38
	s_delay_alu instid0(VALU_DEP_1) | instskip(NEXT) | instid1(VALU_DEP_1)
	v_lshl_add_u32 v38, v38, 1, v38
	v_ashrrev_i32_e32 v39, 31, v38
	s_delay_alu instid0(VALU_DEP_1) | instskip(SKIP_1) | instid1(VALU_DEP_1)
	v_lshlrev_b64_e32 v[38:39], 4, v[38:39]
	s_wait_kmcnt 0x0
	v_add_co_u32 v54, vcc_lo, s4, v38
	s_wait_alu 0xfffd
	s_delay_alu instid0(VALU_DEP_2)
	v_add_co_ci_u32_e64 v55, null, s5, v39, vcc_lo
	v_add_co_u32 v11, vcc_lo, v11, 8
	s_wait_alu 0xfffd
	v_add_co_ci_u32_e64 v12, null, 0, v12, vcc_lo
	s_clause 0x1
	global_load_b128 v[38:41], v[54:55], off
	global_load_b128 v[42:45], v[54:55], off offset:16
	s_clause 0x2
	global_load_b128 v[46:49], v[13:14], off offset:32
	global_load_b128 v[50:53], v[13:14], off offset:48
	global_load_b64 v[58:59], v[13:14], off offset:64
	global_load_b128 v[54:57], v[54:55], off offset:32
	v_add_co_u32 v13, vcc_lo, 0x240, v13
	s_wait_alu 0xfffd
	v_add_co_ci_u32_e64 v14, null, 0, v14, vcc_lo
	v_cmp_ge_i64_e32 vcc_lo, v[11:12], v[15:16]
	s_wait_alu 0xfffe
	s_or_b32 s6, vcc_lo, s6
	s_wait_loadcnt 0x5
	v_fma_f64 v[18:19], v[34:35], v[38:39], v[18:19]
	v_fma_f64 v[9:10], v[38:39], 0, v[9:10]
	;; [unrolled: 1-line block ×12, first 2 shown]
	s_wait_loadcnt 0x4
	v_fma_f64 v[18:19], v[32:33], v[42:43], v[18:19]
	v_fma_f64 v[9:10], v[42:43], 0, v[9:10]
	s_wait_loadcnt 0x3
	v_fma_f64 v[22:23], v[46:47], v[42:43], v[22:23]
	v_fma_f64 v[20:21], v[42:43], 0, v[20:21]
	;; [unrolled: 1-line block ×10, first 2 shown]
	s_wait_loadcnt 0x0
	v_fma_f64 v[18:19], v[50:51], v[54:55], v[18:19]
	v_fma_f64 v[9:10], v[54:55], 0, v[9:10]
	;; [unrolled: 1-line block ×12, first 2 shown]
	s_wait_alu 0xfffe
	s_and_not1_b32 exec_lo, exec_lo, s6
	s_cbranch_execnz .LBB141_20
; %bb.21:
	s_or_b32 exec_lo, exec_lo, s6
.LBB141_22:
	s_wait_alu 0xfffe
	s_or_b32 exec_lo, exec_lo, s3
.LBB141_23:
	v_mbcnt_lo_u32_b32 v34, -1, 0
	s_delay_alu instid0(VALU_DEP_1) | instskip(NEXT) | instid1(VALU_DEP_1)
	v_xor_b32_e32 v11, 4, v34
	v_cmp_gt_i32_e32 vcc_lo, 32, v11
	s_wait_alu 0xfffd
	v_cndmask_b32_e32 v11, v34, v11, vcc_lo
	s_delay_alu instid0(VALU_DEP_1)
	v_lshlrev_b32_e32 v33, 2, v11
	ds_bpermute_b32 v11, v33, v18
	ds_bpermute_b32 v12, v33, v19
	;; [unrolled: 1-line block ×12, first 2 shown]
	s_wait_dscnt 0xa
	v_add_f64_e32 v[11:12], v[18:19], v[11:12]
	s_wait_dscnt 0x8
	v_add_f64_e32 v[13:14], v[9:10], v[13:14]
	v_xor_b32_e32 v9, 2, v34
	s_wait_dscnt 0x6
	v_add_f64_e32 v[15:16], v[22:23], v[15:16]
	s_wait_dscnt 0x4
	v_add_f64_e32 v[18:19], v[20:21], v[28:29]
	;; [unrolled: 2-line block ×3, first 2 shown]
	v_cmp_gt_i32_e32 vcc_lo, 32, v9
	s_wait_dscnt 0x0
	v_add_f64_e32 v[24:25], v[24:25], v[32:33]
	s_wait_alu 0xfffd
	v_cndmask_b32_e32 v9, v34, v9, vcc_lo
	s_delay_alu instid0(VALU_DEP_1)
	v_lshlrev_b32_e32 v33, 2, v9
	ds_bpermute_b32 v9, v33, v11
	ds_bpermute_b32 v10, v33, v12
	;; [unrolled: 1-line block ×12, first 2 shown]
	s_wait_dscnt 0xa
	v_add_f64_e32 v[9:10], v[11:12], v[9:10]
	s_wait_dscnt 0x8
	v_add_f64_e32 v[22:23], v[13:14], v[22:23]
	;; [unrolled: 2-line block ×5, first 2 shown]
	v_xor_b32_e32 v20, 1, v34
	s_wait_dscnt 0x0
	v_add_f64_e32 v[15:16], v[24:25], v[32:33]
	s_delay_alu instid0(VALU_DEP_2) | instskip(SKIP_3) | instid1(VALU_DEP_2)
	v_cmp_gt_i32_e32 vcc_lo, 32, v20
	s_wait_alu 0xfffd
	v_cndmask_b32_e32 v20, v34, v20, vcc_lo
	v_cmp_eq_u32_e32 vcc_lo, 7, v0
	v_lshlrev_b32_e32 v29, 2, v20
	ds_bpermute_b32 v20, v29, v9
	ds_bpermute_b32 v21, v29, v10
	;; [unrolled: 1-line block ×12, first 2 shown]
	s_and_b32 exec_lo, exec_lo, vcc_lo
	s_cbranch_execz .LBB141_8
; %bb.24:
	s_wait_dscnt 0x8
	v_add_f64_e32 v[22:23], v[22:23], v[32:33]
	s_wait_dscnt 0x4
	v_add_f64_e32 v[18:19], v[18:19], v[30:31]
	;; [unrolled: 2-line block ×3, first 2 shown]
	v_add_f64_e32 v[9:10], v[9:10], v[20:21]
	v_add_f64_e32 v[11:12], v[11:12], v[24:25]
	;; [unrolled: 1-line block ×3, first 2 shown]
	v_cmp_eq_f64_e32 vcc_lo, 0, v[1:2]
	v_cmp_eq_f64_e64 s2, 0, v[3:4]
	s_load_b64 s[0:1], s[0:1], 0x60
	v_lshl_add_u32 v17, v17, 1, v17
	v_mul_f64_e64 v[13:14], v[22:23], -v[7:8]
	v_mul_f64_e32 v[22:23], v[5:6], v[22:23]
	v_mul_f64_e64 v[24:25], v[18:19], -v[7:8]
	v_mul_f64_e32 v[18:19], v[5:6], v[18:19]
	v_mul_f64_e64 v[26:27], v[15:16], -v[7:8]
	v_mul_f64_e32 v[28:29], v[5:6], v[15:16]
	s_and_b32 s2, vcc_lo, s2
	v_fma_f64 v[13:14], v[5:6], v[9:10], v[13:14]
	v_fma_f64 v[15:16], v[7:8], v[9:10], v[22:23]
	;; [unrolled: 1-line block ×6, first 2 shown]
	v_ashrrev_i32_e32 v18, 31, v17
	s_wait_alu 0xfffe
	s_and_saveexec_b32 s3, s2
	s_wait_alu 0xfffe
	s_xor_b32 s2, exec_lo, s3
	s_cbranch_execz .LBB141_26
; %bb.25:
	v_lshlrev_b64_e32 v[0:1], 4, v[17:18]
                                        ; implicit-def: $vgpr17
	s_wait_kmcnt 0x0
	s_delay_alu instid0(VALU_DEP_1) | instskip(SKIP_1) | instid1(VALU_DEP_2)
	v_add_co_u32 v0, vcc_lo, s0, v0
	s_wait_alu 0xfffd
	v_add_co_ci_u32_e64 v1, null, s1, v1, vcc_lo
	s_clause 0x2
	global_store_b128 v[0:1], v[13:16], off
	global_store_b128 v[0:1], v[9:12], off offset:16
	global_store_b128 v[0:1], v[5:8], off offset:32
                                        ; implicit-def: $vgpr3_vgpr4
                                        ; implicit-def: $vgpr13_vgpr14
                                        ; implicit-def: $vgpr9_vgpr10
                                        ; implicit-def: $vgpr5_vgpr6
.LBB141_26:
	s_wait_alu 0xfffe
	s_and_not1_saveexec_b32 s2, s2
	s_cbranch_execz .LBB141_8
; %bb.27:
	v_lshlrev_b64_e32 v[17:18], 4, v[17:18]
	s_wait_kmcnt 0x0
	s_delay_alu instid0(VALU_DEP_1) | instskip(SKIP_1) | instid1(VALU_DEP_2)
	v_add_co_u32 v29, vcc_lo, s0, v17
	s_wait_alu 0xfffd
	v_add_co_ci_u32_e64 v30, null, s1, v18, vcc_lo
	s_clause 0x2
	global_load_b128 v[17:20], v[29:30], off
	global_load_b128 v[21:24], v[29:30], off offset:16
	global_load_b128 v[25:28], v[29:30], off offset:32
	s_wait_loadcnt 0x2
	v_fma_f64 v[13:14], v[1:2], v[17:18], v[13:14]
	v_fma_f64 v[15:16], v[3:4], v[17:18], v[15:16]
	s_wait_loadcnt 0x1
	v_fma_f64 v[9:10], v[1:2], v[21:22], v[9:10]
	v_fma_f64 v[11:12], v[3:4], v[21:22], v[11:12]
	s_wait_loadcnt 0x0
	v_fma_f64 v[17:18], v[1:2], v[25:26], v[5:6]
	v_fma_f64 v[21:22], v[3:4], v[25:26], v[7:8]
	v_fma_f64 v[5:6], -v[3:4], v[19:20], v[13:14]
	v_fma_f64 v[7:8], v[1:2], v[19:20], v[15:16]
	v_fma_f64 v[9:10], -v[3:4], v[23:24], v[9:10]
	v_fma_f64 v[11:12], v[1:2], v[23:24], v[11:12]
	;; [unrolled: 2-line block ×3, first 2 shown]
	s_clause 0x2
	global_store_b128 v[29:30], v[5:8], off
	global_store_b128 v[29:30], v[9:12], off offset:16
	global_store_b128 v[29:30], v[13:16], off offset:32
	s_endpgm
	.section	.rodata,"a",@progbits
	.p2align	6, 0x0
	.amdhsa_kernel _ZN9rocsparseL18bsrxmvn_3x3_kernelILj256ELj8E21rocsparse_complex_numIdElidS2_S2_EEvT3_20rocsparse_direction_NS_24const_host_device_scalarIT1_EES3_PKS3_PKT2_SC_S9_PKT4_PKT5_S7_PT6_21rocsparse_index_base_b
		.amdhsa_group_segment_fixed_size 0
		.amdhsa_private_segment_fixed_size 0
		.amdhsa_kernarg_size 112
		.amdhsa_user_sgpr_count 2
		.amdhsa_user_sgpr_dispatch_ptr 0
		.amdhsa_user_sgpr_queue_ptr 0
		.amdhsa_user_sgpr_kernarg_segment_ptr 1
		.amdhsa_user_sgpr_dispatch_id 0
		.amdhsa_user_sgpr_private_segment_size 0
		.amdhsa_wavefront_size32 1
		.amdhsa_uses_dynamic_stack 0
		.amdhsa_enable_private_segment 0
		.amdhsa_system_sgpr_workgroup_id_x 1
		.amdhsa_system_sgpr_workgroup_id_y 0
		.amdhsa_system_sgpr_workgroup_id_z 0
		.amdhsa_system_sgpr_workgroup_info 0
		.amdhsa_system_vgpr_workitem_id 0
		.amdhsa_next_free_vgpr 64
		.amdhsa_next_free_sgpr 14
		.amdhsa_reserve_vcc 1
		.amdhsa_float_round_mode_32 0
		.amdhsa_float_round_mode_16_64 0
		.amdhsa_float_denorm_mode_32 3
		.amdhsa_float_denorm_mode_16_64 3
		.amdhsa_fp16_overflow 0
		.amdhsa_workgroup_processor_mode 1
		.amdhsa_memory_ordered 1
		.amdhsa_forward_progress 1
		.amdhsa_inst_pref_size 25
		.amdhsa_round_robin_scheduling 0
		.amdhsa_exception_fp_ieee_invalid_op 0
		.amdhsa_exception_fp_denorm_src 0
		.amdhsa_exception_fp_ieee_div_zero 0
		.amdhsa_exception_fp_ieee_overflow 0
		.amdhsa_exception_fp_ieee_underflow 0
		.amdhsa_exception_fp_ieee_inexact 0
		.amdhsa_exception_int_div_zero 0
	.end_amdhsa_kernel
	.section	.text._ZN9rocsparseL18bsrxmvn_3x3_kernelILj256ELj8E21rocsparse_complex_numIdElidS2_S2_EEvT3_20rocsparse_direction_NS_24const_host_device_scalarIT1_EES3_PKS3_PKT2_SC_S9_PKT4_PKT5_S7_PT6_21rocsparse_index_base_b,"axG",@progbits,_ZN9rocsparseL18bsrxmvn_3x3_kernelILj256ELj8E21rocsparse_complex_numIdElidS2_S2_EEvT3_20rocsparse_direction_NS_24const_host_device_scalarIT1_EES3_PKS3_PKT2_SC_S9_PKT4_PKT5_S7_PT6_21rocsparse_index_base_b,comdat
.Lfunc_end141:
	.size	_ZN9rocsparseL18bsrxmvn_3x3_kernelILj256ELj8E21rocsparse_complex_numIdElidS2_S2_EEvT3_20rocsparse_direction_NS_24const_host_device_scalarIT1_EES3_PKS3_PKT2_SC_S9_PKT4_PKT5_S7_PT6_21rocsparse_index_base_b, .Lfunc_end141-_ZN9rocsparseL18bsrxmvn_3x3_kernelILj256ELj8E21rocsparse_complex_numIdElidS2_S2_EEvT3_20rocsparse_direction_NS_24const_host_device_scalarIT1_EES3_PKS3_PKT2_SC_S9_PKT4_PKT5_S7_PT6_21rocsparse_index_base_b
                                        ; -- End function
	.set _ZN9rocsparseL18bsrxmvn_3x3_kernelILj256ELj8E21rocsparse_complex_numIdElidS2_S2_EEvT3_20rocsparse_direction_NS_24const_host_device_scalarIT1_EES3_PKS3_PKT2_SC_S9_PKT4_PKT5_S7_PT6_21rocsparse_index_base_b.num_vgpr, 64
	.set _ZN9rocsparseL18bsrxmvn_3x3_kernelILj256ELj8E21rocsparse_complex_numIdElidS2_S2_EEvT3_20rocsparse_direction_NS_24const_host_device_scalarIT1_EES3_PKS3_PKT2_SC_S9_PKT4_PKT5_S7_PT6_21rocsparse_index_base_b.num_agpr, 0
	.set _ZN9rocsparseL18bsrxmvn_3x3_kernelILj256ELj8E21rocsparse_complex_numIdElidS2_S2_EEvT3_20rocsparse_direction_NS_24const_host_device_scalarIT1_EES3_PKS3_PKT2_SC_S9_PKT4_PKT5_S7_PT6_21rocsparse_index_base_b.numbered_sgpr, 14
	.set _ZN9rocsparseL18bsrxmvn_3x3_kernelILj256ELj8E21rocsparse_complex_numIdElidS2_S2_EEvT3_20rocsparse_direction_NS_24const_host_device_scalarIT1_EES3_PKS3_PKT2_SC_S9_PKT4_PKT5_S7_PT6_21rocsparse_index_base_b.num_named_barrier, 0
	.set _ZN9rocsparseL18bsrxmvn_3x3_kernelILj256ELj8E21rocsparse_complex_numIdElidS2_S2_EEvT3_20rocsparse_direction_NS_24const_host_device_scalarIT1_EES3_PKS3_PKT2_SC_S9_PKT4_PKT5_S7_PT6_21rocsparse_index_base_b.private_seg_size, 0
	.set _ZN9rocsparseL18bsrxmvn_3x3_kernelILj256ELj8E21rocsparse_complex_numIdElidS2_S2_EEvT3_20rocsparse_direction_NS_24const_host_device_scalarIT1_EES3_PKS3_PKT2_SC_S9_PKT4_PKT5_S7_PT6_21rocsparse_index_base_b.uses_vcc, 1
	.set _ZN9rocsparseL18bsrxmvn_3x3_kernelILj256ELj8E21rocsparse_complex_numIdElidS2_S2_EEvT3_20rocsparse_direction_NS_24const_host_device_scalarIT1_EES3_PKS3_PKT2_SC_S9_PKT4_PKT5_S7_PT6_21rocsparse_index_base_b.uses_flat_scratch, 0
	.set _ZN9rocsparseL18bsrxmvn_3x3_kernelILj256ELj8E21rocsparse_complex_numIdElidS2_S2_EEvT3_20rocsparse_direction_NS_24const_host_device_scalarIT1_EES3_PKS3_PKT2_SC_S9_PKT4_PKT5_S7_PT6_21rocsparse_index_base_b.has_dyn_sized_stack, 0
	.set _ZN9rocsparseL18bsrxmvn_3x3_kernelILj256ELj8E21rocsparse_complex_numIdElidS2_S2_EEvT3_20rocsparse_direction_NS_24const_host_device_scalarIT1_EES3_PKS3_PKT2_SC_S9_PKT4_PKT5_S7_PT6_21rocsparse_index_base_b.has_recursion, 0
	.set _ZN9rocsparseL18bsrxmvn_3x3_kernelILj256ELj8E21rocsparse_complex_numIdElidS2_S2_EEvT3_20rocsparse_direction_NS_24const_host_device_scalarIT1_EES3_PKS3_PKT2_SC_S9_PKT4_PKT5_S7_PT6_21rocsparse_index_base_b.has_indirect_call, 0
	.section	.AMDGPU.csdata,"",@progbits
; Kernel info:
; codeLenInByte = 3176
; TotalNumSgprs: 16
; NumVgprs: 64
; ScratchSize: 0
; MemoryBound: 0
; FloatMode: 240
; IeeeMode: 1
; LDSByteSize: 0 bytes/workgroup (compile time only)
; SGPRBlocks: 0
; VGPRBlocks: 7
; NumSGPRsForWavesPerEU: 16
; NumVGPRsForWavesPerEU: 64
; Occupancy: 16
; WaveLimiterHint : 1
; COMPUTE_PGM_RSRC2:SCRATCH_EN: 0
; COMPUTE_PGM_RSRC2:USER_SGPR: 2
; COMPUTE_PGM_RSRC2:TRAP_HANDLER: 0
; COMPUTE_PGM_RSRC2:TGID_X_EN: 1
; COMPUTE_PGM_RSRC2:TGID_Y_EN: 0
; COMPUTE_PGM_RSRC2:TGID_Z_EN: 0
; COMPUTE_PGM_RSRC2:TIDIG_COMP_CNT: 0
	.section	.text._ZN9rocsparseL18bsrxmvn_3x3_kernelILj256ELj16E21rocsparse_complex_numIdElidS2_S2_EEvT3_20rocsparse_direction_NS_24const_host_device_scalarIT1_EES3_PKS3_PKT2_SC_S9_PKT4_PKT5_S7_PT6_21rocsparse_index_base_b,"axG",@progbits,_ZN9rocsparseL18bsrxmvn_3x3_kernelILj256ELj16E21rocsparse_complex_numIdElidS2_S2_EEvT3_20rocsparse_direction_NS_24const_host_device_scalarIT1_EES3_PKS3_PKT2_SC_S9_PKT4_PKT5_S7_PT6_21rocsparse_index_base_b,comdat
	.globl	_ZN9rocsparseL18bsrxmvn_3x3_kernelILj256ELj16E21rocsparse_complex_numIdElidS2_S2_EEvT3_20rocsparse_direction_NS_24const_host_device_scalarIT1_EES3_PKS3_PKT2_SC_S9_PKT4_PKT5_S7_PT6_21rocsparse_index_base_b ; -- Begin function _ZN9rocsparseL18bsrxmvn_3x3_kernelILj256ELj16E21rocsparse_complex_numIdElidS2_S2_EEvT3_20rocsparse_direction_NS_24const_host_device_scalarIT1_EES3_PKS3_PKT2_SC_S9_PKT4_PKT5_S7_PT6_21rocsparse_index_base_b
	.p2align	8
	.type	_ZN9rocsparseL18bsrxmvn_3x3_kernelILj256ELj16E21rocsparse_complex_numIdElidS2_S2_EEvT3_20rocsparse_direction_NS_24const_host_device_scalarIT1_EES3_PKS3_PKT2_SC_S9_PKT4_PKT5_S7_PT6_21rocsparse_index_base_b,@function
_ZN9rocsparseL18bsrxmvn_3x3_kernelILj256ELj16E21rocsparse_complex_numIdElidS2_S2_EEvT3_20rocsparse_direction_NS_24const_host_device_scalarIT1_EES3_PKS3_PKT2_SC_S9_PKT4_PKT5_S7_PT6_21rocsparse_index_base_b: ; @_ZN9rocsparseL18bsrxmvn_3x3_kernelILj256ELj16E21rocsparse_complex_numIdElidS2_S2_EEvT3_20rocsparse_direction_NS_24const_host_device_scalarIT1_EES3_PKS3_PKT2_SC_S9_PKT4_PKT5_S7_PT6_21rocsparse_index_base_b
; %bb.0:
	s_clause 0x1
	s_load_b64 s[12:13], s[0:1], 0x68
	s_load_b64 s[2:3], s[0:1], 0x8
	s_add_nc_u64 s[4:5], s[0:1], 8
	s_load_b64 s[6:7], s[0:1], 0x50
	s_wait_kmcnt 0x0
	s_bitcmp1_b32 s13, 0
	s_cselect_b32 s2, s4, s2
	s_cselect_b32 s3, s5, s3
	s_delay_alu instid0(SALU_CYCLE_1)
	v_dual_mov_b32 v1, s2 :: v_dual_mov_b32 v2, s3
	s_add_nc_u64 s[2:3], s[0:1], 0x50
	s_wait_alu 0xfffe
	s_cselect_b32 s2, s2, s6
	s_cselect_b32 s3, s3, s7
	flat_load_b128 v[5:8], v[1:2]
	s_wait_alu 0xfffe
	v_dual_mov_b32 v1, s2 :: v_dual_mov_b32 v2, s3
	flat_load_b128 v[1:4], v[1:2]
	s_wait_loadcnt_dscnt 0x101
	v_cmp_eq_f64_e32 vcc_lo, 0, v[5:6]
	v_cmp_eq_f64_e64 s2, 0, v[7:8]
	s_and_b32 s4, vcc_lo, s2
	s_mov_b32 s2, -1
	s_and_saveexec_b32 s3, s4
	s_cbranch_execz .LBB142_2
; %bb.1:
	s_wait_loadcnt_dscnt 0x0
	v_cmp_neq_f64_e32 vcc_lo, 1.0, v[1:2]
	v_cmp_neq_f64_e64 s2, 0, v[3:4]
	s_wait_alu 0xfffe
	s_or_b32 s2, vcc_lo, s2
	s_wait_alu 0xfffe
	s_or_not1_b32 s2, s2, exec_lo
.LBB142_2:
	s_wait_alu 0xfffe
	s_or_b32 exec_lo, exec_lo, s3
	s_and_saveexec_b32 s3, s2
	s_cbranch_execz .LBB142_8
; %bb.3:
	s_clause 0x1
	s_load_b64 s[4:5], s[0:1], 0x20
	s_load_b64 s[2:3], s[0:1], 0x0
	v_lshrrev_b32_e32 v9, 4, v0
	s_delay_alu instid0(VALU_DEP_1)
	v_lshl_or_b32 v17, ttmp9, 4, v9
	s_wait_kmcnt 0x0
	s_cmp_lg_u64 s[4:5], 0
	s_cbranch_scc0 .LBB142_9
; %bb.4:
	s_load_b32 s6, s[0:1], 0x18
	s_mov_b32 s7, 0
                                        ; implicit-def: $vgpr9
	s_wait_kmcnt 0x0
	v_cmp_gt_i32_e32 vcc_lo, s6, v17
	s_mov_b32 s6, 0
	s_and_saveexec_b32 s8, vcc_lo
	s_delay_alu instid0(SALU_CYCLE_1)
	s_xor_b32 s8, exec_lo, s8
	s_cbranch_execz .LBB142_6
; %bb.5:
	v_ashrrev_i32_e32 v18, 31, v17
	s_mov_b32 s6, exec_lo
	s_delay_alu instid0(VALU_DEP_1) | instskip(NEXT) | instid1(VALU_DEP_1)
	v_lshlrev_b64_e32 v[9:10], 2, v[17:18]
	v_add_co_u32 v9, vcc_lo, s4, v9
	s_delay_alu instid0(VALU_DEP_1)
	v_add_co_ci_u32_e64 v10, null, s5, v10, vcc_lo
	global_load_b32 v9, v[9:10], off
	s_wait_loadcnt 0x0
	v_subrev_nc_u32_e32 v9, s12, v9
.LBB142_6:
	s_or_b32 exec_lo, exec_lo, s8
	s_delay_alu instid0(SALU_CYCLE_1)
	s_and_b32 vcc_lo, exec_lo, s7
	s_wait_alu 0xfffe
	s_cbranch_vccz .LBB142_10
.LBB142_7:
	v_cmp_gt_i32_e32 vcc_lo, s2, v17
	s_and_not1_b32 s2, s6, exec_lo
	s_and_b32 s4, vcc_lo, exec_lo
	s_wait_alu 0xfffe
	s_or_b32 s6, s2, s4
	s_wait_alu 0xfffe
	s_and_b32 exec_lo, exec_lo, s6
	s_cbranch_execnz .LBB142_11
.LBB142_8:
	s_endpgm
.LBB142_9:
	s_mov_b32 s6, 0
                                        ; implicit-def: $vgpr9
	s_cbranch_execnz .LBB142_7
.LBB142_10:
	v_mov_b32_e32 v17, v9
	s_and_b32 exec_lo, exec_lo, s6
	s_cbranch_execz .LBB142_8
.LBB142_11:
	s_load_b256 s[4:11], s[0:1], 0x28
	s_delay_alu instid0(VALU_DEP_1) | instskip(SKIP_1) | instid1(VALU_DEP_2)
	v_ashrrev_i32_e32 v18, 31, v17
	v_and_b32_e32 v0, 15, v0
	v_lshlrev_b64_e32 v[9:10], 3, v[17:18]
	s_wait_kmcnt 0x0
	s_delay_alu instid0(VALU_DEP_1) | instskip(SKIP_1) | instid1(VALU_DEP_2)
	v_add_co_u32 v11, vcc_lo, s4, v9
	s_wait_alu 0xfffd
	v_add_co_ci_u32_e64 v12, null, s5, v10, vcc_lo
	v_add_co_u32 v9, vcc_lo, s6, v9
	s_wait_alu 0xfffd
	v_add_co_ci_u32_e64 v10, null, s7, v10, vcc_lo
	global_load_b64 v[13:14], v[11:12], off
	v_add_co_u32 v11, vcc_lo, v11, 8
	s_wait_alu 0xfffd
	v_add_co_ci_u32_e64 v12, null, 0, v12, vcc_lo
	s_cmp_eq_u64 s[6:7], 0
	s_load_b64 s[4:5], s[0:1], 0x48
	s_cselect_b32 vcc_lo, -1, 0
	s_cmp_eq_u32 s3, 1
	s_wait_alu 0xfffe
	v_dual_cndmask_b32 v10, v10, v12 :: v_dual_cndmask_b32 v9, v9, v11
	global_load_b64 v[9:10], v[9:10], off
	s_wait_loadcnt 0x1
	v_sub_co_u32 v11, vcc_lo, v13, s12
	s_wait_alu 0xfffd
	v_subrev_co_ci_u32_e64 v12, null, 0, v14, vcc_lo
	s_delay_alu instid0(VALU_DEP_2) | instskip(SKIP_1) | instid1(VALU_DEP_2)
	v_add_co_u32 v22, vcc_lo, v11, v0
	s_wait_alu 0xfffd
	v_add_co_ci_u32_e64 v23, null, 0, v12, vcc_lo
	s_delay_alu instid0(VALU_DEP_2) | instskip(SKIP_4) | instid1(VALU_DEP_3)
	v_mad_co_u64_u32 v[24:25], null, 0x48, v22, s[10:11]
	s_wait_loadcnt 0x0
	v_sub_co_u32 v26, vcc_lo, v9, s12
	s_wait_alu 0xfffd
	v_subrev_co_ci_u32_e64 v27, null, 0, v10, vcc_lo
	v_mov_b32_e32 v11, v25
	s_delay_alu instid0(VALU_DEP_2) | instskip(NEXT) | instid1(VALU_DEP_2)
	v_cmp_lt_i64_e64 s2, v[22:23], v[26:27]
	v_mad_co_u64_u32 v[11:12], null, 0x48, v23, v[11:12]
	s_delay_alu instid0(VALU_DEP_1)
	v_mov_b32_e32 v25, v11
	s_cbranch_scc1 .LBB142_17
; %bb.12:
	v_mov_b32_e32 v9, 0
	v_dual_mov_b32 v13, 0 :: v_dual_mov_b32 v18, 0
	v_dual_mov_b32 v10, 0 :: v_dual_mov_b32 v11, 0
	;; [unrolled: 1-line block ×4, first 2 shown]
	v_mov_b32_e32 v12, 0
	v_dual_mov_b32 v16, 0 :: v_dual_mov_b32 v21, 0
	s_and_saveexec_b32 s6, s2
	s_cbranch_execz .LBB142_16
; %bb.13:
	v_lshlrev_b64_e32 v[11:12], 2, v[22:23]
	v_mov_b32_e32 v9, 0
	v_dual_mov_b32 v10, 0 :: v_dual_mov_b32 v29, v23
	v_dual_mov_b32 v15, 0 :: v_dual_mov_b32 v18, 0
	s_delay_alu instid0(VALU_DEP_4)
	v_add_co_u32 v30, vcc_lo, s8, v11
	s_wait_alu 0xfffd
	v_add_co_ci_u32_e64 v31, null, s9, v12, vcc_lo
	v_mov_b32_e32 v11, 0
	v_dual_mov_b32 v12, 0 :: v_dual_mov_b32 v13, 0
	v_dual_mov_b32 v20, 0 :: v_dual_mov_b32 v33, v25
	v_mov_b32_e32 v28, v22
	v_mov_b32_e32 v14, 0
	v_dual_mov_b32 v16, 0 :: v_dual_mov_b32 v19, 0
	v_dual_mov_b32 v21, 0 :: v_dual_mov_b32 v32, v24
	s_mov_b32 s7, 0
.LBB142_14:                             ; =>This Inner Loop Header: Depth=1
	global_load_b32 v46, v[30:31], off
	s_clause 0x2
	global_load_b128 v[34:37], v[32:33], off offset:48
	global_load_b128 v[38:41], v[32:33], off offset:16
	global_load_b128 v[42:45], v[32:33], off
	v_add_co_u32 v30, s3, v30, 64
	s_wait_alu 0xf1ff
	v_add_co_ci_u32_e64 v31, null, 0, v31, s3
	s_wait_loadcnt 0x3
	v_subrev_nc_u32_e32 v46, s12, v46
	s_delay_alu instid0(VALU_DEP_1) | instskip(NEXT) | instid1(VALU_DEP_1)
	v_lshl_add_u32 v46, v46, 1, v46
	v_ashrrev_i32_e32 v47, 31, v46
	s_delay_alu instid0(VALU_DEP_1) | instskip(SKIP_1) | instid1(VALU_DEP_1)
	v_lshlrev_b64_e32 v[46:47], 4, v[46:47]
	s_wait_kmcnt 0x0
	v_add_co_u32 v58, vcc_lo, s4, v46
	s_wait_alu 0xfffd
	s_delay_alu instid0(VALU_DEP_2)
	v_add_co_ci_u32_e64 v59, null, s5, v47, vcc_lo
	v_add_co_u32 v28, vcc_lo, v28, 16
	s_wait_alu 0xfffd
	v_add_co_ci_u32_e64 v29, null, 0, v29, vcc_lo
	s_clause 0x1
	global_load_b128 v[46:49], v[58:59], off
	global_load_b128 v[50:53], v[58:59], off offset:16
	s_clause 0x1
	global_load_b128 v[54:57], v[32:33], off offset:32
	global_load_b64 v[62:63], v[32:33], off offset:64
	global_load_b128 v[58:61], v[58:59], off offset:32
	v_add_co_u32 v32, vcc_lo, 0x480, v32
	s_wait_alu 0xfffd
	v_add_co_ci_u32_e64 v33, null, 0, v33, vcc_lo
	v_cmp_ge_i64_e32 vcc_lo, v[28:29], v[26:27]
	s_wait_alu 0xfffe
	s_or_b32 s7, vcc_lo, s7
	s_wait_loadcnt 0x4
	v_fma_f64 v[11:12], v[42:43], v[46:47], v[11:12]
	v_fma_f64 v[9:10], v[46:47], 0, v[9:10]
	;; [unrolled: 1-line block ×12, first 2 shown]
	s_wait_loadcnt 0x3
	v_fma_f64 v[11:12], v[44:45], v[50:51], v[11:12]
	v_fma_f64 v[9:10], v[50:51], 0, v[9:10]
	s_wait_loadcnt 0x2
	v_fma_f64 v[15:16], v[54:55], v[50:51], v[15:16]
	v_fma_f64 v[13:14], v[50:51], 0, v[13:14]
	;; [unrolled: 1-line block ×10, first 2 shown]
	s_wait_loadcnt 0x0
	v_fma_f64 v[11:12], v[38:39], v[58:59], v[11:12]
	v_fma_f64 v[9:10], v[58:59], 0, v[9:10]
	;; [unrolled: 1-line block ×12, first 2 shown]
	s_wait_alu 0xfffe
	s_and_not1_b32 exec_lo, exec_lo, s7
	s_cbranch_execnz .LBB142_14
; %bb.15:
	s_or_b32 exec_lo, exec_lo, s7
.LBB142_16:
	s_wait_alu 0xfffe
	s_or_b32 exec_lo, exec_lo, s6
	s_cbranch_execz .LBB142_18
	s_branch .LBB142_23
.LBB142_17:
                                        ; implicit-def: $vgpr9_vgpr10
                                        ; implicit-def: $vgpr11_vgpr12
                                        ; implicit-def: $vgpr13_vgpr14
                                        ; implicit-def: $vgpr15_vgpr16
                                        ; implicit-def: $vgpr18_vgpr19
                                        ; implicit-def: $vgpr20_vgpr21
.LBB142_18:
	v_mov_b32_e32 v9, 0
	v_dual_mov_b32 v13, 0 :: v_dual_mov_b32 v18, 0
	v_dual_mov_b32 v10, 0 :: v_dual_mov_b32 v11, 0
	;; [unrolled: 1-line block ×4, first 2 shown]
	v_mov_b32_e32 v12, 0
	v_dual_mov_b32 v16, 0 :: v_dual_mov_b32 v21, 0
	s_and_saveexec_b32 s3, s2
	s_cbranch_execz .LBB142_22
; %bb.19:
	v_lshlrev_b64_e32 v[28:29], 2, v[22:23]
	v_mov_b32_e32 v9, 0
	v_dual_mov_b32 v13, 0 :: v_dual_mov_b32 v18, 0
	v_dual_mov_b32 v10, 0 :: v_dual_mov_b32 v11, 0
	s_delay_alu instid0(VALU_DEP_4)
	v_add_co_u32 v28, vcc_lo, s8, v28
	v_dual_mov_b32 v14, 0 :: v_dual_mov_b32 v15, 0
	v_dual_mov_b32 v19, 0 :: v_dual_mov_b32 v20, 0
	v_mov_b32_e32 v12, 0
	v_dual_mov_b32 v16, 0 :: v_dual_mov_b32 v21, 0
	s_wait_alu 0xfffd
	v_add_co_ci_u32_e64 v29, null, s9, v29, vcc_lo
	s_mov_b32 s6, 0
.LBB142_20:                             ; =>This Inner Loop Header: Depth=1
	global_load_b32 v38, v[28:29], off
	s_clause 0x1
	global_load_b128 v[30:33], v[24:25], off offset:16
	global_load_b128 v[34:37], v[24:25], off
	v_add_co_u32 v28, s2, v28, 64
	s_wait_alu 0xf1ff
	v_add_co_ci_u32_e64 v29, null, 0, v29, s2
	s_wait_loadcnt 0x2
	v_subrev_nc_u32_e32 v38, s12, v38
	s_delay_alu instid0(VALU_DEP_1) | instskip(NEXT) | instid1(VALU_DEP_1)
	v_lshl_add_u32 v38, v38, 1, v38
	v_ashrrev_i32_e32 v39, 31, v38
	s_delay_alu instid0(VALU_DEP_1) | instskip(SKIP_1) | instid1(VALU_DEP_1)
	v_lshlrev_b64_e32 v[38:39], 4, v[38:39]
	s_wait_kmcnt 0x0
	v_add_co_u32 v54, vcc_lo, s4, v38
	s_wait_alu 0xfffd
	s_delay_alu instid0(VALU_DEP_2)
	v_add_co_ci_u32_e64 v55, null, s5, v39, vcc_lo
	v_add_co_u32 v22, vcc_lo, v22, 16
	s_wait_alu 0xfffd
	v_add_co_ci_u32_e64 v23, null, 0, v23, vcc_lo
	s_clause 0x1
	global_load_b128 v[38:41], v[54:55], off
	global_load_b128 v[42:45], v[54:55], off offset:16
	s_clause 0x2
	global_load_b128 v[46:49], v[24:25], off offset:32
	global_load_b128 v[50:53], v[24:25], off offset:48
	global_load_b64 v[58:59], v[24:25], off offset:64
	global_load_b128 v[54:57], v[54:55], off offset:32
	v_add_co_u32 v24, vcc_lo, 0x480, v24
	s_wait_alu 0xfffd
	v_add_co_ci_u32_e64 v25, null, 0, v25, vcc_lo
	v_cmp_ge_i64_e32 vcc_lo, v[22:23], v[26:27]
	s_wait_alu 0xfffe
	s_or_b32 s6, vcc_lo, s6
	s_wait_loadcnt 0x5
	v_fma_f64 v[11:12], v[34:35], v[38:39], v[11:12]
	v_fma_f64 v[9:10], v[38:39], 0, v[9:10]
	;; [unrolled: 1-line block ×12, first 2 shown]
	s_wait_loadcnt 0x4
	v_fma_f64 v[11:12], v[32:33], v[42:43], v[11:12]
	v_fma_f64 v[9:10], v[42:43], 0, v[9:10]
	s_wait_loadcnt 0x3
	v_fma_f64 v[15:16], v[46:47], v[42:43], v[15:16]
	v_fma_f64 v[13:14], v[42:43], 0, v[13:14]
	;; [unrolled: 1-line block ×10, first 2 shown]
	s_wait_loadcnt 0x0
	v_fma_f64 v[11:12], v[50:51], v[54:55], v[11:12]
	v_fma_f64 v[9:10], v[54:55], 0, v[9:10]
	;; [unrolled: 1-line block ×12, first 2 shown]
	s_wait_alu 0xfffe
	s_and_not1_b32 exec_lo, exec_lo, s6
	s_cbranch_execnz .LBB142_20
; %bb.21:
	s_or_b32 exec_lo, exec_lo, s6
.LBB142_22:
	s_wait_alu 0xfffe
	s_or_b32 exec_lo, exec_lo, s3
.LBB142_23:
	v_mbcnt_lo_u32_b32 v34, -1, 0
	s_delay_alu instid0(VALU_DEP_1) | instskip(NEXT) | instid1(VALU_DEP_1)
	v_xor_b32_e32 v22, 8, v34
	v_cmp_gt_i32_e32 vcc_lo, 32, v22
	s_wait_alu 0xfffd
	v_cndmask_b32_e32 v22, v34, v22, vcc_lo
	s_delay_alu instid0(VALU_DEP_1)
	v_lshlrev_b32_e32 v33, 2, v22
	ds_bpermute_b32 v22, v33, v11
	ds_bpermute_b32 v23, v33, v12
	;; [unrolled: 1-line block ×12, first 2 shown]
	s_wait_dscnt 0xa
	v_add_f64_e32 v[11:12], v[11:12], v[22:23]
	v_xor_b32_e32 v22, 4, v34
	s_wait_dscnt 0x8
	v_add_f64_e32 v[9:10], v[9:10], v[24:25]
	s_wait_dscnt 0x6
	v_add_f64_e32 v[15:16], v[15:16], v[26:27]
	s_wait_dscnt 0x4
	v_add_f64_e32 v[13:14], v[13:14], v[28:29]
	v_cmp_gt_i32_e32 vcc_lo, 32, v22
	s_wait_dscnt 0x2
	v_add_f64_e32 v[20:21], v[20:21], v[30:31]
	s_wait_dscnt 0x0
	v_add_f64_e32 v[18:19], v[18:19], v[32:33]
	s_wait_alu 0xfffd
	v_cndmask_b32_e32 v22, v34, v22, vcc_lo
	s_delay_alu instid0(VALU_DEP_1)
	v_lshlrev_b32_e32 v33, 2, v22
	ds_bpermute_b32 v22, v33, v11
	ds_bpermute_b32 v23, v33, v12
	;; [unrolled: 1-line block ×12, first 2 shown]
	s_wait_dscnt 0xa
	v_add_f64_e32 v[11:12], v[11:12], v[22:23]
	s_wait_dscnt 0x8
	v_add_f64_e32 v[22:23], v[9:10], v[24:25]
	v_xor_b32_e32 v9, 2, v34
	s_wait_dscnt 0x6
	v_add_f64_e32 v[15:16], v[15:16], v[26:27]
	s_wait_dscnt 0x4
	v_add_f64_e32 v[13:14], v[13:14], v[28:29]
	;; [unrolled: 2-line block ×3, first 2 shown]
	v_cmp_gt_i32_e32 vcc_lo, 32, v9
	s_wait_dscnt 0x0
	v_add_f64_e32 v[24:25], v[18:19], v[32:33]
	s_wait_alu 0xfffd
	v_cndmask_b32_e32 v9, v34, v9, vcc_lo
	s_delay_alu instid0(VALU_DEP_1)
	v_lshlrev_b32_e32 v33, 2, v9
	ds_bpermute_b32 v9, v33, v11
	ds_bpermute_b32 v10, v33, v12
	;; [unrolled: 1-line block ×12, first 2 shown]
	s_wait_dscnt 0xa
	v_add_f64_e32 v[9:10], v[11:12], v[9:10]
	s_wait_dscnt 0x8
	v_add_f64_e32 v[22:23], v[22:23], v[18:19]
	s_wait_dscnt 0x6
	v_add_f64_e32 v[11:12], v[15:16], v[26:27]
	s_wait_dscnt 0x4
	v_add_f64_e32 v[18:19], v[13:14], v[28:29]
	s_wait_dscnt 0x2
	v_add_f64_e32 v[13:14], v[20:21], v[30:31]
	v_xor_b32_e32 v20, 1, v34
	s_wait_dscnt 0x0
	v_add_f64_e32 v[15:16], v[24:25], v[32:33]
	s_delay_alu instid0(VALU_DEP_2) | instskip(SKIP_3) | instid1(VALU_DEP_2)
	v_cmp_gt_i32_e32 vcc_lo, 32, v20
	s_wait_alu 0xfffd
	v_cndmask_b32_e32 v20, v34, v20, vcc_lo
	v_cmp_eq_u32_e32 vcc_lo, 15, v0
	v_lshlrev_b32_e32 v29, 2, v20
	ds_bpermute_b32 v20, v29, v9
	ds_bpermute_b32 v21, v29, v10
	;; [unrolled: 1-line block ×12, first 2 shown]
	s_and_b32 exec_lo, exec_lo, vcc_lo
	s_cbranch_execz .LBB142_8
; %bb.24:
	s_wait_dscnt 0x8
	v_add_f64_e32 v[22:23], v[22:23], v[32:33]
	s_wait_dscnt 0x4
	v_add_f64_e32 v[18:19], v[18:19], v[30:31]
	;; [unrolled: 2-line block ×3, first 2 shown]
	v_add_f64_e32 v[9:10], v[9:10], v[20:21]
	v_add_f64_e32 v[11:12], v[11:12], v[24:25]
	;; [unrolled: 1-line block ×3, first 2 shown]
	v_cmp_eq_f64_e32 vcc_lo, 0, v[1:2]
	v_cmp_eq_f64_e64 s2, 0, v[3:4]
	s_load_b64 s[0:1], s[0:1], 0x60
	v_lshl_add_u32 v17, v17, 1, v17
	v_mul_f64_e64 v[13:14], v[22:23], -v[7:8]
	v_mul_f64_e32 v[22:23], v[5:6], v[22:23]
	v_mul_f64_e64 v[24:25], v[18:19], -v[7:8]
	v_mul_f64_e32 v[18:19], v[5:6], v[18:19]
	;; [unrolled: 2-line block ×3, first 2 shown]
	s_and_b32 s2, vcc_lo, s2
	v_fma_f64 v[13:14], v[5:6], v[9:10], v[13:14]
	v_fma_f64 v[15:16], v[7:8], v[9:10], v[22:23]
	;; [unrolled: 1-line block ×6, first 2 shown]
	v_ashrrev_i32_e32 v18, 31, v17
	s_wait_alu 0xfffe
	s_and_saveexec_b32 s3, s2
	s_wait_alu 0xfffe
	s_xor_b32 s2, exec_lo, s3
	s_cbranch_execz .LBB142_26
; %bb.25:
	v_lshlrev_b64_e32 v[0:1], 4, v[17:18]
                                        ; implicit-def: $vgpr17
	s_wait_kmcnt 0x0
	s_delay_alu instid0(VALU_DEP_1) | instskip(SKIP_1) | instid1(VALU_DEP_2)
	v_add_co_u32 v0, vcc_lo, s0, v0
	s_wait_alu 0xfffd
	v_add_co_ci_u32_e64 v1, null, s1, v1, vcc_lo
	s_clause 0x2
	global_store_b128 v[0:1], v[13:16], off
	global_store_b128 v[0:1], v[9:12], off offset:16
	global_store_b128 v[0:1], v[5:8], off offset:32
                                        ; implicit-def: $vgpr3_vgpr4
                                        ; implicit-def: $vgpr13_vgpr14
                                        ; implicit-def: $vgpr9_vgpr10
                                        ; implicit-def: $vgpr5_vgpr6
.LBB142_26:
	s_wait_alu 0xfffe
	s_and_not1_saveexec_b32 s2, s2
	s_cbranch_execz .LBB142_8
; %bb.27:
	v_lshlrev_b64_e32 v[17:18], 4, v[17:18]
	s_wait_kmcnt 0x0
	s_delay_alu instid0(VALU_DEP_1) | instskip(SKIP_1) | instid1(VALU_DEP_2)
	v_add_co_u32 v29, vcc_lo, s0, v17
	s_wait_alu 0xfffd
	v_add_co_ci_u32_e64 v30, null, s1, v18, vcc_lo
	s_clause 0x2
	global_load_b128 v[17:20], v[29:30], off
	global_load_b128 v[21:24], v[29:30], off offset:16
	global_load_b128 v[25:28], v[29:30], off offset:32
	s_wait_loadcnt 0x2
	v_fma_f64 v[13:14], v[1:2], v[17:18], v[13:14]
	v_fma_f64 v[15:16], v[3:4], v[17:18], v[15:16]
	s_wait_loadcnt 0x1
	v_fma_f64 v[9:10], v[1:2], v[21:22], v[9:10]
	v_fma_f64 v[11:12], v[3:4], v[21:22], v[11:12]
	;; [unrolled: 3-line block ×3, first 2 shown]
	v_fma_f64 v[5:6], -v[3:4], v[19:20], v[13:14]
	v_fma_f64 v[7:8], v[1:2], v[19:20], v[15:16]
	v_fma_f64 v[9:10], -v[3:4], v[23:24], v[9:10]
	v_fma_f64 v[11:12], v[1:2], v[23:24], v[11:12]
	;; [unrolled: 2-line block ×3, first 2 shown]
	s_clause 0x2
	global_store_b128 v[29:30], v[5:8], off
	global_store_b128 v[29:30], v[9:12], off offset:16
	global_store_b128 v[29:30], v[13:16], off offset:32
	s_endpgm
	.section	.rodata,"a",@progbits
	.p2align	6, 0x0
	.amdhsa_kernel _ZN9rocsparseL18bsrxmvn_3x3_kernelILj256ELj16E21rocsparse_complex_numIdElidS2_S2_EEvT3_20rocsparse_direction_NS_24const_host_device_scalarIT1_EES3_PKS3_PKT2_SC_S9_PKT4_PKT5_S7_PT6_21rocsparse_index_base_b
		.amdhsa_group_segment_fixed_size 0
		.amdhsa_private_segment_fixed_size 0
		.amdhsa_kernarg_size 112
		.amdhsa_user_sgpr_count 2
		.amdhsa_user_sgpr_dispatch_ptr 0
		.amdhsa_user_sgpr_queue_ptr 0
		.amdhsa_user_sgpr_kernarg_segment_ptr 1
		.amdhsa_user_sgpr_dispatch_id 0
		.amdhsa_user_sgpr_private_segment_size 0
		.amdhsa_wavefront_size32 1
		.amdhsa_uses_dynamic_stack 0
		.amdhsa_enable_private_segment 0
		.amdhsa_system_sgpr_workgroup_id_x 1
		.amdhsa_system_sgpr_workgroup_id_y 0
		.amdhsa_system_sgpr_workgroup_id_z 0
		.amdhsa_system_sgpr_workgroup_info 0
		.amdhsa_system_vgpr_workitem_id 0
		.amdhsa_next_free_vgpr 64
		.amdhsa_next_free_sgpr 14
		.amdhsa_reserve_vcc 1
		.amdhsa_float_round_mode_32 0
		.amdhsa_float_round_mode_16_64 0
		.amdhsa_float_denorm_mode_32 3
		.amdhsa_float_denorm_mode_16_64 3
		.amdhsa_fp16_overflow 0
		.amdhsa_workgroup_processor_mode 1
		.amdhsa_memory_ordered 1
		.amdhsa_forward_progress 1
		.amdhsa_inst_pref_size 27
		.amdhsa_round_robin_scheduling 0
		.amdhsa_exception_fp_ieee_invalid_op 0
		.amdhsa_exception_fp_denorm_src 0
		.amdhsa_exception_fp_ieee_div_zero 0
		.amdhsa_exception_fp_ieee_overflow 0
		.amdhsa_exception_fp_ieee_underflow 0
		.amdhsa_exception_fp_ieee_inexact 0
		.amdhsa_exception_int_div_zero 0
	.end_amdhsa_kernel
	.section	.text._ZN9rocsparseL18bsrxmvn_3x3_kernelILj256ELj16E21rocsparse_complex_numIdElidS2_S2_EEvT3_20rocsparse_direction_NS_24const_host_device_scalarIT1_EES3_PKS3_PKT2_SC_S9_PKT4_PKT5_S7_PT6_21rocsparse_index_base_b,"axG",@progbits,_ZN9rocsparseL18bsrxmvn_3x3_kernelILj256ELj16E21rocsparse_complex_numIdElidS2_S2_EEvT3_20rocsparse_direction_NS_24const_host_device_scalarIT1_EES3_PKS3_PKT2_SC_S9_PKT4_PKT5_S7_PT6_21rocsparse_index_base_b,comdat
.Lfunc_end142:
	.size	_ZN9rocsparseL18bsrxmvn_3x3_kernelILj256ELj16E21rocsparse_complex_numIdElidS2_S2_EEvT3_20rocsparse_direction_NS_24const_host_device_scalarIT1_EES3_PKS3_PKT2_SC_S9_PKT4_PKT5_S7_PT6_21rocsparse_index_base_b, .Lfunc_end142-_ZN9rocsparseL18bsrxmvn_3x3_kernelILj256ELj16E21rocsparse_complex_numIdElidS2_S2_EEvT3_20rocsparse_direction_NS_24const_host_device_scalarIT1_EES3_PKS3_PKT2_SC_S9_PKT4_PKT5_S7_PT6_21rocsparse_index_base_b
                                        ; -- End function
	.set _ZN9rocsparseL18bsrxmvn_3x3_kernelILj256ELj16E21rocsparse_complex_numIdElidS2_S2_EEvT3_20rocsparse_direction_NS_24const_host_device_scalarIT1_EES3_PKS3_PKT2_SC_S9_PKT4_PKT5_S7_PT6_21rocsparse_index_base_b.num_vgpr, 64
	.set _ZN9rocsparseL18bsrxmvn_3x3_kernelILj256ELj16E21rocsparse_complex_numIdElidS2_S2_EEvT3_20rocsparse_direction_NS_24const_host_device_scalarIT1_EES3_PKS3_PKT2_SC_S9_PKT4_PKT5_S7_PT6_21rocsparse_index_base_b.num_agpr, 0
	.set _ZN9rocsparseL18bsrxmvn_3x3_kernelILj256ELj16E21rocsparse_complex_numIdElidS2_S2_EEvT3_20rocsparse_direction_NS_24const_host_device_scalarIT1_EES3_PKS3_PKT2_SC_S9_PKT4_PKT5_S7_PT6_21rocsparse_index_base_b.numbered_sgpr, 14
	.set _ZN9rocsparseL18bsrxmvn_3x3_kernelILj256ELj16E21rocsparse_complex_numIdElidS2_S2_EEvT3_20rocsparse_direction_NS_24const_host_device_scalarIT1_EES3_PKS3_PKT2_SC_S9_PKT4_PKT5_S7_PT6_21rocsparse_index_base_b.num_named_barrier, 0
	.set _ZN9rocsparseL18bsrxmvn_3x3_kernelILj256ELj16E21rocsparse_complex_numIdElidS2_S2_EEvT3_20rocsparse_direction_NS_24const_host_device_scalarIT1_EES3_PKS3_PKT2_SC_S9_PKT4_PKT5_S7_PT6_21rocsparse_index_base_b.private_seg_size, 0
	.set _ZN9rocsparseL18bsrxmvn_3x3_kernelILj256ELj16E21rocsparse_complex_numIdElidS2_S2_EEvT3_20rocsparse_direction_NS_24const_host_device_scalarIT1_EES3_PKS3_PKT2_SC_S9_PKT4_PKT5_S7_PT6_21rocsparse_index_base_b.uses_vcc, 1
	.set _ZN9rocsparseL18bsrxmvn_3x3_kernelILj256ELj16E21rocsparse_complex_numIdElidS2_S2_EEvT3_20rocsparse_direction_NS_24const_host_device_scalarIT1_EES3_PKS3_PKT2_SC_S9_PKT4_PKT5_S7_PT6_21rocsparse_index_base_b.uses_flat_scratch, 0
	.set _ZN9rocsparseL18bsrxmvn_3x3_kernelILj256ELj16E21rocsparse_complex_numIdElidS2_S2_EEvT3_20rocsparse_direction_NS_24const_host_device_scalarIT1_EES3_PKS3_PKT2_SC_S9_PKT4_PKT5_S7_PT6_21rocsparse_index_base_b.has_dyn_sized_stack, 0
	.set _ZN9rocsparseL18bsrxmvn_3x3_kernelILj256ELj16E21rocsparse_complex_numIdElidS2_S2_EEvT3_20rocsparse_direction_NS_24const_host_device_scalarIT1_EES3_PKS3_PKT2_SC_S9_PKT4_PKT5_S7_PT6_21rocsparse_index_base_b.has_recursion, 0
	.set _ZN9rocsparseL18bsrxmvn_3x3_kernelILj256ELj16E21rocsparse_complex_numIdElidS2_S2_EEvT3_20rocsparse_direction_NS_24const_host_device_scalarIT1_EES3_PKS3_PKT2_SC_S9_PKT4_PKT5_S7_PT6_21rocsparse_index_base_b.has_indirect_call, 0
	.section	.AMDGPU.csdata,"",@progbits
; Kernel info:
; codeLenInByte = 3360
; TotalNumSgprs: 16
; NumVgprs: 64
; ScratchSize: 0
; MemoryBound: 0
; FloatMode: 240
; IeeeMode: 1
; LDSByteSize: 0 bytes/workgroup (compile time only)
; SGPRBlocks: 0
; VGPRBlocks: 7
; NumSGPRsForWavesPerEU: 16
; NumVGPRsForWavesPerEU: 64
; Occupancy: 16
; WaveLimiterHint : 1
; COMPUTE_PGM_RSRC2:SCRATCH_EN: 0
; COMPUTE_PGM_RSRC2:USER_SGPR: 2
; COMPUTE_PGM_RSRC2:TRAP_HANDLER: 0
; COMPUTE_PGM_RSRC2:TGID_X_EN: 1
; COMPUTE_PGM_RSRC2:TGID_Y_EN: 0
; COMPUTE_PGM_RSRC2:TGID_Z_EN: 0
; COMPUTE_PGM_RSRC2:TIDIG_COMP_CNT: 0
	.section	.text._ZN9rocsparseL18bsrxmvn_3x3_kernelILj256ELj32E21rocsparse_complex_numIdElidS2_S2_EEvT3_20rocsparse_direction_NS_24const_host_device_scalarIT1_EES3_PKS3_PKT2_SC_S9_PKT4_PKT5_S7_PT6_21rocsparse_index_base_b,"axG",@progbits,_ZN9rocsparseL18bsrxmvn_3x3_kernelILj256ELj32E21rocsparse_complex_numIdElidS2_S2_EEvT3_20rocsparse_direction_NS_24const_host_device_scalarIT1_EES3_PKS3_PKT2_SC_S9_PKT4_PKT5_S7_PT6_21rocsparse_index_base_b,comdat
	.globl	_ZN9rocsparseL18bsrxmvn_3x3_kernelILj256ELj32E21rocsparse_complex_numIdElidS2_S2_EEvT3_20rocsparse_direction_NS_24const_host_device_scalarIT1_EES3_PKS3_PKT2_SC_S9_PKT4_PKT5_S7_PT6_21rocsparse_index_base_b ; -- Begin function _ZN9rocsparseL18bsrxmvn_3x3_kernelILj256ELj32E21rocsparse_complex_numIdElidS2_S2_EEvT3_20rocsparse_direction_NS_24const_host_device_scalarIT1_EES3_PKS3_PKT2_SC_S9_PKT4_PKT5_S7_PT6_21rocsparse_index_base_b
	.p2align	8
	.type	_ZN9rocsparseL18bsrxmvn_3x3_kernelILj256ELj32E21rocsparse_complex_numIdElidS2_S2_EEvT3_20rocsparse_direction_NS_24const_host_device_scalarIT1_EES3_PKS3_PKT2_SC_S9_PKT4_PKT5_S7_PT6_21rocsparse_index_base_b,@function
_ZN9rocsparseL18bsrxmvn_3x3_kernelILj256ELj32E21rocsparse_complex_numIdElidS2_S2_EEvT3_20rocsparse_direction_NS_24const_host_device_scalarIT1_EES3_PKS3_PKT2_SC_S9_PKT4_PKT5_S7_PT6_21rocsparse_index_base_b: ; @_ZN9rocsparseL18bsrxmvn_3x3_kernelILj256ELj32E21rocsparse_complex_numIdElidS2_S2_EEvT3_20rocsparse_direction_NS_24const_host_device_scalarIT1_EES3_PKS3_PKT2_SC_S9_PKT4_PKT5_S7_PT6_21rocsparse_index_base_b
; %bb.0:
	s_clause 0x1
	s_load_b64 s[12:13], s[0:1], 0x68
	s_load_b64 s[2:3], s[0:1], 0x8
	s_add_nc_u64 s[4:5], s[0:1], 8
	s_load_b64 s[6:7], s[0:1], 0x50
	s_wait_kmcnt 0x0
	s_bitcmp1_b32 s13, 0
	s_cselect_b32 s2, s4, s2
	s_cselect_b32 s3, s5, s3
	s_delay_alu instid0(SALU_CYCLE_1)
	v_dual_mov_b32 v1, s2 :: v_dual_mov_b32 v2, s3
	s_add_nc_u64 s[2:3], s[0:1], 0x50
	s_wait_alu 0xfffe
	s_cselect_b32 s2, s2, s6
	s_cselect_b32 s3, s3, s7
	flat_load_b128 v[5:8], v[1:2]
	s_wait_alu 0xfffe
	v_dual_mov_b32 v1, s2 :: v_dual_mov_b32 v2, s3
	flat_load_b128 v[1:4], v[1:2]
	s_wait_loadcnt_dscnt 0x101
	v_cmp_eq_f64_e32 vcc_lo, 0, v[5:6]
	v_cmp_eq_f64_e64 s2, 0, v[7:8]
	s_and_b32 s4, vcc_lo, s2
	s_mov_b32 s2, -1
	s_and_saveexec_b32 s3, s4
	s_cbranch_execz .LBB143_2
; %bb.1:
	s_wait_loadcnt_dscnt 0x0
	v_cmp_neq_f64_e32 vcc_lo, 1.0, v[1:2]
	v_cmp_neq_f64_e64 s2, 0, v[3:4]
	s_wait_alu 0xfffe
	s_or_b32 s2, vcc_lo, s2
	s_wait_alu 0xfffe
	s_or_not1_b32 s2, s2, exec_lo
.LBB143_2:
	s_wait_alu 0xfffe
	s_or_b32 exec_lo, exec_lo, s3
	s_and_saveexec_b32 s3, s2
	s_cbranch_execz .LBB143_8
; %bb.3:
	s_clause 0x1
	s_load_b64 s[4:5], s[0:1], 0x20
	s_load_b64 s[2:3], s[0:1], 0x0
	v_lshrrev_b32_e32 v9, 5, v0
	s_delay_alu instid0(VALU_DEP_1)
	v_lshl_or_b32 v17, ttmp9, 3, v9
	s_wait_kmcnt 0x0
	s_cmp_lg_u64 s[4:5], 0
	s_cbranch_scc0 .LBB143_9
; %bb.4:
	s_load_b32 s6, s[0:1], 0x18
	s_mov_b32 s7, 0
                                        ; implicit-def: $vgpr9
	s_wait_kmcnt 0x0
	v_cmp_gt_i32_e32 vcc_lo, s6, v17
	s_mov_b32 s6, 0
	s_and_saveexec_b32 s8, vcc_lo
	s_delay_alu instid0(SALU_CYCLE_1)
	s_xor_b32 s8, exec_lo, s8
	s_cbranch_execz .LBB143_6
; %bb.5:
	v_ashrrev_i32_e32 v18, 31, v17
	s_mov_b32 s6, exec_lo
	s_delay_alu instid0(VALU_DEP_1) | instskip(NEXT) | instid1(VALU_DEP_1)
	v_lshlrev_b64_e32 v[9:10], 2, v[17:18]
	v_add_co_u32 v9, vcc_lo, s4, v9
	s_delay_alu instid0(VALU_DEP_1)
	v_add_co_ci_u32_e64 v10, null, s5, v10, vcc_lo
	global_load_b32 v9, v[9:10], off
	s_wait_loadcnt 0x0
	v_subrev_nc_u32_e32 v9, s12, v9
.LBB143_6:
	s_or_b32 exec_lo, exec_lo, s8
	s_delay_alu instid0(SALU_CYCLE_1)
	s_and_b32 vcc_lo, exec_lo, s7
	s_wait_alu 0xfffe
	s_cbranch_vccz .LBB143_10
.LBB143_7:
	v_cmp_gt_i32_e32 vcc_lo, s2, v17
	s_and_not1_b32 s2, s6, exec_lo
	s_and_b32 s4, vcc_lo, exec_lo
	s_wait_alu 0xfffe
	s_or_b32 s6, s2, s4
	s_wait_alu 0xfffe
	s_and_b32 exec_lo, exec_lo, s6
	s_cbranch_execnz .LBB143_11
.LBB143_8:
	s_endpgm
.LBB143_9:
	s_mov_b32 s6, 0
                                        ; implicit-def: $vgpr9
	s_cbranch_execnz .LBB143_7
.LBB143_10:
	v_mov_b32_e32 v17, v9
	s_and_b32 exec_lo, exec_lo, s6
	s_cbranch_execz .LBB143_8
.LBB143_11:
	s_load_b256 s[4:11], s[0:1], 0x28
	s_delay_alu instid0(VALU_DEP_1) | instskip(SKIP_1) | instid1(VALU_DEP_2)
	v_ashrrev_i32_e32 v18, 31, v17
	v_and_b32_e32 v0, 31, v0
	v_lshlrev_b64_e32 v[9:10], 3, v[17:18]
	s_wait_kmcnt 0x0
	s_delay_alu instid0(VALU_DEP_1) | instskip(SKIP_1) | instid1(VALU_DEP_2)
	v_add_co_u32 v11, vcc_lo, s4, v9
	s_wait_alu 0xfffd
	v_add_co_ci_u32_e64 v12, null, s5, v10, vcc_lo
	v_add_co_u32 v9, vcc_lo, s6, v9
	s_wait_alu 0xfffd
	v_add_co_ci_u32_e64 v10, null, s7, v10, vcc_lo
	global_load_b64 v[13:14], v[11:12], off
	v_add_co_u32 v11, vcc_lo, v11, 8
	s_wait_alu 0xfffd
	v_add_co_ci_u32_e64 v12, null, 0, v12, vcc_lo
	s_cmp_eq_u64 s[6:7], 0
	s_load_b64 s[4:5], s[0:1], 0x48
	s_cselect_b32 vcc_lo, -1, 0
	s_cmp_eq_u32 s3, 1
	s_wait_alu 0xfffe
	v_dual_cndmask_b32 v10, v10, v12 :: v_dual_cndmask_b32 v9, v9, v11
	global_load_b64 v[9:10], v[9:10], off
	s_wait_loadcnt 0x1
	v_sub_co_u32 v11, vcc_lo, v13, s12
	s_wait_alu 0xfffd
	v_subrev_co_ci_u32_e64 v12, null, 0, v14, vcc_lo
	s_delay_alu instid0(VALU_DEP_2) | instskip(SKIP_1) | instid1(VALU_DEP_2)
	v_add_co_u32 v22, vcc_lo, v11, v0
	s_wait_alu 0xfffd
	v_add_co_ci_u32_e64 v23, null, 0, v12, vcc_lo
	s_delay_alu instid0(VALU_DEP_2) | instskip(SKIP_4) | instid1(VALU_DEP_3)
	v_mad_co_u64_u32 v[24:25], null, 0x48, v22, s[10:11]
	s_wait_loadcnt 0x0
	v_sub_co_u32 v26, vcc_lo, v9, s12
	s_wait_alu 0xfffd
	v_subrev_co_ci_u32_e64 v27, null, 0, v10, vcc_lo
	v_mov_b32_e32 v11, v25
	s_delay_alu instid0(VALU_DEP_2) | instskip(NEXT) | instid1(VALU_DEP_2)
	v_cmp_lt_i64_e64 s2, v[22:23], v[26:27]
	v_mad_co_u64_u32 v[11:12], null, 0x48, v23, v[11:12]
	s_delay_alu instid0(VALU_DEP_1)
	v_mov_b32_e32 v25, v11
	s_cbranch_scc1 .LBB143_17
; %bb.12:
	v_mov_b32_e32 v9, 0
	v_dual_mov_b32 v13, 0 :: v_dual_mov_b32 v18, 0
	v_dual_mov_b32 v10, 0 :: v_dual_mov_b32 v11, 0
	;; [unrolled: 1-line block ×4, first 2 shown]
	v_mov_b32_e32 v12, 0
	v_dual_mov_b32 v16, 0 :: v_dual_mov_b32 v21, 0
	s_and_saveexec_b32 s6, s2
	s_cbranch_execz .LBB143_16
; %bb.13:
	v_lshlrev_b64_e32 v[11:12], 2, v[22:23]
	v_mov_b32_e32 v9, 0
	v_dual_mov_b32 v10, 0 :: v_dual_mov_b32 v29, v23
	v_dual_mov_b32 v15, 0 :: v_dual_mov_b32 v18, 0
	s_delay_alu instid0(VALU_DEP_4)
	v_add_co_u32 v30, vcc_lo, s8, v11
	s_wait_alu 0xfffd
	v_add_co_ci_u32_e64 v31, null, s9, v12, vcc_lo
	v_mov_b32_e32 v11, 0
	v_dual_mov_b32 v12, 0 :: v_dual_mov_b32 v13, 0
	v_dual_mov_b32 v20, 0 :: v_dual_mov_b32 v33, v25
	v_mov_b32_e32 v28, v22
	v_mov_b32_e32 v14, 0
	v_dual_mov_b32 v16, 0 :: v_dual_mov_b32 v19, 0
	v_dual_mov_b32 v21, 0 :: v_dual_mov_b32 v32, v24
	s_mov_b32 s7, 0
.LBB143_14:                             ; =>This Inner Loop Header: Depth=1
	global_load_b32 v46, v[30:31], off
	s_clause 0x2
	global_load_b128 v[34:37], v[32:33], off offset:48
	global_load_b128 v[38:41], v[32:33], off offset:16
	global_load_b128 v[42:45], v[32:33], off
	v_add_co_u32 v30, s3, 0x80, v30
	s_wait_alu 0xf1ff
	v_add_co_ci_u32_e64 v31, null, 0, v31, s3
	s_wait_loadcnt 0x3
	v_subrev_nc_u32_e32 v46, s12, v46
	s_delay_alu instid0(VALU_DEP_1) | instskip(NEXT) | instid1(VALU_DEP_1)
	v_lshl_add_u32 v46, v46, 1, v46
	v_ashrrev_i32_e32 v47, 31, v46
	s_delay_alu instid0(VALU_DEP_1) | instskip(SKIP_1) | instid1(VALU_DEP_1)
	v_lshlrev_b64_e32 v[46:47], 4, v[46:47]
	s_wait_kmcnt 0x0
	v_add_co_u32 v58, vcc_lo, s4, v46
	s_wait_alu 0xfffd
	s_delay_alu instid0(VALU_DEP_2)
	v_add_co_ci_u32_e64 v59, null, s5, v47, vcc_lo
	v_add_co_u32 v28, vcc_lo, v28, 32
	s_wait_alu 0xfffd
	v_add_co_ci_u32_e64 v29, null, 0, v29, vcc_lo
	s_clause 0x1
	global_load_b128 v[46:49], v[58:59], off
	global_load_b128 v[50:53], v[58:59], off offset:16
	s_clause 0x1
	global_load_b128 v[54:57], v[32:33], off offset:32
	global_load_b64 v[62:63], v[32:33], off offset:64
	global_load_b128 v[58:61], v[58:59], off offset:32
	v_add_co_u32 v32, vcc_lo, 0x900, v32
	s_wait_alu 0xfffd
	v_add_co_ci_u32_e64 v33, null, 0, v33, vcc_lo
	v_cmp_ge_i64_e32 vcc_lo, v[28:29], v[26:27]
	s_wait_alu 0xfffe
	s_or_b32 s7, vcc_lo, s7
	s_wait_loadcnt 0x4
	v_fma_f64 v[11:12], v[42:43], v[46:47], v[11:12]
	v_fma_f64 v[9:10], v[46:47], 0, v[9:10]
	;; [unrolled: 1-line block ×12, first 2 shown]
	s_wait_loadcnt 0x3
	v_fma_f64 v[11:12], v[44:45], v[50:51], v[11:12]
	v_fma_f64 v[9:10], v[50:51], 0, v[9:10]
	s_wait_loadcnt 0x2
	v_fma_f64 v[15:16], v[54:55], v[50:51], v[15:16]
	v_fma_f64 v[13:14], v[50:51], 0, v[13:14]
	;; [unrolled: 1-line block ×10, first 2 shown]
	s_wait_loadcnt 0x0
	v_fma_f64 v[11:12], v[38:39], v[58:59], v[11:12]
	v_fma_f64 v[9:10], v[58:59], 0, v[9:10]
	;; [unrolled: 1-line block ×12, first 2 shown]
	s_wait_alu 0xfffe
	s_and_not1_b32 exec_lo, exec_lo, s7
	s_cbranch_execnz .LBB143_14
; %bb.15:
	s_or_b32 exec_lo, exec_lo, s7
.LBB143_16:
	s_wait_alu 0xfffe
	s_or_b32 exec_lo, exec_lo, s6
	s_cbranch_execz .LBB143_18
	s_branch .LBB143_23
.LBB143_17:
                                        ; implicit-def: $vgpr9_vgpr10
                                        ; implicit-def: $vgpr11_vgpr12
                                        ; implicit-def: $vgpr13_vgpr14
                                        ; implicit-def: $vgpr15_vgpr16
                                        ; implicit-def: $vgpr18_vgpr19
                                        ; implicit-def: $vgpr20_vgpr21
.LBB143_18:
	v_mov_b32_e32 v9, 0
	v_dual_mov_b32 v13, 0 :: v_dual_mov_b32 v18, 0
	v_dual_mov_b32 v10, 0 :: v_dual_mov_b32 v11, 0
	;; [unrolled: 1-line block ×4, first 2 shown]
	v_mov_b32_e32 v12, 0
	v_dual_mov_b32 v16, 0 :: v_dual_mov_b32 v21, 0
	s_and_saveexec_b32 s3, s2
	s_cbranch_execz .LBB143_22
; %bb.19:
	v_lshlrev_b64_e32 v[28:29], 2, v[22:23]
	v_mov_b32_e32 v9, 0
	v_dual_mov_b32 v13, 0 :: v_dual_mov_b32 v18, 0
	v_dual_mov_b32 v10, 0 :: v_dual_mov_b32 v11, 0
	s_delay_alu instid0(VALU_DEP_4)
	v_add_co_u32 v28, vcc_lo, s8, v28
	v_dual_mov_b32 v14, 0 :: v_dual_mov_b32 v15, 0
	v_dual_mov_b32 v19, 0 :: v_dual_mov_b32 v20, 0
	v_mov_b32_e32 v12, 0
	v_dual_mov_b32 v16, 0 :: v_dual_mov_b32 v21, 0
	s_wait_alu 0xfffd
	v_add_co_ci_u32_e64 v29, null, s9, v29, vcc_lo
	s_mov_b32 s6, 0
.LBB143_20:                             ; =>This Inner Loop Header: Depth=1
	global_load_b32 v38, v[28:29], off
	s_clause 0x1
	global_load_b128 v[30:33], v[24:25], off offset:16
	global_load_b128 v[34:37], v[24:25], off
	v_add_co_u32 v28, s2, 0x80, v28
	s_wait_alu 0xf1ff
	v_add_co_ci_u32_e64 v29, null, 0, v29, s2
	s_wait_loadcnt 0x2
	v_subrev_nc_u32_e32 v38, s12, v38
	s_delay_alu instid0(VALU_DEP_1) | instskip(NEXT) | instid1(VALU_DEP_1)
	v_lshl_add_u32 v38, v38, 1, v38
	v_ashrrev_i32_e32 v39, 31, v38
	s_delay_alu instid0(VALU_DEP_1) | instskip(SKIP_1) | instid1(VALU_DEP_1)
	v_lshlrev_b64_e32 v[38:39], 4, v[38:39]
	s_wait_kmcnt 0x0
	v_add_co_u32 v54, vcc_lo, s4, v38
	s_wait_alu 0xfffd
	s_delay_alu instid0(VALU_DEP_2)
	v_add_co_ci_u32_e64 v55, null, s5, v39, vcc_lo
	v_add_co_u32 v22, vcc_lo, v22, 32
	s_wait_alu 0xfffd
	v_add_co_ci_u32_e64 v23, null, 0, v23, vcc_lo
	s_clause 0x1
	global_load_b128 v[38:41], v[54:55], off
	global_load_b128 v[42:45], v[54:55], off offset:16
	s_clause 0x2
	global_load_b128 v[46:49], v[24:25], off offset:32
	global_load_b128 v[50:53], v[24:25], off offset:48
	global_load_b64 v[58:59], v[24:25], off offset:64
	global_load_b128 v[54:57], v[54:55], off offset:32
	v_add_co_u32 v24, vcc_lo, 0x900, v24
	s_wait_alu 0xfffd
	v_add_co_ci_u32_e64 v25, null, 0, v25, vcc_lo
	v_cmp_ge_i64_e32 vcc_lo, v[22:23], v[26:27]
	s_wait_alu 0xfffe
	s_or_b32 s6, vcc_lo, s6
	s_wait_loadcnt 0x5
	v_fma_f64 v[11:12], v[34:35], v[38:39], v[11:12]
	v_fma_f64 v[9:10], v[38:39], 0, v[9:10]
	v_fma_f64 v[15:16], v[36:37], v[38:39], v[15:16]
	v_fma_f64 v[13:14], v[38:39], 0, v[13:14]
	v_fma_f64 v[20:21], v[30:31], v[38:39], v[20:21]
	v_fma_f64 v[18:19], v[38:39], 0, v[18:19]
	v_fma_f64 v[11:12], 0x80000000, v[40:41], v[11:12]
	v_fma_f64 v[9:10], v[34:35], v[40:41], v[9:10]
	v_fma_f64 v[15:16], 0x80000000, v[40:41], v[15:16]
	v_fma_f64 v[13:14], v[36:37], v[40:41], v[13:14]
	v_fma_f64 v[20:21], 0x80000000, v[40:41], v[20:21]
	v_fma_f64 v[18:19], v[30:31], v[40:41], v[18:19]
	s_wait_loadcnt 0x4
	v_fma_f64 v[11:12], v[32:33], v[42:43], v[11:12]
	v_fma_f64 v[9:10], v[42:43], 0, v[9:10]
	s_wait_loadcnt 0x3
	v_fma_f64 v[15:16], v[46:47], v[42:43], v[15:16]
	v_fma_f64 v[13:14], v[42:43], 0, v[13:14]
	;; [unrolled: 1-line block ×10, first 2 shown]
	s_wait_loadcnt 0x0
	v_fma_f64 v[11:12], v[50:51], v[54:55], v[11:12]
	v_fma_f64 v[9:10], v[54:55], 0, v[9:10]
	;; [unrolled: 1-line block ×12, first 2 shown]
	s_wait_alu 0xfffe
	s_and_not1_b32 exec_lo, exec_lo, s6
	s_cbranch_execnz .LBB143_20
; %bb.21:
	s_or_b32 exec_lo, exec_lo, s6
.LBB143_22:
	s_wait_alu 0xfffe
	s_or_b32 exec_lo, exec_lo, s3
.LBB143_23:
	v_mbcnt_lo_u32_b32 v34, -1, 0
	s_delay_alu instid0(VALU_DEP_1) | instskip(NEXT) | instid1(VALU_DEP_1)
	v_xor_b32_e32 v22, 16, v34
	v_cmp_gt_i32_e32 vcc_lo, 32, v22
	s_wait_alu 0xfffd
	v_cndmask_b32_e32 v22, v34, v22, vcc_lo
	s_delay_alu instid0(VALU_DEP_1)
	v_lshlrev_b32_e32 v33, 2, v22
	ds_bpermute_b32 v22, v33, v11
	ds_bpermute_b32 v23, v33, v12
	;; [unrolled: 1-line block ×12, first 2 shown]
	s_wait_dscnt 0xa
	v_add_f64_e32 v[11:12], v[11:12], v[22:23]
	v_xor_b32_e32 v22, 8, v34
	s_wait_dscnt 0x8
	v_add_f64_e32 v[9:10], v[9:10], v[24:25]
	s_wait_dscnt 0x6
	v_add_f64_e32 v[15:16], v[15:16], v[26:27]
	;; [unrolled: 2-line block ×3, first 2 shown]
	v_cmp_gt_i32_e32 vcc_lo, 32, v22
	s_wait_dscnt 0x2
	v_add_f64_e32 v[20:21], v[20:21], v[30:31]
	s_wait_dscnt 0x0
	v_add_f64_e32 v[18:19], v[18:19], v[32:33]
	s_wait_alu 0xfffd
	v_cndmask_b32_e32 v22, v34, v22, vcc_lo
	s_delay_alu instid0(VALU_DEP_1)
	v_lshlrev_b32_e32 v33, 2, v22
	ds_bpermute_b32 v22, v33, v11
	ds_bpermute_b32 v23, v33, v12
	;; [unrolled: 1-line block ×12, first 2 shown]
	s_wait_dscnt 0xa
	v_add_f64_e32 v[11:12], v[11:12], v[22:23]
	v_xor_b32_e32 v22, 4, v34
	s_wait_dscnt 0x8
	v_add_f64_e32 v[9:10], v[9:10], v[24:25]
	s_wait_dscnt 0x6
	v_add_f64_e32 v[15:16], v[15:16], v[26:27]
	;; [unrolled: 2-line block ×3, first 2 shown]
	v_cmp_gt_i32_e32 vcc_lo, 32, v22
	s_wait_dscnt 0x2
	v_add_f64_e32 v[20:21], v[20:21], v[30:31]
	s_wait_dscnt 0x0
	v_add_f64_e32 v[18:19], v[18:19], v[32:33]
	s_wait_alu 0xfffd
	v_cndmask_b32_e32 v22, v34, v22, vcc_lo
	s_delay_alu instid0(VALU_DEP_1)
	v_lshlrev_b32_e32 v33, 2, v22
	ds_bpermute_b32 v22, v33, v11
	ds_bpermute_b32 v23, v33, v12
	;; [unrolled: 1-line block ×12, first 2 shown]
	s_wait_dscnt 0xa
	v_add_f64_e32 v[11:12], v[11:12], v[22:23]
	s_wait_dscnt 0x8
	v_add_f64_e32 v[22:23], v[9:10], v[24:25]
	v_xor_b32_e32 v9, 2, v34
	s_wait_dscnt 0x6
	v_add_f64_e32 v[15:16], v[15:16], v[26:27]
	s_wait_dscnt 0x4
	v_add_f64_e32 v[13:14], v[13:14], v[28:29]
	;; [unrolled: 2-line block ×3, first 2 shown]
	v_cmp_gt_i32_e32 vcc_lo, 32, v9
	s_wait_dscnt 0x0
	v_add_f64_e32 v[24:25], v[18:19], v[32:33]
	s_wait_alu 0xfffd
	v_cndmask_b32_e32 v9, v34, v9, vcc_lo
	s_delay_alu instid0(VALU_DEP_1)
	v_lshlrev_b32_e32 v33, 2, v9
	ds_bpermute_b32 v9, v33, v11
	ds_bpermute_b32 v10, v33, v12
	;; [unrolled: 1-line block ×12, first 2 shown]
	s_wait_dscnt 0xa
	v_add_f64_e32 v[9:10], v[11:12], v[9:10]
	s_wait_dscnt 0x8
	v_add_f64_e32 v[22:23], v[22:23], v[18:19]
	;; [unrolled: 2-line block ×5, first 2 shown]
	v_xor_b32_e32 v20, 1, v34
	s_wait_dscnt 0x0
	v_add_f64_e32 v[15:16], v[24:25], v[32:33]
	s_delay_alu instid0(VALU_DEP_2) | instskip(SKIP_3) | instid1(VALU_DEP_2)
	v_cmp_gt_i32_e32 vcc_lo, 32, v20
	s_wait_alu 0xfffd
	v_cndmask_b32_e32 v20, v34, v20, vcc_lo
	v_cmp_eq_u32_e32 vcc_lo, 31, v0
	v_lshlrev_b32_e32 v29, 2, v20
	ds_bpermute_b32 v20, v29, v9
	ds_bpermute_b32 v21, v29, v10
	;; [unrolled: 1-line block ×12, first 2 shown]
	s_and_b32 exec_lo, exec_lo, vcc_lo
	s_cbranch_execz .LBB143_8
; %bb.24:
	s_wait_dscnt 0x8
	v_add_f64_e32 v[22:23], v[22:23], v[32:33]
	s_wait_dscnt 0x4
	v_add_f64_e32 v[18:19], v[18:19], v[30:31]
	;; [unrolled: 2-line block ×3, first 2 shown]
	v_add_f64_e32 v[9:10], v[9:10], v[20:21]
	v_add_f64_e32 v[11:12], v[11:12], v[24:25]
	;; [unrolled: 1-line block ×3, first 2 shown]
	v_cmp_eq_f64_e32 vcc_lo, 0, v[1:2]
	v_cmp_eq_f64_e64 s2, 0, v[3:4]
	s_load_b64 s[0:1], s[0:1], 0x60
	v_lshl_add_u32 v17, v17, 1, v17
	v_mul_f64_e64 v[13:14], v[22:23], -v[7:8]
	v_mul_f64_e32 v[22:23], v[5:6], v[22:23]
	v_mul_f64_e64 v[24:25], v[18:19], -v[7:8]
	v_mul_f64_e32 v[18:19], v[5:6], v[18:19]
	;; [unrolled: 2-line block ×3, first 2 shown]
	s_and_b32 s2, vcc_lo, s2
	v_fma_f64 v[13:14], v[5:6], v[9:10], v[13:14]
	v_fma_f64 v[15:16], v[7:8], v[9:10], v[22:23]
	;; [unrolled: 1-line block ×6, first 2 shown]
	v_ashrrev_i32_e32 v18, 31, v17
	s_wait_alu 0xfffe
	s_and_saveexec_b32 s3, s2
	s_wait_alu 0xfffe
	s_xor_b32 s2, exec_lo, s3
	s_cbranch_execz .LBB143_26
; %bb.25:
	v_lshlrev_b64_e32 v[0:1], 4, v[17:18]
                                        ; implicit-def: $vgpr17
	s_wait_kmcnt 0x0
	s_delay_alu instid0(VALU_DEP_1) | instskip(SKIP_1) | instid1(VALU_DEP_2)
	v_add_co_u32 v0, vcc_lo, s0, v0
	s_wait_alu 0xfffd
	v_add_co_ci_u32_e64 v1, null, s1, v1, vcc_lo
	s_clause 0x2
	global_store_b128 v[0:1], v[13:16], off
	global_store_b128 v[0:1], v[9:12], off offset:16
	global_store_b128 v[0:1], v[5:8], off offset:32
                                        ; implicit-def: $vgpr3_vgpr4
                                        ; implicit-def: $vgpr13_vgpr14
                                        ; implicit-def: $vgpr9_vgpr10
                                        ; implicit-def: $vgpr5_vgpr6
.LBB143_26:
	s_wait_alu 0xfffe
	s_and_not1_saveexec_b32 s2, s2
	s_cbranch_execz .LBB143_8
; %bb.27:
	v_lshlrev_b64_e32 v[17:18], 4, v[17:18]
	s_wait_kmcnt 0x0
	s_delay_alu instid0(VALU_DEP_1) | instskip(SKIP_1) | instid1(VALU_DEP_2)
	v_add_co_u32 v29, vcc_lo, s0, v17
	s_wait_alu 0xfffd
	v_add_co_ci_u32_e64 v30, null, s1, v18, vcc_lo
	s_clause 0x2
	global_load_b128 v[17:20], v[29:30], off
	global_load_b128 v[21:24], v[29:30], off offset:16
	global_load_b128 v[25:28], v[29:30], off offset:32
	s_wait_loadcnt 0x2
	v_fma_f64 v[13:14], v[1:2], v[17:18], v[13:14]
	v_fma_f64 v[15:16], v[3:4], v[17:18], v[15:16]
	s_wait_loadcnt 0x1
	v_fma_f64 v[9:10], v[1:2], v[21:22], v[9:10]
	v_fma_f64 v[11:12], v[3:4], v[21:22], v[11:12]
	;; [unrolled: 3-line block ×3, first 2 shown]
	v_fma_f64 v[5:6], -v[3:4], v[19:20], v[13:14]
	v_fma_f64 v[7:8], v[1:2], v[19:20], v[15:16]
	v_fma_f64 v[9:10], -v[3:4], v[23:24], v[9:10]
	v_fma_f64 v[11:12], v[1:2], v[23:24], v[11:12]
	;; [unrolled: 2-line block ×3, first 2 shown]
	s_clause 0x2
	global_store_b128 v[29:30], v[5:8], off
	global_store_b128 v[29:30], v[9:12], off offset:16
	global_store_b128 v[29:30], v[13:16], off offset:32
	s_endpgm
	.section	.rodata,"a",@progbits
	.p2align	6, 0x0
	.amdhsa_kernel _ZN9rocsparseL18bsrxmvn_3x3_kernelILj256ELj32E21rocsparse_complex_numIdElidS2_S2_EEvT3_20rocsparse_direction_NS_24const_host_device_scalarIT1_EES3_PKS3_PKT2_SC_S9_PKT4_PKT5_S7_PT6_21rocsparse_index_base_b
		.amdhsa_group_segment_fixed_size 0
		.amdhsa_private_segment_fixed_size 0
		.amdhsa_kernarg_size 112
		.amdhsa_user_sgpr_count 2
		.amdhsa_user_sgpr_dispatch_ptr 0
		.amdhsa_user_sgpr_queue_ptr 0
		.amdhsa_user_sgpr_kernarg_segment_ptr 1
		.amdhsa_user_sgpr_dispatch_id 0
		.amdhsa_user_sgpr_private_segment_size 0
		.amdhsa_wavefront_size32 1
		.amdhsa_uses_dynamic_stack 0
		.amdhsa_enable_private_segment 0
		.amdhsa_system_sgpr_workgroup_id_x 1
		.amdhsa_system_sgpr_workgroup_id_y 0
		.amdhsa_system_sgpr_workgroup_id_z 0
		.amdhsa_system_sgpr_workgroup_info 0
		.amdhsa_system_vgpr_workitem_id 0
		.amdhsa_next_free_vgpr 64
		.amdhsa_next_free_sgpr 14
		.amdhsa_reserve_vcc 1
		.amdhsa_float_round_mode_32 0
		.amdhsa_float_round_mode_16_64 0
		.amdhsa_float_denorm_mode_32 3
		.amdhsa_float_denorm_mode_16_64 3
		.amdhsa_fp16_overflow 0
		.amdhsa_workgroup_processor_mode 1
		.amdhsa_memory_ordered 1
		.amdhsa_forward_progress 1
		.amdhsa_inst_pref_size 28
		.amdhsa_round_robin_scheduling 0
		.amdhsa_exception_fp_ieee_invalid_op 0
		.amdhsa_exception_fp_denorm_src 0
		.amdhsa_exception_fp_ieee_div_zero 0
		.amdhsa_exception_fp_ieee_overflow 0
		.amdhsa_exception_fp_ieee_underflow 0
		.amdhsa_exception_fp_ieee_inexact 0
		.amdhsa_exception_int_div_zero 0
	.end_amdhsa_kernel
	.section	.text._ZN9rocsparseL18bsrxmvn_3x3_kernelILj256ELj32E21rocsparse_complex_numIdElidS2_S2_EEvT3_20rocsparse_direction_NS_24const_host_device_scalarIT1_EES3_PKS3_PKT2_SC_S9_PKT4_PKT5_S7_PT6_21rocsparse_index_base_b,"axG",@progbits,_ZN9rocsparseL18bsrxmvn_3x3_kernelILj256ELj32E21rocsparse_complex_numIdElidS2_S2_EEvT3_20rocsparse_direction_NS_24const_host_device_scalarIT1_EES3_PKS3_PKT2_SC_S9_PKT4_PKT5_S7_PT6_21rocsparse_index_base_b,comdat
.Lfunc_end143:
	.size	_ZN9rocsparseL18bsrxmvn_3x3_kernelILj256ELj32E21rocsparse_complex_numIdElidS2_S2_EEvT3_20rocsparse_direction_NS_24const_host_device_scalarIT1_EES3_PKS3_PKT2_SC_S9_PKT4_PKT5_S7_PT6_21rocsparse_index_base_b, .Lfunc_end143-_ZN9rocsparseL18bsrxmvn_3x3_kernelILj256ELj32E21rocsparse_complex_numIdElidS2_S2_EEvT3_20rocsparse_direction_NS_24const_host_device_scalarIT1_EES3_PKS3_PKT2_SC_S9_PKT4_PKT5_S7_PT6_21rocsparse_index_base_b
                                        ; -- End function
	.set _ZN9rocsparseL18bsrxmvn_3x3_kernelILj256ELj32E21rocsparse_complex_numIdElidS2_S2_EEvT3_20rocsparse_direction_NS_24const_host_device_scalarIT1_EES3_PKS3_PKT2_SC_S9_PKT4_PKT5_S7_PT6_21rocsparse_index_base_b.num_vgpr, 64
	.set _ZN9rocsparseL18bsrxmvn_3x3_kernelILj256ELj32E21rocsparse_complex_numIdElidS2_S2_EEvT3_20rocsparse_direction_NS_24const_host_device_scalarIT1_EES3_PKS3_PKT2_SC_S9_PKT4_PKT5_S7_PT6_21rocsparse_index_base_b.num_agpr, 0
	.set _ZN9rocsparseL18bsrxmvn_3x3_kernelILj256ELj32E21rocsparse_complex_numIdElidS2_S2_EEvT3_20rocsparse_direction_NS_24const_host_device_scalarIT1_EES3_PKS3_PKT2_SC_S9_PKT4_PKT5_S7_PT6_21rocsparse_index_base_b.numbered_sgpr, 14
	.set _ZN9rocsparseL18bsrxmvn_3x3_kernelILj256ELj32E21rocsparse_complex_numIdElidS2_S2_EEvT3_20rocsparse_direction_NS_24const_host_device_scalarIT1_EES3_PKS3_PKT2_SC_S9_PKT4_PKT5_S7_PT6_21rocsparse_index_base_b.num_named_barrier, 0
	.set _ZN9rocsparseL18bsrxmvn_3x3_kernelILj256ELj32E21rocsparse_complex_numIdElidS2_S2_EEvT3_20rocsparse_direction_NS_24const_host_device_scalarIT1_EES3_PKS3_PKT2_SC_S9_PKT4_PKT5_S7_PT6_21rocsparse_index_base_b.private_seg_size, 0
	.set _ZN9rocsparseL18bsrxmvn_3x3_kernelILj256ELj32E21rocsparse_complex_numIdElidS2_S2_EEvT3_20rocsparse_direction_NS_24const_host_device_scalarIT1_EES3_PKS3_PKT2_SC_S9_PKT4_PKT5_S7_PT6_21rocsparse_index_base_b.uses_vcc, 1
	.set _ZN9rocsparseL18bsrxmvn_3x3_kernelILj256ELj32E21rocsparse_complex_numIdElidS2_S2_EEvT3_20rocsparse_direction_NS_24const_host_device_scalarIT1_EES3_PKS3_PKT2_SC_S9_PKT4_PKT5_S7_PT6_21rocsparse_index_base_b.uses_flat_scratch, 0
	.set _ZN9rocsparseL18bsrxmvn_3x3_kernelILj256ELj32E21rocsparse_complex_numIdElidS2_S2_EEvT3_20rocsparse_direction_NS_24const_host_device_scalarIT1_EES3_PKS3_PKT2_SC_S9_PKT4_PKT5_S7_PT6_21rocsparse_index_base_b.has_dyn_sized_stack, 0
	.set _ZN9rocsparseL18bsrxmvn_3x3_kernelILj256ELj32E21rocsparse_complex_numIdElidS2_S2_EEvT3_20rocsparse_direction_NS_24const_host_device_scalarIT1_EES3_PKS3_PKT2_SC_S9_PKT4_PKT5_S7_PT6_21rocsparse_index_base_b.has_recursion, 0
	.set _ZN9rocsparseL18bsrxmvn_3x3_kernelILj256ELj32E21rocsparse_complex_numIdElidS2_S2_EEvT3_20rocsparse_direction_NS_24const_host_device_scalarIT1_EES3_PKS3_PKT2_SC_S9_PKT4_PKT5_S7_PT6_21rocsparse_index_base_b.has_indirect_call, 0
	.section	.AMDGPU.csdata,"",@progbits
; Kernel info:
; codeLenInByte = 3536
; TotalNumSgprs: 16
; NumVgprs: 64
; ScratchSize: 0
; MemoryBound: 0
; FloatMode: 240
; IeeeMode: 1
; LDSByteSize: 0 bytes/workgroup (compile time only)
; SGPRBlocks: 0
; VGPRBlocks: 7
; NumSGPRsForWavesPerEU: 16
; NumVGPRsForWavesPerEU: 64
; Occupancy: 16
; WaveLimiterHint : 1
; COMPUTE_PGM_RSRC2:SCRATCH_EN: 0
; COMPUTE_PGM_RSRC2:USER_SGPR: 2
; COMPUTE_PGM_RSRC2:TRAP_HANDLER: 0
; COMPUTE_PGM_RSRC2:TGID_X_EN: 1
; COMPUTE_PGM_RSRC2:TGID_Y_EN: 0
; COMPUTE_PGM_RSRC2:TGID_Z_EN: 0
; COMPUTE_PGM_RSRC2:TIDIG_COMP_CNT: 0
	.section	.text._ZN9rocsparseL18bsrxmvn_3x3_kernelILj256ELj64E21rocsparse_complex_numIdElidS2_S2_EEvT3_20rocsparse_direction_NS_24const_host_device_scalarIT1_EES3_PKS3_PKT2_SC_S9_PKT4_PKT5_S7_PT6_21rocsparse_index_base_b,"axG",@progbits,_ZN9rocsparseL18bsrxmvn_3x3_kernelILj256ELj64E21rocsparse_complex_numIdElidS2_S2_EEvT3_20rocsparse_direction_NS_24const_host_device_scalarIT1_EES3_PKS3_PKT2_SC_S9_PKT4_PKT5_S7_PT6_21rocsparse_index_base_b,comdat
	.globl	_ZN9rocsparseL18bsrxmvn_3x3_kernelILj256ELj64E21rocsparse_complex_numIdElidS2_S2_EEvT3_20rocsparse_direction_NS_24const_host_device_scalarIT1_EES3_PKS3_PKT2_SC_S9_PKT4_PKT5_S7_PT6_21rocsparse_index_base_b ; -- Begin function _ZN9rocsparseL18bsrxmvn_3x3_kernelILj256ELj64E21rocsparse_complex_numIdElidS2_S2_EEvT3_20rocsparse_direction_NS_24const_host_device_scalarIT1_EES3_PKS3_PKT2_SC_S9_PKT4_PKT5_S7_PT6_21rocsparse_index_base_b
	.p2align	8
	.type	_ZN9rocsparseL18bsrxmvn_3x3_kernelILj256ELj64E21rocsparse_complex_numIdElidS2_S2_EEvT3_20rocsparse_direction_NS_24const_host_device_scalarIT1_EES3_PKS3_PKT2_SC_S9_PKT4_PKT5_S7_PT6_21rocsparse_index_base_b,@function
_ZN9rocsparseL18bsrxmvn_3x3_kernelILj256ELj64E21rocsparse_complex_numIdElidS2_S2_EEvT3_20rocsparse_direction_NS_24const_host_device_scalarIT1_EES3_PKS3_PKT2_SC_S9_PKT4_PKT5_S7_PT6_21rocsparse_index_base_b: ; @_ZN9rocsparseL18bsrxmvn_3x3_kernelILj256ELj64E21rocsparse_complex_numIdElidS2_S2_EEvT3_20rocsparse_direction_NS_24const_host_device_scalarIT1_EES3_PKS3_PKT2_SC_S9_PKT4_PKT5_S7_PT6_21rocsparse_index_base_b
; %bb.0:
	s_clause 0x1
	s_load_b64 s[12:13], s[0:1], 0x68
	s_load_b64 s[2:3], s[0:1], 0x8
	s_add_nc_u64 s[4:5], s[0:1], 8
	s_load_b64 s[6:7], s[0:1], 0x50
	s_wait_kmcnt 0x0
	s_bitcmp1_b32 s13, 0
	s_cselect_b32 s2, s4, s2
	s_cselect_b32 s3, s5, s3
	s_delay_alu instid0(SALU_CYCLE_1)
	v_dual_mov_b32 v1, s2 :: v_dual_mov_b32 v2, s3
	s_add_nc_u64 s[2:3], s[0:1], 0x50
	s_wait_alu 0xfffe
	s_cselect_b32 s2, s2, s6
	s_cselect_b32 s3, s3, s7
	flat_load_b128 v[5:8], v[1:2]
	s_wait_alu 0xfffe
	v_dual_mov_b32 v1, s2 :: v_dual_mov_b32 v2, s3
	flat_load_b128 v[1:4], v[1:2]
	s_wait_loadcnt_dscnt 0x101
	v_cmp_eq_f64_e32 vcc_lo, 0, v[5:6]
	v_cmp_eq_f64_e64 s2, 0, v[7:8]
	s_and_b32 s4, vcc_lo, s2
	s_mov_b32 s2, -1
	s_and_saveexec_b32 s3, s4
	s_cbranch_execz .LBB144_2
; %bb.1:
	s_wait_loadcnt_dscnt 0x0
	v_cmp_neq_f64_e32 vcc_lo, 1.0, v[1:2]
	v_cmp_neq_f64_e64 s2, 0, v[3:4]
	s_wait_alu 0xfffe
	s_or_b32 s2, vcc_lo, s2
	s_wait_alu 0xfffe
	s_or_not1_b32 s2, s2, exec_lo
.LBB144_2:
	s_wait_alu 0xfffe
	s_or_b32 exec_lo, exec_lo, s3
	s_and_saveexec_b32 s3, s2
	s_cbranch_execz .LBB144_8
; %bb.3:
	s_clause 0x1
	s_load_b64 s[4:5], s[0:1], 0x20
	s_load_b64 s[2:3], s[0:1], 0x0
	v_lshrrev_b32_e32 v9, 6, v0
	s_delay_alu instid0(VALU_DEP_1)
	v_lshl_or_b32 v17, ttmp9, 2, v9
	s_wait_kmcnt 0x0
	s_cmp_lg_u64 s[4:5], 0
	s_cbranch_scc0 .LBB144_9
; %bb.4:
	s_load_b32 s6, s[0:1], 0x18
	s_mov_b32 s7, 0
                                        ; implicit-def: $vgpr9
	s_wait_kmcnt 0x0
	v_cmp_gt_i32_e32 vcc_lo, s6, v17
	s_mov_b32 s6, 0
	s_and_saveexec_b32 s8, vcc_lo
	s_delay_alu instid0(SALU_CYCLE_1)
	s_xor_b32 s8, exec_lo, s8
	s_cbranch_execz .LBB144_6
; %bb.5:
	v_ashrrev_i32_e32 v18, 31, v17
	s_mov_b32 s6, exec_lo
	s_delay_alu instid0(VALU_DEP_1) | instskip(NEXT) | instid1(VALU_DEP_1)
	v_lshlrev_b64_e32 v[9:10], 2, v[17:18]
	v_add_co_u32 v9, vcc_lo, s4, v9
	s_delay_alu instid0(VALU_DEP_1)
	v_add_co_ci_u32_e64 v10, null, s5, v10, vcc_lo
	global_load_b32 v9, v[9:10], off
	s_wait_loadcnt 0x0
	v_subrev_nc_u32_e32 v9, s12, v9
.LBB144_6:
	s_or_b32 exec_lo, exec_lo, s8
	s_delay_alu instid0(SALU_CYCLE_1)
	s_and_b32 vcc_lo, exec_lo, s7
	s_wait_alu 0xfffe
	s_cbranch_vccz .LBB144_10
.LBB144_7:
	v_cmp_gt_i32_e32 vcc_lo, s2, v17
	s_and_not1_b32 s2, s6, exec_lo
	s_and_b32 s4, vcc_lo, exec_lo
	s_wait_alu 0xfffe
	s_or_b32 s6, s2, s4
	s_wait_alu 0xfffe
	s_and_b32 exec_lo, exec_lo, s6
	s_cbranch_execnz .LBB144_11
.LBB144_8:
	s_endpgm
.LBB144_9:
	s_mov_b32 s6, 0
                                        ; implicit-def: $vgpr9
	s_cbranch_execnz .LBB144_7
.LBB144_10:
	v_mov_b32_e32 v17, v9
	s_and_b32 exec_lo, exec_lo, s6
	s_cbranch_execz .LBB144_8
.LBB144_11:
	s_load_b256 s[4:11], s[0:1], 0x28
	s_delay_alu instid0(VALU_DEP_1) | instskip(SKIP_1) | instid1(VALU_DEP_2)
	v_ashrrev_i32_e32 v18, 31, v17
	v_and_b32_e32 v0, 63, v0
	v_lshlrev_b64_e32 v[9:10], 3, v[17:18]
	s_wait_kmcnt 0x0
	s_delay_alu instid0(VALU_DEP_1) | instskip(SKIP_1) | instid1(VALU_DEP_2)
	v_add_co_u32 v11, vcc_lo, s4, v9
	s_wait_alu 0xfffd
	v_add_co_ci_u32_e64 v12, null, s5, v10, vcc_lo
	v_add_co_u32 v9, vcc_lo, s6, v9
	s_wait_alu 0xfffd
	v_add_co_ci_u32_e64 v10, null, s7, v10, vcc_lo
	global_load_b64 v[13:14], v[11:12], off
	v_add_co_u32 v11, vcc_lo, v11, 8
	s_wait_alu 0xfffd
	v_add_co_ci_u32_e64 v12, null, 0, v12, vcc_lo
	s_cmp_eq_u64 s[6:7], 0
	s_load_b64 s[4:5], s[0:1], 0x48
	s_cselect_b32 vcc_lo, -1, 0
	s_cmp_eq_u32 s3, 1
	s_wait_alu 0xfffe
	v_dual_cndmask_b32 v10, v10, v12 :: v_dual_cndmask_b32 v9, v9, v11
	global_load_b64 v[9:10], v[9:10], off
	s_wait_loadcnt 0x1
	v_sub_co_u32 v11, vcc_lo, v13, s12
	s_wait_alu 0xfffd
	v_subrev_co_ci_u32_e64 v12, null, 0, v14, vcc_lo
	s_delay_alu instid0(VALU_DEP_2) | instskip(SKIP_1) | instid1(VALU_DEP_2)
	v_add_co_u32 v22, vcc_lo, v11, v0
	s_wait_alu 0xfffd
	v_add_co_ci_u32_e64 v23, null, 0, v12, vcc_lo
	s_delay_alu instid0(VALU_DEP_2) | instskip(SKIP_4) | instid1(VALU_DEP_3)
	v_mad_co_u64_u32 v[24:25], null, 0x48, v22, s[10:11]
	s_wait_loadcnt 0x0
	v_sub_co_u32 v26, vcc_lo, v9, s12
	s_wait_alu 0xfffd
	v_subrev_co_ci_u32_e64 v27, null, 0, v10, vcc_lo
	v_mov_b32_e32 v11, v25
	s_delay_alu instid0(VALU_DEP_2) | instskip(NEXT) | instid1(VALU_DEP_2)
	v_cmp_lt_i64_e64 s2, v[22:23], v[26:27]
	v_mad_co_u64_u32 v[11:12], null, 0x48, v23, v[11:12]
	s_delay_alu instid0(VALU_DEP_1)
	v_mov_b32_e32 v25, v11
	s_cbranch_scc1 .LBB144_17
; %bb.12:
	v_mov_b32_e32 v9, 0
	v_dual_mov_b32 v13, 0 :: v_dual_mov_b32 v18, 0
	v_dual_mov_b32 v10, 0 :: v_dual_mov_b32 v11, 0
	;; [unrolled: 1-line block ×4, first 2 shown]
	v_mov_b32_e32 v12, 0
	v_dual_mov_b32 v16, 0 :: v_dual_mov_b32 v21, 0
	s_and_saveexec_b32 s6, s2
	s_cbranch_execz .LBB144_16
; %bb.13:
	v_lshlrev_b64_e32 v[11:12], 2, v[22:23]
	v_mov_b32_e32 v9, 0
	v_dual_mov_b32 v10, 0 :: v_dual_mov_b32 v29, v23
	v_dual_mov_b32 v15, 0 :: v_dual_mov_b32 v18, 0
	s_delay_alu instid0(VALU_DEP_4)
	v_add_co_u32 v30, vcc_lo, s8, v11
	s_wait_alu 0xfffd
	v_add_co_ci_u32_e64 v31, null, s9, v12, vcc_lo
	v_mov_b32_e32 v11, 0
	v_dual_mov_b32 v12, 0 :: v_dual_mov_b32 v13, 0
	v_dual_mov_b32 v20, 0 :: v_dual_mov_b32 v33, v25
	v_mov_b32_e32 v28, v22
	v_mov_b32_e32 v14, 0
	v_dual_mov_b32 v16, 0 :: v_dual_mov_b32 v19, 0
	v_dual_mov_b32 v21, 0 :: v_dual_mov_b32 v32, v24
	s_mov_b32 s7, 0
.LBB144_14:                             ; =>This Inner Loop Header: Depth=1
	global_load_b32 v46, v[30:31], off
	s_clause 0x2
	global_load_b128 v[34:37], v[32:33], off offset:48
	global_load_b128 v[38:41], v[32:33], off offset:16
	global_load_b128 v[42:45], v[32:33], off
	v_add_co_u32 v30, s3, 0x100, v30
	s_wait_alu 0xf1ff
	v_add_co_ci_u32_e64 v31, null, 0, v31, s3
	s_wait_loadcnt 0x3
	v_subrev_nc_u32_e32 v46, s12, v46
	s_delay_alu instid0(VALU_DEP_1) | instskip(NEXT) | instid1(VALU_DEP_1)
	v_lshl_add_u32 v46, v46, 1, v46
	v_ashrrev_i32_e32 v47, 31, v46
	s_delay_alu instid0(VALU_DEP_1) | instskip(SKIP_1) | instid1(VALU_DEP_1)
	v_lshlrev_b64_e32 v[46:47], 4, v[46:47]
	s_wait_kmcnt 0x0
	v_add_co_u32 v58, vcc_lo, s4, v46
	s_wait_alu 0xfffd
	s_delay_alu instid0(VALU_DEP_2)
	v_add_co_ci_u32_e64 v59, null, s5, v47, vcc_lo
	v_add_co_u32 v28, vcc_lo, v28, 64
	s_wait_alu 0xfffd
	v_add_co_ci_u32_e64 v29, null, 0, v29, vcc_lo
	s_clause 0x1
	global_load_b128 v[46:49], v[58:59], off
	global_load_b128 v[50:53], v[58:59], off offset:16
	s_clause 0x1
	global_load_b128 v[54:57], v[32:33], off offset:32
	global_load_b64 v[62:63], v[32:33], off offset:64
	global_load_b128 v[58:61], v[58:59], off offset:32
	v_add_co_u32 v32, vcc_lo, 0x1200, v32
	s_wait_alu 0xfffd
	v_add_co_ci_u32_e64 v33, null, 0, v33, vcc_lo
	v_cmp_ge_i64_e32 vcc_lo, v[28:29], v[26:27]
	s_wait_alu 0xfffe
	s_or_b32 s7, vcc_lo, s7
	s_wait_loadcnt 0x4
	v_fma_f64 v[11:12], v[42:43], v[46:47], v[11:12]
	v_fma_f64 v[9:10], v[46:47], 0, v[9:10]
	;; [unrolled: 1-line block ×12, first 2 shown]
	s_wait_loadcnt 0x3
	v_fma_f64 v[11:12], v[44:45], v[50:51], v[11:12]
	v_fma_f64 v[9:10], v[50:51], 0, v[9:10]
	s_wait_loadcnt 0x2
	v_fma_f64 v[15:16], v[54:55], v[50:51], v[15:16]
	v_fma_f64 v[13:14], v[50:51], 0, v[13:14]
	;; [unrolled: 1-line block ×10, first 2 shown]
	s_wait_loadcnt 0x0
	v_fma_f64 v[11:12], v[38:39], v[58:59], v[11:12]
	v_fma_f64 v[9:10], v[58:59], 0, v[9:10]
	;; [unrolled: 1-line block ×12, first 2 shown]
	s_wait_alu 0xfffe
	s_and_not1_b32 exec_lo, exec_lo, s7
	s_cbranch_execnz .LBB144_14
; %bb.15:
	s_or_b32 exec_lo, exec_lo, s7
.LBB144_16:
	s_wait_alu 0xfffe
	s_or_b32 exec_lo, exec_lo, s6
	s_cbranch_execz .LBB144_18
	s_branch .LBB144_23
.LBB144_17:
                                        ; implicit-def: $vgpr9_vgpr10
                                        ; implicit-def: $vgpr11_vgpr12
                                        ; implicit-def: $vgpr13_vgpr14
                                        ; implicit-def: $vgpr15_vgpr16
                                        ; implicit-def: $vgpr18_vgpr19
                                        ; implicit-def: $vgpr20_vgpr21
.LBB144_18:
	v_mov_b32_e32 v9, 0
	v_dual_mov_b32 v13, 0 :: v_dual_mov_b32 v18, 0
	v_dual_mov_b32 v10, 0 :: v_dual_mov_b32 v11, 0
	;; [unrolled: 1-line block ×4, first 2 shown]
	v_mov_b32_e32 v12, 0
	v_dual_mov_b32 v16, 0 :: v_dual_mov_b32 v21, 0
	s_and_saveexec_b32 s3, s2
	s_cbranch_execz .LBB144_22
; %bb.19:
	v_lshlrev_b64_e32 v[28:29], 2, v[22:23]
	v_mov_b32_e32 v9, 0
	v_dual_mov_b32 v13, 0 :: v_dual_mov_b32 v18, 0
	v_dual_mov_b32 v10, 0 :: v_dual_mov_b32 v11, 0
	s_delay_alu instid0(VALU_DEP_4)
	v_add_co_u32 v28, vcc_lo, s8, v28
	v_dual_mov_b32 v14, 0 :: v_dual_mov_b32 v15, 0
	v_dual_mov_b32 v19, 0 :: v_dual_mov_b32 v20, 0
	v_mov_b32_e32 v12, 0
	v_dual_mov_b32 v16, 0 :: v_dual_mov_b32 v21, 0
	s_wait_alu 0xfffd
	v_add_co_ci_u32_e64 v29, null, s9, v29, vcc_lo
	s_mov_b32 s6, 0
.LBB144_20:                             ; =>This Inner Loop Header: Depth=1
	global_load_b32 v38, v[28:29], off
	s_clause 0x1
	global_load_b128 v[30:33], v[24:25], off offset:16
	global_load_b128 v[34:37], v[24:25], off
	v_add_co_u32 v28, s2, 0x100, v28
	s_wait_alu 0xf1ff
	v_add_co_ci_u32_e64 v29, null, 0, v29, s2
	s_wait_loadcnt 0x2
	v_subrev_nc_u32_e32 v38, s12, v38
	s_delay_alu instid0(VALU_DEP_1) | instskip(NEXT) | instid1(VALU_DEP_1)
	v_lshl_add_u32 v38, v38, 1, v38
	v_ashrrev_i32_e32 v39, 31, v38
	s_delay_alu instid0(VALU_DEP_1) | instskip(SKIP_1) | instid1(VALU_DEP_1)
	v_lshlrev_b64_e32 v[38:39], 4, v[38:39]
	s_wait_kmcnt 0x0
	v_add_co_u32 v54, vcc_lo, s4, v38
	s_wait_alu 0xfffd
	s_delay_alu instid0(VALU_DEP_2)
	v_add_co_ci_u32_e64 v55, null, s5, v39, vcc_lo
	v_add_co_u32 v22, vcc_lo, v22, 64
	s_wait_alu 0xfffd
	v_add_co_ci_u32_e64 v23, null, 0, v23, vcc_lo
	s_clause 0x1
	global_load_b128 v[38:41], v[54:55], off
	global_load_b128 v[42:45], v[54:55], off offset:16
	s_clause 0x2
	global_load_b128 v[46:49], v[24:25], off offset:32
	global_load_b128 v[50:53], v[24:25], off offset:48
	global_load_b64 v[58:59], v[24:25], off offset:64
	global_load_b128 v[54:57], v[54:55], off offset:32
	v_add_co_u32 v24, vcc_lo, 0x1200, v24
	s_wait_alu 0xfffd
	v_add_co_ci_u32_e64 v25, null, 0, v25, vcc_lo
	v_cmp_ge_i64_e32 vcc_lo, v[22:23], v[26:27]
	s_wait_alu 0xfffe
	s_or_b32 s6, vcc_lo, s6
	s_wait_loadcnt 0x5
	v_fma_f64 v[11:12], v[34:35], v[38:39], v[11:12]
	v_fma_f64 v[9:10], v[38:39], 0, v[9:10]
	;; [unrolled: 1-line block ×12, first 2 shown]
	s_wait_loadcnt 0x4
	v_fma_f64 v[11:12], v[32:33], v[42:43], v[11:12]
	v_fma_f64 v[9:10], v[42:43], 0, v[9:10]
	s_wait_loadcnt 0x3
	v_fma_f64 v[15:16], v[46:47], v[42:43], v[15:16]
	v_fma_f64 v[13:14], v[42:43], 0, v[13:14]
	;; [unrolled: 1-line block ×10, first 2 shown]
	s_wait_loadcnt 0x0
	v_fma_f64 v[11:12], v[50:51], v[54:55], v[11:12]
	v_fma_f64 v[9:10], v[54:55], 0, v[9:10]
	;; [unrolled: 1-line block ×12, first 2 shown]
	s_wait_alu 0xfffe
	s_and_not1_b32 exec_lo, exec_lo, s6
	s_cbranch_execnz .LBB144_20
; %bb.21:
	s_or_b32 exec_lo, exec_lo, s6
.LBB144_22:
	s_wait_alu 0xfffe
	s_or_b32 exec_lo, exec_lo, s3
.LBB144_23:
	v_mbcnt_lo_u32_b32 v34, -1, 0
	s_delay_alu instid0(VALU_DEP_1) | instskip(NEXT) | instid1(VALU_DEP_1)
	v_or_b32_e32 v22, 32, v34
	v_cmp_gt_i32_e32 vcc_lo, 32, v22
	s_wait_alu 0xfffd
	v_cndmask_b32_e32 v22, v34, v22, vcc_lo
	s_delay_alu instid0(VALU_DEP_1)
	v_lshlrev_b32_e32 v33, 2, v22
	ds_bpermute_b32 v22, v33, v11
	ds_bpermute_b32 v23, v33, v12
	ds_bpermute_b32 v24, v33, v9
	ds_bpermute_b32 v25, v33, v10
	ds_bpermute_b32 v26, v33, v15
	ds_bpermute_b32 v27, v33, v16
	ds_bpermute_b32 v28, v33, v13
	ds_bpermute_b32 v29, v33, v14
	ds_bpermute_b32 v30, v33, v20
	ds_bpermute_b32 v31, v33, v21
	ds_bpermute_b32 v32, v33, v18
	ds_bpermute_b32 v33, v33, v19
	s_wait_dscnt 0xa
	v_add_f64_e32 v[11:12], v[11:12], v[22:23]
	v_xor_b32_e32 v22, 16, v34
	s_wait_dscnt 0x8
	v_add_f64_e32 v[9:10], v[9:10], v[24:25]
	s_wait_dscnt 0x6
	v_add_f64_e32 v[15:16], v[15:16], v[26:27]
	s_wait_dscnt 0x4
	v_add_f64_e32 v[13:14], v[13:14], v[28:29]
	v_cmp_gt_i32_e32 vcc_lo, 32, v22
	s_wait_dscnt 0x2
	v_add_f64_e32 v[20:21], v[20:21], v[30:31]
	s_wait_dscnt 0x0
	v_add_f64_e32 v[18:19], v[18:19], v[32:33]
	s_wait_alu 0xfffd
	v_cndmask_b32_e32 v22, v34, v22, vcc_lo
	s_delay_alu instid0(VALU_DEP_1)
	v_lshlrev_b32_e32 v33, 2, v22
	ds_bpermute_b32 v22, v33, v11
	ds_bpermute_b32 v23, v33, v12
	ds_bpermute_b32 v24, v33, v9
	ds_bpermute_b32 v25, v33, v10
	ds_bpermute_b32 v26, v33, v15
	ds_bpermute_b32 v27, v33, v16
	ds_bpermute_b32 v28, v33, v13
	ds_bpermute_b32 v29, v33, v14
	ds_bpermute_b32 v30, v33, v20
	ds_bpermute_b32 v31, v33, v21
	ds_bpermute_b32 v32, v33, v18
	ds_bpermute_b32 v33, v33, v19
	s_wait_dscnt 0xa
	v_add_f64_e32 v[11:12], v[11:12], v[22:23]
	v_xor_b32_e32 v22, 8, v34
	s_wait_dscnt 0x8
	v_add_f64_e32 v[9:10], v[9:10], v[24:25]
	s_wait_dscnt 0x6
	v_add_f64_e32 v[15:16], v[15:16], v[26:27]
	s_wait_dscnt 0x4
	v_add_f64_e32 v[13:14], v[13:14], v[28:29]
	v_cmp_gt_i32_e32 vcc_lo, 32, v22
	s_wait_dscnt 0x2
	v_add_f64_e32 v[20:21], v[20:21], v[30:31]
	s_wait_dscnt 0x0
	v_add_f64_e32 v[18:19], v[18:19], v[32:33]
	;; [unrolled: 30-line block ×3, first 2 shown]
	s_wait_alu 0xfffd
	v_cndmask_b32_e32 v22, v34, v22, vcc_lo
	s_delay_alu instid0(VALU_DEP_1)
	v_lshlrev_b32_e32 v33, 2, v22
	ds_bpermute_b32 v22, v33, v11
	ds_bpermute_b32 v23, v33, v12
	;; [unrolled: 1-line block ×12, first 2 shown]
	s_wait_dscnt 0xa
	v_add_f64_e32 v[11:12], v[11:12], v[22:23]
	s_wait_dscnt 0x8
	v_add_f64_e32 v[22:23], v[9:10], v[24:25]
	v_xor_b32_e32 v9, 2, v34
	s_wait_dscnt 0x6
	v_add_f64_e32 v[15:16], v[15:16], v[26:27]
	s_wait_dscnt 0x4
	v_add_f64_e32 v[13:14], v[13:14], v[28:29]
	;; [unrolled: 2-line block ×3, first 2 shown]
	v_cmp_gt_i32_e32 vcc_lo, 32, v9
	s_wait_dscnt 0x0
	v_add_f64_e32 v[24:25], v[18:19], v[32:33]
	s_wait_alu 0xfffd
	v_cndmask_b32_e32 v9, v34, v9, vcc_lo
	s_delay_alu instid0(VALU_DEP_1)
	v_lshlrev_b32_e32 v33, 2, v9
	ds_bpermute_b32 v9, v33, v11
	ds_bpermute_b32 v10, v33, v12
	;; [unrolled: 1-line block ×12, first 2 shown]
	s_wait_dscnt 0xa
	v_add_f64_e32 v[9:10], v[11:12], v[9:10]
	s_wait_dscnt 0x8
	v_add_f64_e32 v[22:23], v[22:23], v[18:19]
	;; [unrolled: 2-line block ×5, first 2 shown]
	v_xor_b32_e32 v20, 1, v34
	s_wait_dscnt 0x0
	v_add_f64_e32 v[15:16], v[24:25], v[32:33]
	s_delay_alu instid0(VALU_DEP_2) | instskip(SKIP_3) | instid1(VALU_DEP_2)
	v_cmp_gt_i32_e32 vcc_lo, 32, v20
	s_wait_alu 0xfffd
	v_cndmask_b32_e32 v20, v34, v20, vcc_lo
	v_cmp_eq_u32_e32 vcc_lo, 63, v0
	v_lshlrev_b32_e32 v29, 2, v20
	ds_bpermute_b32 v20, v29, v9
	ds_bpermute_b32 v21, v29, v10
	ds_bpermute_b32 v32, v29, v22
	ds_bpermute_b32 v33, v29, v23
	ds_bpermute_b32 v24, v29, v11
	ds_bpermute_b32 v25, v29, v12
	ds_bpermute_b32 v30, v29, v18
	ds_bpermute_b32 v31, v29, v19
	ds_bpermute_b32 v26, v29, v13
	ds_bpermute_b32 v27, v29, v14
	ds_bpermute_b32 v28, v29, v15
	ds_bpermute_b32 v29, v29, v16
	s_and_b32 exec_lo, exec_lo, vcc_lo
	s_cbranch_execz .LBB144_8
; %bb.24:
	s_wait_dscnt 0x8
	v_add_f64_e32 v[22:23], v[22:23], v[32:33]
	s_wait_dscnt 0x4
	v_add_f64_e32 v[18:19], v[18:19], v[30:31]
	;; [unrolled: 2-line block ×3, first 2 shown]
	v_add_f64_e32 v[9:10], v[9:10], v[20:21]
	v_add_f64_e32 v[11:12], v[11:12], v[24:25]
	;; [unrolled: 1-line block ×3, first 2 shown]
	v_cmp_eq_f64_e32 vcc_lo, 0, v[1:2]
	v_cmp_eq_f64_e64 s2, 0, v[3:4]
	s_load_b64 s[0:1], s[0:1], 0x60
	v_lshl_add_u32 v17, v17, 1, v17
	v_mul_f64_e64 v[13:14], v[22:23], -v[7:8]
	v_mul_f64_e32 v[22:23], v[5:6], v[22:23]
	v_mul_f64_e64 v[24:25], v[18:19], -v[7:8]
	v_mul_f64_e32 v[18:19], v[5:6], v[18:19]
	;; [unrolled: 2-line block ×3, first 2 shown]
	s_and_b32 s2, vcc_lo, s2
	v_fma_f64 v[13:14], v[5:6], v[9:10], v[13:14]
	v_fma_f64 v[15:16], v[7:8], v[9:10], v[22:23]
	v_fma_f64 v[9:10], v[5:6], v[11:12], v[24:25]
	v_fma_f64 v[11:12], v[7:8], v[11:12], v[18:19]
	v_fma_f64 v[5:6], v[5:6], v[20:21], v[26:27]
	v_fma_f64 v[7:8], v[7:8], v[20:21], v[28:29]
	v_ashrrev_i32_e32 v18, 31, v17
	s_wait_alu 0xfffe
	s_and_saveexec_b32 s3, s2
	s_wait_alu 0xfffe
	s_xor_b32 s2, exec_lo, s3
	s_cbranch_execz .LBB144_26
; %bb.25:
	v_lshlrev_b64_e32 v[0:1], 4, v[17:18]
                                        ; implicit-def: $vgpr17
	s_wait_kmcnt 0x0
	s_delay_alu instid0(VALU_DEP_1) | instskip(SKIP_1) | instid1(VALU_DEP_2)
	v_add_co_u32 v0, vcc_lo, s0, v0
	s_wait_alu 0xfffd
	v_add_co_ci_u32_e64 v1, null, s1, v1, vcc_lo
	s_clause 0x2
	global_store_b128 v[0:1], v[13:16], off
	global_store_b128 v[0:1], v[9:12], off offset:16
	global_store_b128 v[0:1], v[5:8], off offset:32
                                        ; implicit-def: $vgpr3_vgpr4
                                        ; implicit-def: $vgpr13_vgpr14
                                        ; implicit-def: $vgpr9_vgpr10
                                        ; implicit-def: $vgpr5_vgpr6
.LBB144_26:
	s_wait_alu 0xfffe
	s_and_not1_saveexec_b32 s2, s2
	s_cbranch_execz .LBB144_8
; %bb.27:
	v_lshlrev_b64_e32 v[17:18], 4, v[17:18]
	s_wait_kmcnt 0x0
	s_delay_alu instid0(VALU_DEP_1) | instskip(SKIP_1) | instid1(VALU_DEP_2)
	v_add_co_u32 v29, vcc_lo, s0, v17
	s_wait_alu 0xfffd
	v_add_co_ci_u32_e64 v30, null, s1, v18, vcc_lo
	s_clause 0x2
	global_load_b128 v[17:20], v[29:30], off
	global_load_b128 v[21:24], v[29:30], off offset:16
	global_load_b128 v[25:28], v[29:30], off offset:32
	s_wait_loadcnt 0x2
	v_fma_f64 v[13:14], v[1:2], v[17:18], v[13:14]
	v_fma_f64 v[15:16], v[3:4], v[17:18], v[15:16]
	s_wait_loadcnt 0x1
	v_fma_f64 v[9:10], v[1:2], v[21:22], v[9:10]
	v_fma_f64 v[11:12], v[3:4], v[21:22], v[11:12]
	;; [unrolled: 3-line block ×3, first 2 shown]
	v_fma_f64 v[5:6], -v[3:4], v[19:20], v[13:14]
	v_fma_f64 v[7:8], v[1:2], v[19:20], v[15:16]
	v_fma_f64 v[9:10], -v[3:4], v[23:24], v[9:10]
	v_fma_f64 v[11:12], v[1:2], v[23:24], v[11:12]
	;; [unrolled: 2-line block ×3, first 2 shown]
	s_clause 0x2
	global_store_b128 v[29:30], v[5:8], off
	global_store_b128 v[29:30], v[9:12], off offset:16
	global_store_b128 v[29:30], v[13:16], off offset:32
	s_endpgm
	.section	.rodata,"a",@progbits
	.p2align	6, 0x0
	.amdhsa_kernel _ZN9rocsparseL18bsrxmvn_3x3_kernelILj256ELj64E21rocsparse_complex_numIdElidS2_S2_EEvT3_20rocsparse_direction_NS_24const_host_device_scalarIT1_EES3_PKS3_PKT2_SC_S9_PKT4_PKT5_S7_PT6_21rocsparse_index_base_b
		.amdhsa_group_segment_fixed_size 0
		.amdhsa_private_segment_fixed_size 0
		.amdhsa_kernarg_size 112
		.amdhsa_user_sgpr_count 2
		.amdhsa_user_sgpr_dispatch_ptr 0
		.amdhsa_user_sgpr_queue_ptr 0
		.amdhsa_user_sgpr_kernarg_segment_ptr 1
		.amdhsa_user_sgpr_dispatch_id 0
		.amdhsa_user_sgpr_private_segment_size 0
		.amdhsa_wavefront_size32 1
		.amdhsa_uses_dynamic_stack 0
		.amdhsa_enable_private_segment 0
		.amdhsa_system_sgpr_workgroup_id_x 1
		.amdhsa_system_sgpr_workgroup_id_y 0
		.amdhsa_system_sgpr_workgroup_id_z 0
		.amdhsa_system_sgpr_workgroup_info 0
		.amdhsa_system_vgpr_workitem_id 0
		.amdhsa_next_free_vgpr 64
		.amdhsa_next_free_sgpr 14
		.amdhsa_reserve_vcc 1
		.amdhsa_float_round_mode_32 0
		.amdhsa_float_round_mode_16_64 0
		.amdhsa_float_denorm_mode_32 3
		.amdhsa_float_denorm_mode_16_64 3
		.amdhsa_fp16_overflow 0
		.amdhsa_workgroup_processor_mode 1
		.amdhsa_memory_ordered 1
		.amdhsa_forward_progress 1
		.amdhsa_inst_pref_size 29
		.amdhsa_round_robin_scheduling 0
		.amdhsa_exception_fp_ieee_invalid_op 0
		.amdhsa_exception_fp_denorm_src 0
		.amdhsa_exception_fp_ieee_div_zero 0
		.amdhsa_exception_fp_ieee_overflow 0
		.amdhsa_exception_fp_ieee_underflow 0
		.amdhsa_exception_fp_ieee_inexact 0
		.amdhsa_exception_int_div_zero 0
	.end_amdhsa_kernel
	.section	.text._ZN9rocsparseL18bsrxmvn_3x3_kernelILj256ELj64E21rocsparse_complex_numIdElidS2_S2_EEvT3_20rocsparse_direction_NS_24const_host_device_scalarIT1_EES3_PKS3_PKT2_SC_S9_PKT4_PKT5_S7_PT6_21rocsparse_index_base_b,"axG",@progbits,_ZN9rocsparseL18bsrxmvn_3x3_kernelILj256ELj64E21rocsparse_complex_numIdElidS2_S2_EEvT3_20rocsparse_direction_NS_24const_host_device_scalarIT1_EES3_PKS3_PKT2_SC_S9_PKT4_PKT5_S7_PT6_21rocsparse_index_base_b,comdat
.Lfunc_end144:
	.size	_ZN9rocsparseL18bsrxmvn_3x3_kernelILj256ELj64E21rocsparse_complex_numIdElidS2_S2_EEvT3_20rocsparse_direction_NS_24const_host_device_scalarIT1_EES3_PKS3_PKT2_SC_S9_PKT4_PKT5_S7_PT6_21rocsparse_index_base_b, .Lfunc_end144-_ZN9rocsparseL18bsrxmvn_3x3_kernelILj256ELj64E21rocsparse_complex_numIdElidS2_S2_EEvT3_20rocsparse_direction_NS_24const_host_device_scalarIT1_EES3_PKS3_PKT2_SC_S9_PKT4_PKT5_S7_PT6_21rocsparse_index_base_b
                                        ; -- End function
	.set _ZN9rocsparseL18bsrxmvn_3x3_kernelILj256ELj64E21rocsparse_complex_numIdElidS2_S2_EEvT3_20rocsparse_direction_NS_24const_host_device_scalarIT1_EES3_PKS3_PKT2_SC_S9_PKT4_PKT5_S7_PT6_21rocsparse_index_base_b.num_vgpr, 64
	.set _ZN9rocsparseL18bsrxmvn_3x3_kernelILj256ELj64E21rocsparse_complex_numIdElidS2_S2_EEvT3_20rocsparse_direction_NS_24const_host_device_scalarIT1_EES3_PKS3_PKT2_SC_S9_PKT4_PKT5_S7_PT6_21rocsparse_index_base_b.num_agpr, 0
	.set _ZN9rocsparseL18bsrxmvn_3x3_kernelILj256ELj64E21rocsparse_complex_numIdElidS2_S2_EEvT3_20rocsparse_direction_NS_24const_host_device_scalarIT1_EES3_PKS3_PKT2_SC_S9_PKT4_PKT5_S7_PT6_21rocsparse_index_base_b.numbered_sgpr, 14
	.set _ZN9rocsparseL18bsrxmvn_3x3_kernelILj256ELj64E21rocsparse_complex_numIdElidS2_S2_EEvT3_20rocsparse_direction_NS_24const_host_device_scalarIT1_EES3_PKS3_PKT2_SC_S9_PKT4_PKT5_S7_PT6_21rocsparse_index_base_b.num_named_barrier, 0
	.set _ZN9rocsparseL18bsrxmvn_3x3_kernelILj256ELj64E21rocsparse_complex_numIdElidS2_S2_EEvT3_20rocsparse_direction_NS_24const_host_device_scalarIT1_EES3_PKS3_PKT2_SC_S9_PKT4_PKT5_S7_PT6_21rocsparse_index_base_b.private_seg_size, 0
	.set _ZN9rocsparseL18bsrxmvn_3x3_kernelILj256ELj64E21rocsparse_complex_numIdElidS2_S2_EEvT3_20rocsparse_direction_NS_24const_host_device_scalarIT1_EES3_PKS3_PKT2_SC_S9_PKT4_PKT5_S7_PT6_21rocsparse_index_base_b.uses_vcc, 1
	.set _ZN9rocsparseL18bsrxmvn_3x3_kernelILj256ELj64E21rocsparse_complex_numIdElidS2_S2_EEvT3_20rocsparse_direction_NS_24const_host_device_scalarIT1_EES3_PKS3_PKT2_SC_S9_PKT4_PKT5_S7_PT6_21rocsparse_index_base_b.uses_flat_scratch, 0
	.set _ZN9rocsparseL18bsrxmvn_3x3_kernelILj256ELj64E21rocsparse_complex_numIdElidS2_S2_EEvT3_20rocsparse_direction_NS_24const_host_device_scalarIT1_EES3_PKS3_PKT2_SC_S9_PKT4_PKT5_S7_PT6_21rocsparse_index_base_b.has_dyn_sized_stack, 0
	.set _ZN9rocsparseL18bsrxmvn_3x3_kernelILj256ELj64E21rocsparse_complex_numIdElidS2_S2_EEvT3_20rocsparse_direction_NS_24const_host_device_scalarIT1_EES3_PKS3_PKT2_SC_S9_PKT4_PKT5_S7_PT6_21rocsparse_index_base_b.has_recursion, 0
	.set _ZN9rocsparseL18bsrxmvn_3x3_kernelILj256ELj64E21rocsparse_complex_numIdElidS2_S2_EEvT3_20rocsparse_direction_NS_24const_host_device_scalarIT1_EES3_PKS3_PKT2_SC_S9_PKT4_PKT5_S7_PT6_21rocsparse_index_base_b.has_indirect_call, 0
	.section	.AMDGPU.csdata,"",@progbits
; Kernel info:
; codeLenInByte = 3704
; TotalNumSgprs: 16
; NumVgprs: 64
; ScratchSize: 0
; MemoryBound: 0
; FloatMode: 240
; IeeeMode: 1
; LDSByteSize: 0 bytes/workgroup (compile time only)
; SGPRBlocks: 0
; VGPRBlocks: 7
; NumSGPRsForWavesPerEU: 16
; NumVGPRsForWavesPerEU: 64
; Occupancy: 16
; WaveLimiterHint : 1
; COMPUTE_PGM_RSRC2:SCRATCH_EN: 0
; COMPUTE_PGM_RSRC2:USER_SGPR: 2
; COMPUTE_PGM_RSRC2:TRAP_HANDLER: 0
; COMPUTE_PGM_RSRC2:TGID_X_EN: 1
; COMPUTE_PGM_RSRC2:TGID_Y_EN: 0
; COMPUTE_PGM_RSRC2:TGID_Z_EN: 0
; COMPUTE_PGM_RSRC2:TIDIG_COMP_CNT: 0
	.section	.text._ZN9rocsparseL18bsrxmvn_3x3_kernelILj256ELj4E21rocsparse_complex_numIdElldS2_S2_EEvT3_20rocsparse_direction_NS_24const_host_device_scalarIT1_EES3_PKS3_PKT2_SC_S9_PKT4_PKT5_S7_PT6_21rocsparse_index_base_b,"axG",@progbits,_ZN9rocsparseL18bsrxmvn_3x3_kernelILj256ELj4E21rocsparse_complex_numIdElldS2_S2_EEvT3_20rocsparse_direction_NS_24const_host_device_scalarIT1_EES3_PKS3_PKT2_SC_S9_PKT4_PKT5_S7_PT6_21rocsparse_index_base_b,comdat
	.globl	_ZN9rocsparseL18bsrxmvn_3x3_kernelILj256ELj4E21rocsparse_complex_numIdElldS2_S2_EEvT3_20rocsparse_direction_NS_24const_host_device_scalarIT1_EES3_PKS3_PKT2_SC_S9_PKT4_PKT5_S7_PT6_21rocsparse_index_base_b ; -- Begin function _ZN9rocsparseL18bsrxmvn_3x3_kernelILj256ELj4E21rocsparse_complex_numIdElldS2_S2_EEvT3_20rocsparse_direction_NS_24const_host_device_scalarIT1_EES3_PKS3_PKT2_SC_S9_PKT4_PKT5_S7_PT6_21rocsparse_index_base_b
	.p2align	8
	.type	_ZN9rocsparseL18bsrxmvn_3x3_kernelILj256ELj4E21rocsparse_complex_numIdElldS2_S2_EEvT3_20rocsparse_direction_NS_24const_host_device_scalarIT1_EES3_PKS3_PKT2_SC_S9_PKT4_PKT5_S7_PT6_21rocsparse_index_base_b,@function
_ZN9rocsparseL18bsrxmvn_3x3_kernelILj256ELj4E21rocsparse_complex_numIdElldS2_S2_EEvT3_20rocsparse_direction_NS_24const_host_device_scalarIT1_EES3_PKS3_PKT2_SC_S9_PKT4_PKT5_S7_PT6_21rocsparse_index_base_b: ; @_ZN9rocsparseL18bsrxmvn_3x3_kernelILj256ELj4E21rocsparse_complex_numIdElldS2_S2_EEvT3_20rocsparse_direction_NS_24const_host_device_scalarIT1_EES3_PKS3_PKT2_SC_S9_PKT4_PKT5_S7_PT6_21rocsparse_index_base_b
; %bb.0:
	s_clause 0x1
	s_load_b64 s[4:5], s[0:1], 0x70
	s_load_b64 s[2:3], s[0:1], 0x10
	s_add_nc_u64 s[6:7], s[0:1], 16
	s_load_b64 s[8:9], s[0:1], 0x58
	s_wait_kmcnt 0x0
	s_bitcmp1_b32 s5, 0
	s_cselect_b32 s2, s6, s2
	s_cselect_b32 s3, s7, s3
	s_delay_alu instid0(SALU_CYCLE_1)
	v_dual_mov_b32 v1, s2 :: v_dual_mov_b32 v2, s3
	s_add_nc_u64 s[2:3], s[0:1], 0x58
	s_wait_alu 0xfffe
	s_cselect_b32 s2, s2, s8
	s_cselect_b32 s3, s3, s9
	flat_load_b128 v[5:8], v[1:2]
	s_wait_alu 0xfffe
	v_dual_mov_b32 v1, s2 :: v_dual_mov_b32 v2, s3
	flat_load_b128 v[1:4], v[1:2]
	s_wait_loadcnt_dscnt 0x101
	v_cmp_eq_f64_e32 vcc_lo, 0, v[5:6]
	v_cmp_eq_f64_e64 s2, 0, v[7:8]
	s_and_b32 s5, vcc_lo, s2
	s_mov_b32 s2, -1
	s_and_saveexec_b32 s3, s5
	s_cbranch_execz .LBB145_2
; %bb.1:
	s_wait_loadcnt_dscnt 0x0
	v_cmp_neq_f64_e32 vcc_lo, 1.0, v[1:2]
	v_cmp_neq_f64_e64 s2, 0, v[3:4]
	s_wait_alu 0xfffe
	s_or_b32 s2, vcc_lo, s2
	s_wait_alu 0xfffe
	s_or_not1_b32 s2, s2, exec_lo
.LBB145_2:
	s_wait_alu 0xfffe
	s_or_b32 exec_lo, exec_lo, s3
	s_and_saveexec_b32 s3, s2
	s_cbranch_execz .LBB145_8
; %bb.3:
	s_load_b64 s[2:3], s[0:1], 0x28
	v_lshrrev_b32_e32 v9, 2, v0
	v_mov_b32_e32 v12, 0
	s_delay_alu instid0(VALU_DEP_2)
	v_lshl_or_b32 v11, ttmp9, 6, v9
	s_wait_kmcnt 0x0
	s_cmp_lg_u64 s[2:3], 0
	s_cbranch_scc0 .LBB145_9
; %bb.4:
	s_load_b64 s[6:7], s[0:1], 0x20
                                        ; implicit-def: $vgpr17_vgpr18
                                        ; implicit-def: $vgpr9_vgpr10
	s_wait_kmcnt 0x0
	v_cmp_gt_i64_e32 vcc_lo, s[6:7], v[11:12]
	s_mov_b32 s7, 0
	s_mov_b32 s6, 0
	s_and_saveexec_b32 s5, vcc_lo
	s_delay_alu instid0(SALU_CYCLE_1)
	s_xor_b32 s8, exec_lo, s5
	s_cbranch_execz .LBB145_6
; %bb.5:
	v_lshlrev_b64_e32 v[9:10], 3, v[11:12]
	s_mov_b32 s5, 0
	s_mov_b32 s6, exec_lo
	s_delay_alu instid0(VALU_DEP_1) | instskip(NEXT) | instid1(VALU_DEP_1)
	v_add_co_u32 v9, vcc_lo, s2, v9
	v_add_co_ci_u32_e64 v10, null, s3, v10, vcc_lo
	global_load_b64 v[9:10], v[9:10], off
	s_wait_loadcnt 0x0
	v_sub_co_u32 v17, vcc_lo, v9, s4
	s_wait_alu 0xfffd
	v_subrev_co_ci_u32_e64 v18, null, 0, v10, vcc_lo
	v_dual_mov_b32 v10, s5 :: v_dual_mov_b32 v9, s4
.LBB145_6:
	s_or_b32 exec_lo, exec_lo, s8
	s_wait_alu 0xfffe
	s_and_b32 vcc_lo, exec_lo, s7
	s_wait_alu 0xfffe
	s_cbranch_vccnz .LBB145_10
.LBB145_7:
	s_and_b32 exec_lo, exec_lo, s6
	s_cbranch_execnz .LBB145_13
.LBB145_8:
	s_endpgm
.LBB145_9:
	s_mov_b32 s6, 0
                                        ; implicit-def: $vgpr17_vgpr18
                                        ; implicit-def: $vgpr9_vgpr10
	s_cbranch_execz .LBB145_7
.LBB145_10:
	s_load_b64 s[2:3], s[0:1], 0x0
	s_wait_kmcnt 0x0
	v_cmp_gt_i64_e32 vcc_lo, s[2:3], v[11:12]
	s_and_saveexec_b32 s2, vcc_lo
; %bb.11:
	s_mov_b32 s5, 0
	s_or_b32 s6, s6, exec_lo
; %bb.12:
	s_wait_alu 0xfffe
	s_or_b32 exec_lo, exec_lo, s2
	v_dual_mov_b32 v10, s5 :: v_dual_mov_b32 v9, s4
	v_dual_mov_b32 v18, v12 :: v_dual_mov_b32 v17, v11
	s_and_b32 exec_lo, exec_lo, s6
	s_cbranch_execz .LBB145_8
.LBB145_13:
	s_load_b256 s[4:11], s[0:1], 0x30
	s_delay_alu instid0(VALU_DEP_1) | instskip(SKIP_2) | instid1(VALU_DEP_2)
	v_lshlrev_b64_e32 v[11:12], 3, v[17:18]
	v_and_b32_e32 v0, 3, v0
	s_wait_kmcnt 0x0
	v_add_co_u32 v13, vcc_lo, s4, v11
	s_wait_alu 0xfffd
	s_delay_alu instid0(VALU_DEP_3)
	v_add_co_ci_u32_e64 v14, null, s5, v12, vcc_lo
	v_add_co_u32 v11, vcc_lo, s6, v11
	s_wait_alu 0xfffd
	v_add_co_ci_u32_e64 v12, null, s7, v12, vcc_lo
	global_load_b64 v[15:16], v[13:14], off
	v_add_co_u32 v13, vcc_lo, v13, 8
	s_wait_alu 0xfffd
	v_add_co_ci_u32_e64 v14, null, 0, v14, vcc_lo
	s_cmp_eq_u64 s[6:7], 0
	s_cselect_b32 vcc_lo, -1, 0
	s_wait_alu 0xfffe
	v_dual_cndmask_b32 v12, v12, v14 :: v_dual_cndmask_b32 v11, v11, v13
	global_load_b64 v[19:20], v[11:12], off
	s_clause 0x1
	s_load_b32 s3, s[0:1], 0x8
	s_load_b64 s[4:5], s[0:1], 0x50
	s_wait_kmcnt 0x0
	s_cmp_eq_u32 s3, 1
	s_wait_loadcnt 0x1
	v_sub_co_u32 v11, vcc_lo, v15, v9
	s_wait_alu 0xfffd
	v_sub_co_ci_u32_e64 v12, null, v16, v10, vcc_lo
	s_delay_alu instid0(VALU_DEP_2) | instskip(SKIP_1) | instid1(VALU_DEP_2)
	v_add_co_u32 v11, vcc_lo, v11, v0
	s_wait_alu 0xfffd
	v_add_co_ci_u32_e64 v12, null, 0, v12, vcc_lo
	s_delay_alu instid0(VALU_DEP_2) | instskip(NEXT) | instid1(VALU_DEP_1)
	v_mad_co_u64_u32 v[13:14], null, 0x48, v11, s[10:11]
	v_mad_co_u64_u32 v[14:15], null, 0x48, v12, v[14:15]
	s_wait_loadcnt 0x0
	v_sub_co_u32 v15, vcc_lo, v19, v9
	s_wait_alu 0xfffd
	v_sub_co_ci_u32_e64 v16, null, v20, v10, vcc_lo
	s_delay_alu instid0(VALU_DEP_1)
	v_cmp_lt_i64_e64 s2, v[11:12], v[15:16]
	s_cbranch_scc1 .LBB145_19
; %bb.14:
	v_mov_b32_e32 v19, 0
	v_mov_b32_e32 v23, 0
	v_dual_mov_b32 v27, 0 :: v_dual_mov_b32 v20, 0
	v_dual_mov_b32 v21, 0 :: v_dual_mov_b32 v24, 0
	;; [unrolled: 1-line block ×4, first 2 shown]
	v_mov_b32_e32 v26, 0
	v_mov_b32_e32 v30, 0
	s_and_saveexec_b32 s6, s2
	s_cbranch_execz .LBB145_18
; %bb.15:
	v_lshlrev_b64_e32 v[21:22], 3, v[11:12]
	v_mov_b32_e32 v25, 0
	v_dual_mov_b32 v19, 0 :: v_dual_mov_b32 v32, v12
	v_dual_mov_b32 v26, 0 :: v_dual_mov_b32 v27, 0
	s_delay_alu instid0(VALU_DEP_4)
	v_add_co_u32 v33, vcc_lo, s8, v21
	s_wait_alu 0xfffd
	v_add_co_ci_u32_e64 v34, null, s9, v22, vcc_lo
	v_mov_b32_e32 v21, 0
	v_dual_mov_b32 v22, 0 :: v_dual_mov_b32 v23, 0
	v_dual_mov_b32 v29, 0 :: v_dual_mov_b32 v36, v14
	;; [unrolled: 1-line block ×3, first 2 shown]
	v_mov_b32_e32 v24, 0
	v_mov_b32_e32 v28, 0
	v_dual_mov_b32 v30, 0 :: v_dual_mov_b32 v35, v13
	s_mov_b32 s7, 0
.LBB145_16:                             ; =>This Inner Loop Header: Depth=1
	global_load_b64 v[37:38], v[33:34], off
	v_add_co_u32 v33, s3, v33, 32
	s_wait_alu 0xf1ff
	v_add_co_ci_u32_e64 v34, null, 0, v34, s3
	s_wait_loadcnt 0x0
	v_sub_co_u32 v37, vcc_lo, v37, v9
	s_wait_alu 0xfffd
	v_sub_co_ci_u32_e64 v42, null, v38, v10, vcc_lo
	v_add_co_u32 v31, vcc_lo, v31, 4
	s_delay_alu instid0(VALU_DEP_3) | instskip(SKIP_4) | instid1(VALU_DEP_1)
	v_mad_co_u64_u32 v[61:62], null, v37, 48, s[4:5]
	global_load_b128 v[37:40], v[35:36], off offset:48
	s_wait_alu 0xfffd
	v_add_co_ci_u32_e64 v32, null, 0, v32, vcc_lo
	v_mov_b32_e32 v41, v62
	v_mad_co_u64_u32 v[49:50], null, v42, 48, v[41:42]
	s_clause 0x1
	global_load_b128 v[41:44], v[35:36], off offset:16
	global_load_b128 v[45:48], v[35:36], off
	v_mov_b32_e32 v62, v49
	s_clause 0x1
	global_load_b128 v[49:52], v[61:62], off
	global_load_b128 v[53:56], v[61:62], off offset:16
	s_clause 0x1
	global_load_b128 v[57:60], v[35:36], off offset:32
	global_load_b64 v[65:66], v[35:36], off offset:64
	global_load_b128 v[61:64], v[61:62], off offset:32
	v_add_co_u32 v35, vcc_lo, 0x120, v35
	s_wait_alu 0xfffd
	v_add_co_ci_u32_e64 v36, null, 0, v36, vcc_lo
	v_cmp_ge_i64_e32 vcc_lo, v[31:32], v[15:16]
	s_wait_alu 0xfffe
	s_or_b32 s7, vcc_lo, s7
	s_wait_loadcnt 0x4
	v_fma_f64 v[21:22], v[45:46], v[49:50], v[21:22]
	v_fma_f64 v[19:20], v[49:50], 0, v[19:20]
	;; [unrolled: 1-line block ×12, first 2 shown]
	s_wait_loadcnt 0x3
	v_fma_f64 v[21:22], v[47:48], v[53:54], v[21:22]
	v_fma_f64 v[19:20], v[53:54], 0, v[19:20]
	s_wait_loadcnt 0x2
	v_fma_f64 v[25:26], v[57:58], v[53:54], v[25:26]
	v_fma_f64 v[23:24], v[53:54], 0, v[23:24]
	;; [unrolled: 1-line block ×10, first 2 shown]
	s_wait_loadcnt 0x0
	v_fma_f64 v[21:22], v[41:42], v[61:62], v[21:22]
	v_fma_f64 v[19:20], v[61:62], 0, v[19:20]
	;; [unrolled: 1-line block ×12, first 2 shown]
	s_wait_alu 0xfffe
	s_and_not1_b32 exec_lo, exec_lo, s7
	s_cbranch_execnz .LBB145_16
; %bb.17:
	s_or_b32 exec_lo, exec_lo, s7
.LBB145_18:
	s_wait_alu 0xfffe
	s_or_b32 exec_lo, exec_lo, s6
	s_cbranch_execz .LBB145_20
	s_branch .LBB145_25
.LBB145_19:
                                        ; implicit-def: $vgpr19_vgpr20
                                        ; implicit-def: $vgpr21_vgpr22
                                        ; implicit-def: $vgpr23_vgpr24
                                        ; implicit-def: $vgpr25_vgpr26
                                        ; implicit-def: $vgpr27_vgpr28
                                        ; implicit-def: $vgpr29_vgpr30
.LBB145_20:
	v_mov_b32_e32 v19, 0
	v_mov_b32_e32 v23, 0
	v_dual_mov_b32 v27, 0 :: v_dual_mov_b32 v20, 0
	v_dual_mov_b32 v21, 0 :: v_dual_mov_b32 v24, 0
	;; [unrolled: 1-line block ×4, first 2 shown]
	v_mov_b32_e32 v26, 0
	v_mov_b32_e32 v30, 0
	s_and_saveexec_b32 s3, s2
	s_cbranch_execz .LBB145_24
; %bb.21:
	v_lshlrev_b64_e32 v[31:32], 3, v[11:12]
	v_mov_b32_e32 v19, 0
	v_mov_b32_e32 v23, 0
	v_dual_mov_b32 v27, 0 :: v_dual_mov_b32 v20, 0
	v_mov_b32_e32 v21, 0
	v_add_co_u32 v31, vcc_lo, s8, v31
	v_dual_mov_b32 v24, 0 :: v_dual_mov_b32 v25, 0
	v_dual_mov_b32 v28, 0 :: v_dual_mov_b32 v29, 0
	v_mov_b32_e32 v22, 0
	v_mov_b32_e32 v26, 0
	;; [unrolled: 1-line block ×3, first 2 shown]
	s_wait_alu 0xfffd
	v_add_co_ci_u32_e64 v32, null, s9, v32, vcc_lo
	s_mov_b32 s6, 0
.LBB145_22:                             ; =>This Inner Loop Header: Depth=1
	global_load_b64 v[33:34], v[31:32], off
	v_add_co_u32 v31, s2, v31, 32
	s_wait_alu 0xf1ff
	v_add_co_ci_u32_e64 v32, null, 0, v32, s2
	s_wait_loadcnt 0x0
	v_sub_co_u32 v33, vcc_lo, v33, v9
	s_wait_alu 0xfffd
	v_sub_co_ci_u32_e64 v34, null, v34, v10, vcc_lo
	v_add_co_u32 v11, vcc_lo, v11, 4
	s_delay_alu instid0(VALU_DEP_3) | instskip(SKIP_2) | instid1(VALU_DEP_2)
	v_mad_co_u64_u32 v[57:58], null, v33, 48, s[4:5]
	s_wait_alu 0xfffd
	v_add_co_ci_u32_e64 v12, null, 0, v12, vcc_lo
	v_mov_b32_e32 v33, v58
	s_delay_alu instid0(VALU_DEP_1)
	v_mad_co_u64_u32 v[41:42], null, v34, 48, v[33:34]
	s_clause 0x1
	global_load_b128 v[33:36], v[13:14], off offset:16
	global_load_b128 v[37:40], v[13:14], off
	v_mov_b32_e32 v58, v41
	s_clause 0x1
	global_load_b128 v[41:44], v[57:58], off
	global_load_b128 v[45:48], v[57:58], off offset:16
	s_clause 0x2
	global_load_b128 v[49:52], v[13:14], off offset:32
	global_load_b128 v[53:56], v[13:14], off offset:48
	global_load_b64 v[61:62], v[13:14], off offset:64
	global_load_b128 v[57:60], v[57:58], off offset:32
	v_add_co_u32 v13, vcc_lo, 0x120, v13
	s_wait_alu 0xfffd
	v_add_co_ci_u32_e64 v14, null, 0, v14, vcc_lo
	v_cmp_ge_i64_e32 vcc_lo, v[11:12], v[15:16]
	s_wait_alu 0xfffe
	s_or_b32 s6, vcc_lo, s6
	s_wait_loadcnt 0x5
	v_fma_f64 v[21:22], v[37:38], v[41:42], v[21:22]
	v_fma_f64 v[19:20], v[41:42], 0, v[19:20]
	;; [unrolled: 1-line block ×12, first 2 shown]
	s_wait_loadcnt 0x4
	v_fma_f64 v[21:22], v[35:36], v[45:46], v[21:22]
	v_fma_f64 v[19:20], v[45:46], 0, v[19:20]
	s_wait_loadcnt 0x3
	v_fma_f64 v[25:26], v[49:50], v[45:46], v[25:26]
	v_fma_f64 v[23:24], v[45:46], 0, v[23:24]
	;; [unrolled: 1-line block ×10, first 2 shown]
	s_wait_loadcnt 0x0
	v_fma_f64 v[21:22], v[53:54], v[57:58], v[21:22]
	v_fma_f64 v[19:20], v[57:58], 0, v[19:20]
	;; [unrolled: 1-line block ×12, first 2 shown]
	s_wait_alu 0xfffe
	s_and_not1_b32 exec_lo, exec_lo, s6
	s_cbranch_execnz .LBB145_22
; %bb.23:
	s_or_b32 exec_lo, exec_lo, s6
.LBB145_24:
	s_wait_alu 0xfffe
	s_or_b32 exec_lo, exec_lo, s3
.LBB145_25:
	v_mbcnt_lo_u32_b32 v37, -1, 0
	s_delay_alu instid0(VALU_DEP_1) | instskip(NEXT) | instid1(VALU_DEP_1)
	v_xor_b32_e32 v9, 2, v37
	v_cmp_gt_i32_e32 vcc_lo, 32, v9
	s_wait_alu 0xfffd
	v_cndmask_b32_e32 v9, v37, v9, vcc_lo
	s_delay_alu instid0(VALU_DEP_1)
	v_lshlrev_b32_e32 v31, 2, v9
	ds_bpermute_b32 v9, v31, v21
	ds_bpermute_b32 v10, v31, v22
	;; [unrolled: 1-line block ×12, first 2 shown]
	s_wait_dscnt 0xa
	v_add_f64_e32 v[9:10], v[21:22], v[9:10]
	v_xor_b32_e32 v21, 1, v37
	s_wait_dscnt 0x8
	v_add_f64_e32 v[31:32], v[19:20], v[11:12]
	s_wait_dscnt 0x6
	v_add_f64_e32 v[11:12], v[25:26], v[13:14]
	;; [unrolled: 2-line block ×3, first 2 shown]
	v_cmp_gt_i32_e32 vcc_lo, 32, v21
	s_wait_dscnt 0x2
	v_add_f64_e32 v[13:14], v[29:30], v[33:34]
	s_wait_dscnt 0x0
	v_add_f64_e32 v[15:16], v[27:28], v[35:36]
	s_wait_alu 0xfffd
	v_cndmask_b32_e32 v21, v37, v21, vcc_lo
	v_cmp_eq_u32_e32 vcc_lo, 3, v0
	s_delay_alu instid0(VALU_DEP_2)
	v_lshlrev_b32_e32 v28, 2, v21
	ds_bpermute_b32 v21, v28, v9
	ds_bpermute_b32 v22, v28, v10
	;; [unrolled: 1-line block ×12, first 2 shown]
	s_and_b32 exec_lo, exec_lo, vcc_lo
	s_cbranch_execz .LBB145_8
; %bb.26:
	s_wait_dscnt 0x8
	v_add_f64_e32 v[31:32], v[31:32], v[33:34]
	s_wait_dscnt 0x4
	v_add_f64_e32 v[19:20], v[19:20], v[29:30]
	;; [unrolled: 2-line block ×3, first 2 shown]
	v_add_f64_e32 v[9:10], v[9:10], v[21:22]
	v_add_f64_e32 v[11:12], v[11:12], v[23:24]
	;; [unrolled: 1-line block ×3, first 2 shown]
	v_cmp_eq_f64_e32 vcc_lo, 0, v[1:2]
	v_cmp_eq_f64_e64 s2, 0, v[3:4]
	s_load_b64 s[0:1], s[0:1], 0x68
	v_mul_f64_e64 v[13:14], v[31:32], -v[7:8]
	v_mul_f64_e32 v[23:24], v[5:6], v[31:32]
	v_mul_f64_e64 v[25:26], v[19:20], -v[7:8]
	v_mul_f64_e32 v[19:20], v[5:6], v[19:20]
	;; [unrolled: 2-line block ×3, first 2 shown]
	s_and_b32 s2, vcc_lo, s2
	v_fma_f64 v[13:14], v[5:6], v[9:10], v[13:14]
	v_fma_f64 v[15:16], v[7:8], v[9:10], v[23:24]
	;; [unrolled: 1-line block ×6, first 2 shown]
	s_wait_alu 0xfffe
	s_and_saveexec_b32 s3, s2
	s_wait_alu 0xfffe
	s_xor_b32 s2, exec_lo, s3
	s_cbranch_execz .LBB145_28
; %bb.27:
	s_wait_kmcnt 0x0
	v_mad_co_u64_u32 v[0:1], null, v17, 48, s[0:1]
	s_delay_alu instid0(VALU_DEP_1)
	v_mad_co_u64_u32 v[1:2], null, v18, 48, v[1:2]
                                        ; implicit-def: $vgpr17_vgpr18
	s_clause 0x2
	global_store_b128 v[0:1], v[13:16], off
	global_store_b128 v[0:1], v[9:12], off offset:16
	global_store_b128 v[0:1], v[5:8], off offset:32
                                        ; implicit-def: $vgpr3_vgpr4
                                        ; implicit-def: $vgpr13_vgpr14
                                        ; implicit-def: $vgpr9_vgpr10
                                        ; implicit-def: $vgpr5_vgpr6
.LBB145_28:
	s_wait_alu 0xfffe
	s_and_not1_saveexec_b32 s2, s2
	s_cbranch_execz .LBB145_8
; %bb.29:
	s_wait_kmcnt 0x0
	v_mad_co_u64_u32 v[29:30], null, v17, 48, s[0:1]
	s_delay_alu instid0(VALU_DEP_1) | instskip(NEXT) | instid1(VALU_DEP_1)
	v_mov_b32_e32 v0, v30
	v_mad_co_u64_u32 v[17:18], null, v18, 48, v[0:1]
	s_delay_alu instid0(VALU_DEP_1)
	v_mov_b32_e32 v30, v17
	s_clause 0x2
	global_load_b128 v[17:20], v[29:30], off
	global_load_b128 v[21:24], v[29:30], off offset:16
	global_load_b128 v[25:28], v[29:30], off offset:32
	s_wait_loadcnt 0x2
	v_fma_f64 v[13:14], v[1:2], v[17:18], v[13:14]
	v_fma_f64 v[15:16], v[3:4], v[17:18], v[15:16]
	s_wait_loadcnt 0x1
	v_fma_f64 v[9:10], v[1:2], v[21:22], v[9:10]
	v_fma_f64 v[11:12], v[3:4], v[21:22], v[11:12]
	;; [unrolled: 3-line block ×3, first 2 shown]
	v_fma_f64 v[5:6], -v[3:4], v[19:20], v[13:14]
	v_fma_f64 v[7:8], v[1:2], v[19:20], v[15:16]
	v_fma_f64 v[9:10], -v[3:4], v[23:24], v[9:10]
	v_fma_f64 v[11:12], v[1:2], v[23:24], v[11:12]
	;; [unrolled: 2-line block ×3, first 2 shown]
	s_clause 0x2
	global_store_b128 v[29:30], v[5:8], off
	global_store_b128 v[29:30], v[9:12], off offset:16
	global_store_b128 v[29:30], v[13:16], off offset:32
	s_endpgm
	.section	.rodata,"a",@progbits
	.p2align	6, 0x0
	.amdhsa_kernel _ZN9rocsparseL18bsrxmvn_3x3_kernelILj256ELj4E21rocsparse_complex_numIdElldS2_S2_EEvT3_20rocsparse_direction_NS_24const_host_device_scalarIT1_EES3_PKS3_PKT2_SC_S9_PKT4_PKT5_S7_PT6_21rocsparse_index_base_b
		.amdhsa_group_segment_fixed_size 0
		.amdhsa_private_segment_fixed_size 0
		.amdhsa_kernarg_size 120
		.amdhsa_user_sgpr_count 2
		.amdhsa_user_sgpr_dispatch_ptr 0
		.amdhsa_user_sgpr_queue_ptr 0
		.amdhsa_user_sgpr_kernarg_segment_ptr 1
		.amdhsa_user_sgpr_dispatch_id 0
		.amdhsa_user_sgpr_private_segment_size 0
		.amdhsa_wavefront_size32 1
		.amdhsa_uses_dynamic_stack 0
		.amdhsa_enable_private_segment 0
		.amdhsa_system_sgpr_workgroup_id_x 1
		.amdhsa_system_sgpr_workgroup_id_y 0
		.amdhsa_system_sgpr_workgroup_id_z 0
		.amdhsa_system_sgpr_workgroup_info 0
		.amdhsa_system_vgpr_workitem_id 0
		.amdhsa_next_free_vgpr 67
		.amdhsa_next_free_sgpr 12
		.amdhsa_reserve_vcc 1
		.amdhsa_float_round_mode_32 0
		.amdhsa_float_round_mode_16_64 0
		.amdhsa_float_denorm_mode_32 3
		.amdhsa_float_denorm_mode_16_64 3
		.amdhsa_fp16_overflow 0
		.amdhsa_workgroup_processor_mode 1
		.amdhsa_memory_ordered 1
		.amdhsa_forward_progress 1
		.amdhsa_inst_pref_size 24
		.amdhsa_round_robin_scheduling 0
		.amdhsa_exception_fp_ieee_invalid_op 0
		.amdhsa_exception_fp_denorm_src 0
		.amdhsa_exception_fp_ieee_div_zero 0
		.amdhsa_exception_fp_ieee_overflow 0
		.amdhsa_exception_fp_ieee_underflow 0
		.amdhsa_exception_fp_ieee_inexact 0
		.amdhsa_exception_int_div_zero 0
	.end_amdhsa_kernel
	.section	.text._ZN9rocsparseL18bsrxmvn_3x3_kernelILj256ELj4E21rocsparse_complex_numIdElldS2_S2_EEvT3_20rocsparse_direction_NS_24const_host_device_scalarIT1_EES3_PKS3_PKT2_SC_S9_PKT4_PKT5_S7_PT6_21rocsparse_index_base_b,"axG",@progbits,_ZN9rocsparseL18bsrxmvn_3x3_kernelILj256ELj4E21rocsparse_complex_numIdElldS2_S2_EEvT3_20rocsparse_direction_NS_24const_host_device_scalarIT1_EES3_PKS3_PKT2_SC_S9_PKT4_PKT5_S7_PT6_21rocsparse_index_base_b,comdat
.Lfunc_end145:
	.size	_ZN9rocsparseL18bsrxmvn_3x3_kernelILj256ELj4E21rocsparse_complex_numIdElldS2_S2_EEvT3_20rocsparse_direction_NS_24const_host_device_scalarIT1_EES3_PKS3_PKT2_SC_S9_PKT4_PKT5_S7_PT6_21rocsparse_index_base_b, .Lfunc_end145-_ZN9rocsparseL18bsrxmvn_3x3_kernelILj256ELj4E21rocsparse_complex_numIdElldS2_S2_EEvT3_20rocsparse_direction_NS_24const_host_device_scalarIT1_EES3_PKS3_PKT2_SC_S9_PKT4_PKT5_S7_PT6_21rocsparse_index_base_b
                                        ; -- End function
	.set _ZN9rocsparseL18bsrxmvn_3x3_kernelILj256ELj4E21rocsparse_complex_numIdElldS2_S2_EEvT3_20rocsparse_direction_NS_24const_host_device_scalarIT1_EES3_PKS3_PKT2_SC_S9_PKT4_PKT5_S7_PT6_21rocsparse_index_base_b.num_vgpr, 67
	.set _ZN9rocsparseL18bsrxmvn_3x3_kernelILj256ELj4E21rocsparse_complex_numIdElldS2_S2_EEvT3_20rocsparse_direction_NS_24const_host_device_scalarIT1_EES3_PKS3_PKT2_SC_S9_PKT4_PKT5_S7_PT6_21rocsparse_index_base_b.num_agpr, 0
	.set _ZN9rocsparseL18bsrxmvn_3x3_kernelILj256ELj4E21rocsparse_complex_numIdElldS2_S2_EEvT3_20rocsparse_direction_NS_24const_host_device_scalarIT1_EES3_PKS3_PKT2_SC_S9_PKT4_PKT5_S7_PT6_21rocsparse_index_base_b.numbered_sgpr, 12
	.set _ZN9rocsparseL18bsrxmvn_3x3_kernelILj256ELj4E21rocsparse_complex_numIdElldS2_S2_EEvT3_20rocsparse_direction_NS_24const_host_device_scalarIT1_EES3_PKS3_PKT2_SC_S9_PKT4_PKT5_S7_PT6_21rocsparse_index_base_b.num_named_barrier, 0
	.set _ZN9rocsparseL18bsrxmvn_3x3_kernelILj256ELj4E21rocsparse_complex_numIdElldS2_S2_EEvT3_20rocsparse_direction_NS_24const_host_device_scalarIT1_EES3_PKS3_PKT2_SC_S9_PKT4_PKT5_S7_PT6_21rocsparse_index_base_b.private_seg_size, 0
	.set _ZN9rocsparseL18bsrxmvn_3x3_kernelILj256ELj4E21rocsparse_complex_numIdElldS2_S2_EEvT3_20rocsparse_direction_NS_24const_host_device_scalarIT1_EES3_PKS3_PKT2_SC_S9_PKT4_PKT5_S7_PT6_21rocsparse_index_base_b.uses_vcc, 1
	.set _ZN9rocsparseL18bsrxmvn_3x3_kernelILj256ELj4E21rocsparse_complex_numIdElldS2_S2_EEvT3_20rocsparse_direction_NS_24const_host_device_scalarIT1_EES3_PKS3_PKT2_SC_S9_PKT4_PKT5_S7_PT6_21rocsparse_index_base_b.uses_flat_scratch, 0
	.set _ZN9rocsparseL18bsrxmvn_3x3_kernelILj256ELj4E21rocsparse_complex_numIdElldS2_S2_EEvT3_20rocsparse_direction_NS_24const_host_device_scalarIT1_EES3_PKS3_PKT2_SC_S9_PKT4_PKT5_S7_PT6_21rocsparse_index_base_b.has_dyn_sized_stack, 0
	.set _ZN9rocsparseL18bsrxmvn_3x3_kernelILj256ELj4E21rocsparse_complex_numIdElldS2_S2_EEvT3_20rocsparse_direction_NS_24const_host_device_scalarIT1_EES3_PKS3_PKT2_SC_S9_PKT4_PKT5_S7_PT6_21rocsparse_index_base_b.has_recursion, 0
	.set _ZN9rocsparseL18bsrxmvn_3x3_kernelILj256ELj4E21rocsparse_complex_numIdElldS2_S2_EEvT3_20rocsparse_direction_NS_24const_host_device_scalarIT1_EES3_PKS3_PKT2_SC_S9_PKT4_PKT5_S7_PT6_21rocsparse_index_base_b.has_indirect_call, 0
	.section	.AMDGPU.csdata,"",@progbits
; Kernel info:
; codeLenInByte = 3028
; TotalNumSgprs: 14
; NumVgprs: 67
; ScratchSize: 0
; MemoryBound: 0
; FloatMode: 240
; IeeeMode: 1
; LDSByteSize: 0 bytes/workgroup (compile time only)
; SGPRBlocks: 0
; VGPRBlocks: 8
; NumSGPRsForWavesPerEU: 14
; NumVGPRsForWavesPerEU: 67
; Occupancy: 16
; WaveLimiterHint : 1
; COMPUTE_PGM_RSRC2:SCRATCH_EN: 0
; COMPUTE_PGM_RSRC2:USER_SGPR: 2
; COMPUTE_PGM_RSRC2:TRAP_HANDLER: 0
; COMPUTE_PGM_RSRC2:TGID_X_EN: 1
; COMPUTE_PGM_RSRC2:TGID_Y_EN: 0
; COMPUTE_PGM_RSRC2:TGID_Z_EN: 0
; COMPUTE_PGM_RSRC2:TIDIG_COMP_CNT: 0
	.section	.text._ZN9rocsparseL18bsrxmvn_3x3_kernelILj256ELj8E21rocsparse_complex_numIdElldS2_S2_EEvT3_20rocsparse_direction_NS_24const_host_device_scalarIT1_EES3_PKS3_PKT2_SC_S9_PKT4_PKT5_S7_PT6_21rocsparse_index_base_b,"axG",@progbits,_ZN9rocsparseL18bsrxmvn_3x3_kernelILj256ELj8E21rocsparse_complex_numIdElldS2_S2_EEvT3_20rocsparse_direction_NS_24const_host_device_scalarIT1_EES3_PKS3_PKT2_SC_S9_PKT4_PKT5_S7_PT6_21rocsparse_index_base_b,comdat
	.globl	_ZN9rocsparseL18bsrxmvn_3x3_kernelILj256ELj8E21rocsparse_complex_numIdElldS2_S2_EEvT3_20rocsparse_direction_NS_24const_host_device_scalarIT1_EES3_PKS3_PKT2_SC_S9_PKT4_PKT5_S7_PT6_21rocsparse_index_base_b ; -- Begin function _ZN9rocsparseL18bsrxmvn_3x3_kernelILj256ELj8E21rocsparse_complex_numIdElldS2_S2_EEvT3_20rocsparse_direction_NS_24const_host_device_scalarIT1_EES3_PKS3_PKT2_SC_S9_PKT4_PKT5_S7_PT6_21rocsparse_index_base_b
	.p2align	8
	.type	_ZN9rocsparseL18bsrxmvn_3x3_kernelILj256ELj8E21rocsparse_complex_numIdElldS2_S2_EEvT3_20rocsparse_direction_NS_24const_host_device_scalarIT1_EES3_PKS3_PKT2_SC_S9_PKT4_PKT5_S7_PT6_21rocsparse_index_base_b,@function
_ZN9rocsparseL18bsrxmvn_3x3_kernelILj256ELj8E21rocsparse_complex_numIdElldS2_S2_EEvT3_20rocsparse_direction_NS_24const_host_device_scalarIT1_EES3_PKS3_PKT2_SC_S9_PKT4_PKT5_S7_PT6_21rocsparse_index_base_b: ; @_ZN9rocsparseL18bsrxmvn_3x3_kernelILj256ELj8E21rocsparse_complex_numIdElldS2_S2_EEvT3_20rocsparse_direction_NS_24const_host_device_scalarIT1_EES3_PKS3_PKT2_SC_S9_PKT4_PKT5_S7_PT6_21rocsparse_index_base_b
; %bb.0:
	s_clause 0x1
	s_load_b64 s[4:5], s[0:1], 0x70
	s_load_b64 s[2:3], s[0:1], 0x10
	s_add_nc_u64 s[6:7], s[0:1], 16
	s_load_b64 s[8:9], s[0:1], 0x58
	s_wait_kmcnt 0x0
	s_bitcmp1_b32 s5, 0
	s_cselect_b32 s2, s6, s2
	s_cselect_b32 s3, s7, s3
	s_delay_alu instid0(SALU_CYCLE_1)
	v_dual_mov_b32 v1, s2 :: v_dual_mov_b32 v2, s3
	s_add_nc_u64 s[2:3], s[0:1], 0x58
	s_wait_alu 0xfffe
	s_cselect_b32 s2, s2, s8
	s_cselect_b32 s3, s3, s9
	flat_load_b128 v[5:8], v[1:2]
	s_wait_alu 0xfffe
	v_dual_mov_b32 v1, s2 :: v_dual_mov_b32 v2, s3
	flat_load_b128 v[1:4], v[1:2]
	s_wait_loadcnt_dscnt 0x101
	v_cmp_eq_f64_e32 vcc_lo, 0, v[5:6]
	v_cmp_eq_f64_e64 s2, 0, v[7:8]
	s_and_b32 s5, vcc_lo, s2
	s_mov_b32 s2, -1
	s_and_saveexec_b32 s3, s5
	s_cbranch_execz .LBB146_2
; %bb.1:
	s_wait_loadcnt_dscnt 0x0
	v_cmp_neq_f64_e32 vcc_lo, 1.0, v[1:2]
	v_cmp_neq_f64_e64 s2, 0, v[3:4]
	s_wait_alu 0xfffe
	s_or_b32 s2, vcc_lo, s2
	s_wait_alu 0xfffe
	s_or_not1_b32 s2, s2, exec_lo
.LBB146_2:
	s_wait_alu 0xfffe
	s_or_b32 exec_lo, exec_lo, s3
	s_and_saveexec_b32 s3, s2
	s_cbranch_execz .LBB146_8
; %bb.3:
	s_load_b64 s[2:3], s[0:1], 0x28
	v_lshrrev_b32_e32 v9, 3, v0
	v_mov_b32_e32 v12, 0
	s_delay_alu instid0(VALU_DEP_2)
	v_lshl_or_b32 v11, ttmp9, 5, v9
	s_wait_kmcnt 0x0
	s_cmp_lg_u64 s[2:3], 0
	s_cbranch_scc0 .LBB146_9
; %bb.4:
	s_load_b64 s[6:7], s[0:1], 0x20
                                        ; implicit-def: $vgpr17_vgpr18
                                        ; implicit-def: $vgpr9_vgpr10
	s_wait_kmcnt 0x0
	v_cmp_gt_i64_e32 vcc_lo, s[6:7], v[11:12]
	s_mov_b32 s7, 0
	s_mov_b32 s6, 0
	s_and_saveexec_b32 s5, vcc_lo
	s_delay_alu instid0(SALU_CYCLE_1)
	s_xor_b32 s8, exec_lo, s5
	s_cbranch_execz .LBB146_6
; %bb.5:
	v_lshlrev_b64_e32 v[9:10], 3, v[11:12]
	s_mov_b32 s5, 0
	s_mov_b32 s6, exec_lo
	s_delay_alu instid0(VALU_DEP_1) | instskip(NEXT) | instid1(VALU_DEP_1)
	v_add_co_u32 v9, vcc_lo, s2, v9
	v_add_co_ci_u32_e64 v10, null, s3, v10, vcc_lo
	global_load_b64 v[9:10], v[9:10], off
	s_wait_loadcnt 0x0
	v_sub_co_u32 v17, vcc_lo, v9, s4
	s_wait_alu 0xfffd
	v_subrev_co_ci_u32_e64 v18, null, 0, v10, vcc_lo
	v_dual_mov_b32 v10, s5 :: v_dual_mov_b32 v9, s4
.LBB146_6:
	s_or_b32 exec_lo, exec_lo, s8
	s_wait_alu 0xfffe
	s_and_b32 vcc_lo, exec_lo, s7
	s_wait_alu 0xfffe
	s_cbranch_vccnz .LBB146_10
.LBB146_7:
	s_and_b32 exec_lo, exec_lo, s6
	s_cbranch_execnz .LBB146_13
.LBB146_8:
	s_endpgm
.LBB146_9:
	s_mov_b32 s6, 0
                                        ; implicit-def: $vgpr17_vgpr18
                                        ; implicit-def: $vgpr9_vgpr10
	s_cbranch_execz .LBB146_7
.LBB146_10:
	s_load_b64 s[2:3], s[0:1], 0x0
	s_wait_kmcnt 0x0
	v_cmp_gt_i64_e32 vcc_lo, s[2:3], v[11:12]
	s_and_saveexec_b32 s2, vcc_lo
; %bb.11:
	s_mov_b32 s5, 0
	s_or_b32 s6, s6, exec_lo
; %bb.12:
	s_wait_alu 0xfffe
	s_or_b32 exec_lo, exec_lo, s2
	v_dual_mov_b32 v10, s5 :: v_dual_mov_b32 v9, s4
	v_dual_mov_b32 v18, v12 :: v_dual_mov_b32 v17, v11
	s_and_b32 exec_lo, exec_lo, s6
	s_cbranch_execz .LBB146_8
.LBB146_13:
	s_load_b256 s[4:11], s[0:1], 0x30
	s_delay_alu instid0(VALU_DEP_1) | instskip(SKIP_2) | instid1(VALU_DEP_2)
	v_lshlrev_b64_e32 v[11:12], 3, v[17:18]
	v_and_b32_e32 v0, 7, v0
	s_wait_kmcnt 0x0
	v_add_co_u32 v13, vcc_lo, s4, v11
	s_wait_alu 0xfffd
	s_delay_alu instid0(VALU_DEP_3)
	v_add_co_ci_u32_e64 v14, null, s5, v12, vcc_lo
	v_add_co_u32 v11, vcc_lo, s6, v11
	s_wait_alu 0xfffd
	v_add_co_ci_u32_e64 v12, null, s7, v12, vcc_lo
	global_load_b64 v[15:16], v[13:14], off
	v_add_co_u32 v13, vcc_lo, v13, 8
	s_wait_alu 0xfffd
	v_add_co_ci_u32_e64 v14, null, 0, v14, vcc_lo
	s_cmp_eq_u64 s[6:7], 0
	s_cselect_b32 vcc_lo, -1, 0
	s_wait_alu 0xfffe
	v_dual_cndmask_b32 v12, v12, v14 :: v_dual_cndmask_b32 v11, v11, v13
	global_load_b64 v[11:12], v[11:12], off
	s_clause 0x1
	s_load_b32 s3, s[0:1], 0x8
	s_load_b64 s[4:5], s[0:1], 0x50
	s_wait_kmcnt 0x0
	s_cmp_eq_u32 s3, 1
	s_wait_loadcnt 0x1
	v_sub_co_u32 v13, vcc_lo, v15, v9
	s_wait_alu 0xfffd
	v_sub_co_ci_u32_e64 v14, null, v16, v10, vcc_lo
	s_delay_alu instid0(VALU_DEP_2) | instskip(SKIP_1) | instid1(VALU_DEP_2)
	v_add_co_u32 v13, vcc_lo, v13, v0
	s_wait_alu 0xfffd
	v_add_co_ci_u32_e64 v14, null, 0, v14, vcc_lo
	s_delay_alu instid0(VALU_DEP_2) | instskip(SKIP_4) | instid1(VALU_DEP_3)
	v_mad_co_u64_u32 v[15:16], null, 0x48, v13, s[10:11]
	s_wait_loadcnt 0x0
	v_sub_co_u32 v19, vcc_lo, v11, v9
	s_wait_alu 0xfffd
	v_sub_co_ci_u32_e64 v20, null, v12, v10, vcc_lo
	v_mad_co_u64_u32 v[21:22], null, 0x48, v14, v[16:17]
	s_delay_alu instid0(VALU_DEP_2) | instskip(NEXT) | instid1(VALU_DEP_2)
	v_cmp_lt_i64_e64 s2, v[13:14], v[19:20]
	v_mov_b32_e32 v16, v21
	s_cbranch_scc1 .LBB146_19
; %bb.14:
	v_mov_b32_e32 v11, 0
	v_mov_b32_e32 v23, 0
	v_dual_mov_b32 v27, 0 :: v_dual_mov_b32 v12, 0
	v_dual_mov_b32 v21, 0 :: v_dual_mov_b32 v24, 0
	;; [unrolled: 1-line block ×4, first 2 shown]
	v_mov_b32_e32 v26, 0
	v_mov_b32_e32 v30, 0
	s_and_saveexec_b32 s6, s2
	s_cbranch_execz .LBB146_18
; %bb.15:
	v_lshlrev_b64_e32 v[21:22], 3, v[13:14]
	v_mov_b32_e32 v25, 0
	v_dual_mov_b32 v11, 0 :: v_dual_mov_b32 v32, v14
	v_dual_mov_b32 v26, 0 :: v_dual_mov_b32 v27, 0
	s_delay_alu instid0(VALU_DEP_4)
	v_add_co_u32 v33, vcc_lo, s8, v21
	s_wait_alu 0xfffd
	v_add_co_ci_u32_e64 v34, null, s9, v22, vcc_lo
	v_mov_b32_e32 v21, 0
	v_dual_mov_b32 v22, 0 :: v_dual_mov_b32 v23, 0
	v_dual_mov_b32 v29, 0 :: v_dual_mov_b32 v36, v16
	;; [unrolled: 1-line block ×3, first 2 shown]
	v_mov_b32_e32 v24, 0
	v_mov_b32_e32 v28, 0
	v_dual_mov_b32 v30, 0 :: v_dual_mov_b32 v35, v15
	s_mov_b32 s7, 0
.LBB146_16:                             ; =>This Inner Loop Header: Depth=1
	global_load_b64 v[37:38], v[33:34], off
	v_add_co_u32 v33, s3, v33, 64
	s_wait_alu 0xf1ff
	v_add_co_ci_u32_e64 v34, null, 0, v34, s3
	s_wait_loadcnt 0x0
	v_sub_co_u32 v37, vcc_lo, v37, v9
	s_wait_alu 0xfffd
	v_sub_co_ci_u32_e64 v42, null, v38, v10, vcc_lo
	v_add_co_u32 v31, vcc_lo, v31, 8
	s_delay_alu instid0(VALU_DEP_3) | instskip(SKIP_4) | instid1(VALU_DEP_1)
	v_mad_co_u64_u32 v[61:62], null, v37, 48, s[4:5]
	global_load_b128 v[37:40], v[35:36], off offset:48
	s_wait_alu 0xfffd
	v_add_co_ci_u32_e64 v32, null, 0, v32, vcc_lo
	v_mov_b32_e32 v41, v62
	v_mad_co_u64_u32 v[49:50], null, v42, 48, v[41:42]
	s_clause 0x1
	global_load_b128 v[41:44], v[35:36], off offset:16
	global_load_b128 v[45:48], v[35:36], off
	v_mov_b32_e32 v62, v49
	s_clause 0x1
	global_load_b128 v[49:52], v[61:62], off
	global_load_b128 v[53:56], v[61:62], off offset:16
	s_clause 0x1
	global_load_b128 v[57:60], v[35:36], off offset:32
	global_load_b64 v[65:66], v[35:36], off offset:64
	global_load_b128 v[61:64], v[61:62], off offset:32
	v_add_co_u32 v35, vcc_lo, 0x240, v35
	s_wait_alu 0xfffd
	v_add_co_ci_u32_e64 v36, null, 0, v36, vcc_lo
	v_cmp_ge_i64_e32 vcc_lo, v[31:32], v[19:20]
	s_wait_alu 0xfffe
	s_or_b32 s7, vcc_lo, s7
	s_wait_loadcnt 0x4
	v_fma_f64 v[21:22], v[45:46], v[49:50], v[21:22]
	v_fma_f64 v[11:12], v[49:50], 0, v[11:12]
	;; [unrolled: 1-line block ×12, first 2 shown]
	s_wait_loadcnt 0x3
	v_fma_f64 v[21:22], v[47:48], v[53:54], v[21:22]
	v_fma_f64 v[11:12], v[53:54], 0, v[11:12]
	s_wait_loadcnt 0x2
	v_fma_f64 v[25:26], v[57:58], v[53:54], v[25:26]
	v_fma_f64 v[23:24], v[53:54], 0, v[23:24]
	;; [unrolled: 1-line block ×10, first 2 shown]
	s_wait_loadcnt 0x0
	v_fma_f64 v[21:22], v[41:42], v[61:62], v[21:22]
	v_fma_f64 v[11:12], v[61:62], 0, v[11:12]
	;; [unrolled: 1-line block ×12, first 2 shown]
	s_wait_alu 0xfffe
	s_and_not1_b32 exec_lo, exec_lo, s7
	s_cbranch_execnz .LBB146_16
; %bb.17:
	s_or_b32 exec_lo, exec_lo, s7
.LBB146_18:
	s_wait_alu 0xfffe
	s_or_b32 exec_lo, exec_lo, s6
	s_cbranch_execz .LBB146_20
	s_branch .LBB146_25
.LBB146_19:
                                        ; implicit-def: $vgpr11_vgpr12
                                        ; implicit-def: $vgpr21_vgpr22
                                        ; implicit-def: $vgpr23_vgpr24
                                        ; implicit-def: $vgpr25_vgpr26
                                        ; implicit-def: $vgpr27_vgpr28
                                        ; implicit-def: $vgpr29_vgpr30
.LBB146_20:
	v_mov_b32_e32 v11, 0
	v_mov_b32_e32 v23, 0
	v_dual_mov_b32 v27, 0 :: v_dual_mov_b32 v12, 0
	v_dual_mov_b32 v21, 0 :: v_dual_mov_b32 v24, 0
	;; [unrolled: 1-line block ×4, first 2 shown]
	v_mov_b32_e32 v26, 0
	v_mov_b32_e32 v30, 0
	s_and_saveexec_b32 s3, s2
	s_cbranch_execz .LBB146_24
; %bb.21:
	v_lshlrev_b64_e32 v[31:32], 3, v[13:14]
	v_mov_b32_e32 v11, 0
	v_mov_b32_e32 v23, 0
	v_dual_mov_b32 v27, 0 :: v_dual_mov_b32 v12, 0
	v_mov_b32_e32 v21, 0
	v_add_co_u32 v31, vcc_lo, s8, v31
	v_dual_mov_b32 v24, 0 :: v_dual_mov_b32 v25, 0
	v_dual_mov_b32 v28, 0 :: v_dual_mov_b32 v29, 0
	v_mov_b32_e32 v22, 0
	v_mov_b32_e32 v26, 0
	;; [unrolled: 1-line block ×3, first 2 shown]
	s_wait_alu 0xfffd
	v_add_co_ci_u32_e64 v32, null, s9, v32, vcc_lo
	s_mov_b32 s6, 0
.LBB146_22:                             ; =>This Inner Loop Header: Depth=1
	global_load_b64 v[33:34], v[31:32], off
	v_add_co_u32 v31, s2, v31, 64
	s_wait_alu 0xf1ff
	v_add_co_ci_u32_e64 v32, null, 0, v32, s2
	s_wait_loadcnt 0x0
	v_sub_co_u32 v33, vcc_lo, v33, v9
	s_wait_alu 0xfffd
	v_sub_co_ci_u32_e64 v34, null, v34, v10, vcc_lo
	v_add_co_u32 v13, vcc_lo, v13, 8
	s_delay_alu instid0(VALU_DEP_3) | instskip(SKIP_2) | instid1(VALU_DEP_2)
	v_mad_co_u64_u32 v[57:58], null, v33, 48, s[4:5]
	s_wait_alu 0xfffd
	v_add_co_ci_u32_e64 v14, null, 0, v14, vcc_lo
	v_mov_b32_e32 v33, v58
	s_delay_alu instid0(VALU_DEP_1)
	v_mad_co_u64_u32 v[41:42], null, v34, 48, v[33:34]
	s_clause 0x1
	global_load_b128 v[33:36], v[15:16], off offset:16
	global_load_b128 v[37:40], v[15:16], off
	v_mov_b32_e32 v58, v41
	s_clause 0x1
	global_load_b128 v[41:44], v[57:58], off
	global_load_b128 v[45:48], v[57:58], off offset:16
	s_clause 0x2
	global_load_b128 v[49:52], v[15:16], off offset:32
	global_load_b128 v[53:56], v[15:16], off offset:48
	global_load_b64 v[61:62], v[15:16], off offset:64
	global_load_b128 v[57:60], v[57:58], off offset:32
	v_add_co_u32 v15, vcc_lo, 0x240, v15
	s_wait_alu 0xfffd
	v_add_co_ci_u32_e64 v16, null, 0, v16, vcc_lo
	v_cmp_ge_i64_e32 vcc_lo, v[13:14], v[19:20]
	s_wait_alu 0xfffe
	s_or_b32 s6, vcc_lo, s6
	s_wait_loadcnt 0x5
	v_fma_f64 v[21:22], v[37:38], v[41:42], v[21:22]
	v_fma_f64 v[11:12], v[41:42], 0, v[11:12]
	;; [unrolled: 1-line block ×12, first 2 shown]
	s_wait_loadcnt 0x4
	v_fma_f64 v[21:22], v[35:36], v[45:46], v[21:22]
	v_fma_f64 v[11:12], v[45:46], 0, v[11:12]
	s_wait_loadcnt 0x3
	v_fma_f64 v[25:26], v[49:50], v[45:46], v[25:26]
	v_fma_f64 v[23:24], v[45:46], 0, v[23:24]
	;; [unrolled: 1-line block ×10, first 2 shown]
	s_wait_loadcnt 0x0
	v_fma_f64 v[21:22], v[53:54], v[57:58], v[21:22]
	v_fma_f64 v[11:12], v[57:58], 0, v[11:12]
	;; [unrolled: 1-line block ×12, first 2 shown]
	s_wait_alu 0xfffe
	s_and_not1_b32 exec_lo, exec_lo, s6
	s_cbranch_execnz .LBB146_22
; %bb.23:
	s_or_b32 exec_lo, exec_lo, s6
.LBB146_24:
	s_wait_alu 0xfffe
	s_or_b32 exec_lo, exec_lo, s3
.LBB146_25:
	v_mbcnt_lo_u32_b32 v35, -1, 0
	s_delay_alu instid0(VALU_DEP_1) | instskip(NEXT) | instid1(VALU_DEP_1)
	v_xor_b32_e32 v9, 4, v35
	v_cmp_gt_i32_e32 vcc_lo, 32, v9
	s_wait_alu 0xfffd
	v_cndmask_b32_e32 v9, v35, v9, vcc_lo
	s_delay_alu instid0(VALU_DEP_1)
	v_lshlrev_b32_e32 v34, 2, v9
	ds_bpermute_b32 v13, v34, v11
	ds_bpermute_b32 v14, v34, v12
	;; [unrolled: 1-line block ×6, first 2 shown]
	s_wait_dscnt 0x4
	v_add_f64_e32 v[11:12], v[11:12], v[13:14]
	s_wait_dscnt 0x2
	v_add_f64_e32 v[13:14], v[25:26], v[15:16]
	;; [unrolled: 2-line block ×3, first 2 shown]
	v_xor_b32_e32 v19, 2, v35
	s_delay_alu instid0(VALU_DEP_1)
	v_cmp_gt_i32_e32 vcc_lo, 32, v19
	s_wait_alu 0xfffd
	v_cndmask_b32_e32 v19, v35, v19, vcc_lo
	ds_bpermute_b32 v9, v34, v21
	ds_bpermute_b32 v10, v34, v22
	;; [unrolled: 1-line block ×6, first 2 shown]
	s_wait_dscnt 0x4
	v_add_f64_e32 v[9:10], v[21:22], v[9:10]
	s_wait_dscnt 0x2
	v_add_f64_e32 v[21:22], v[29:30], v[31:32]
	;; [unrolled: 2-line block ×3, first 2 shown]
	v_lshlrev_b32_e32 v34, 2, v19
	ds_bpermute_b32 v23, v34, v11
	ds_bpermute_b32 v24, v34, v12
	;; [unrolled: 1-line block ×6, first 2 shown]
	s_wait_dscnt 0x4
	v_add_f64_e32 v[23:24], v[11:12], v[23:24]
	s_wait_dscnt 0x2
	v_add_f64_e32 v[11:12], v[13:14], v[27:28]
	ds_bpermute_b32 v19, v34, v9
	ds_bpermute_b32 v20, v34, v10
	;; [unrolled: 1-line block ×6, first 2 shown]
	s_wait_dscnt 0x4
	v_add_f64_e32 v[9:10], v[9:10], v[19:20]
	v_add_f64_e32 v[19:20], v[15:16], v[29:30]
	s_wait_dscnt 0x2
	v_add_f64_e32 v[13:14], v[21:22], v[31:32]
	v_xor_b32_e32 v21, 1, v35
	s_wait_dscnt 0x0
	v_add_f64_e32 v[15:16], v[25:26], v[33:34]
	s_delay_alu instid0(VALU_DEP_2) | instskip(SKIP_3) | instid1(VALU_DEP_2)
	v_cmp_gt_i32_e32 vcc_lo, 32, v21
	s_wait_alu 0xfffd
	v_cndmask_b32_e32 v21, v35, v21, vcc_lo
	v_cmp_eq_u32_e32 vcc_lo, 7, v0
	v_lshlrev_b32_e32 v30, 2, v21
	ds_bpermute_b32 v33, v30, v23
	ds_bpermute_b32 v34, v30, v24
	;; [unrolled: 1-line block ×12, first 2 shown]
	s_and_b32 exec_lo, exec_lo, vcc_lo
	s_cbranch_execz .LBB146_8
; %bb.26:
	s_wait_dscnt 0xa
	v_add_f64_e32 v[23:24], v[23:24], v[33:34]
	s_wait_dscnt 0x4
	v_add_f64_e32 v[19:20], v[19:20], v[31:32]
	;; [unrolled: 2-line block ×3, first 2 shown]
	v_add_f64_e32 v[9:10], v[9:10], v[21:22]
	v_add_f64_e32 v[11:12], v[11:12], v[25:26]
	;; [unrolled: 1-line block ×3, first 2 shown]
	v_cmp_eq_f64_e32 vcc_lo, 0, v[1:2]
	v_cmp_eq_f64_e64 s2, 0, v[3:4]
	s_load_b64 s[0:1], s[0:1], 0x68
	v_mul_f64_e64 v[13:14], v[23:24], -v[7:8]
	v_mul_f64_e32 v[23:24], v[5:6], v[23:24]
	v_mul_f64_e64 v[25:26], v[19:20], -v[7:8]
	v_mul_f64_e32 v[19:20], v[5:6], v[19:20]
	;; [unrolled: 2-line block ×3, first 2 shown]
	s_and_b32 s2, vcc_lo, s2
	v_fma_f64 v[13:14], v[5:6], v[9:10], v[13:14]
	v_fma_f64 v[15:16], v[7:8], v[9:10], v[23:24]
	;; [unrolled: 1-line block ×6, first 2 shown]
	s_wait_alu 0xfffe
	s_and_saveexec_b32 s3, s2
	s_wait_alu 0xfffe
	s_xor_b32 s2, exec_lo, s3
	s_cbranch_execz .LBB146_28
; %bb.27:
	s_wait_kmcnt 0x0
	v_mad_co_u64_u32 v[0:1], null, v17, 48, s[0:1]
	s_delay_alu instid0(VALU_DEP_1)
	v_mad_co_u64_u32 v[1:2], null, v18, 48, v[1:2]
                                        ; implicit-def: $vgpr17_vgpr18
	s_clause 0x2
	global_store_b128 v[0:1], v[13:16], off
	global_store_b128 v[0:1], v[9:12], off offset:16
	global_store_b128 v[0:1], v[5:8], off offset:32
                                        ; implicit-def: $vgpr3_vgpr4
                                        ; implicit-def: $vgpr13_vgpr14
                                        ; implicit-def: $vgpr9_vgpr10
                                        ; implicit-def: $vgpr5_vgpr6
.LBB146_28:
	s_wait_alu 0xfffe
	s_and_not1_saveexec_b32 s2, s2
	s_cbranch_execz .LBB146_8
; %bb.29:
	s_wait_kmcnt 0x0
	v_mad_co_u64_u32 v[29:30], null, v17, 48, s[0:1]
	s_delay_alu instid0(VALU_DEP_1) | instskip(NEXT) | instid1(VALU_DEP_1)
	v_mov_b32_e32 v0, v30
	v_mad_co_u64_u32 v[17:18], null, v18, 48, v[0:1]
	s_delay_alu instid0(VALU_DEP_1)
	v_mov_b32_e32 v30, v17
	s_clause 0x2
	global_load_b128 v[17:20], v[29:30], off
	global_load_b128 v[21:24], v[29:30], off offset:16
	global_load_b128 v[25:28], v[29:30], off offset:32
	s_wait_loadcnt 0x2
	v_fma_f64 v[13:14], v[1:2], v[17:18], v[13:14]
	v_fma_f64 v[15:16], v[3:4], v[17:18], v[15:16]
	s_wait_loadcnt 0x1
	v_fma_f64 v[9:10], v[1:2], v[21:22], v[9:10]
	v_fma_f64 v[11:12], v[3:4], v[21:22], v[11:12]
	;; [unrolled: 3-line block ×3, first 2 shown]
	v_fma_f64 v[5:6], -v[3:4], v[19:20], v[13:14]
	v_fma_f64 v[7:8], v[1:2], v[19:20], v[15:16]
	v_fma_f64 v[9:10], -v[3:4], v[23:24], v[9:10]
	v_fma_f64 v[11:12], v[1:2], v[23:24], v[11:12]
	;; [unrolled: 2-line block ×3, first 2 shown]
	s_clause 0x2
	global_store_b128 v[29:30], v[5:8], off
	global_store_b128 v[29:30], v[9:12], off offset:16
	global_store_b128 v[29:30], v[13:16], off offset:32
	s_endpgm
	.section	.rodata,"a",@progbits
	.p2align	6, 0x0
	.amdhsa_kernel _ZN9rocsparseL18bsrxmvn_3x3_kernelILj256ELj8E21rocsparse_complex_numIdElldS2_S2_EEvT3_20rocsparse_direction_NS_24const_host_device_scalarIT1_EES3_PKS3_PKT2_SC_S9_PKT4_PKT5_S7_PT6_21rocsparse_index_base_b
		.amdhsa_group_segment_fixed_size 0
		.amdhsa_private_segment_fixed_size 0
		.amdhsa_kernarg_size 120
		.amdhsa_user_sgpr_count 2
		.amdhsa_user_sgpr_dispatch_ptr 0
		.amdhsa_user_sgpr_queue_ptr 0
		.amdhsa_user_sgpr_kernarg_segment_ptr 1
		.amdhsa_user_sgpr_dispatch_id 0
		.amdhsa_user_sgpr_private_segment_size 0
		.amdhsa_wavefront_size32 1
		.amdhsa_uses_dynamic_stack 0
		.amdhsa_enable_private_segment 0
		.amdhsa_system_sgpr_workgroup_id_x 1
		.amdhsa_system_sgpr_workgroup_id_y 0
		.amdhsa_system_sgpr_workgroup_id_z 0
		.amdhsa_system_sgpr_workgroup_info 0
		.amdhsa_system_vgpr_workitem_id 0
		.amdhsa_next_free_vgpr 67
		.amdhsa_next_free_sgpr 12
		.amdhsa_reserve_vcc 1
		.amdhsa_float_round_mode_32 0
		.amdhsa_float_round_mode_16_64 0
		.amdhsa_float_denorm_mode_32 3
		.amdhsa_float_denorm_mode_16_64 3
		.amdhsa_fp16_overflow 0
		.amdhsa_workgroup_processor_mode 1
		.amdhsa_memory_ordered 1
		.amdhsa_forward_progress 1
		.amdhsa_inst_pref_size 25
		.amdhsa_round_robin_scheduling 0
		.amdhsa_exception_fp_ieee_invalid_op 0
		.amdhsa_exception_fp_denorm_src 0
		.amdhsa_exception_fp_ieee_div_zero 0
		.amdhsa_exception_fp_ieee_overflow 0
		.amdhsa_exception_fp_ieee_underflow 0
		.amdhsa_exception_fp_ieee_inexact 0
		.amdhsa_exception_int_div_zero 0
	.end_amdhsa_kernel
	.section	.text._ZN9rocsparseL18bsrxmvn_3x3_kernelILj256ELj8E21rocsparse_complex_numIdElldS2_S2_EEvT3_20rocsparse_direction_NS_24const_host_device_scalarIT1_EES3_PKS3_PKT2_SC_S9_PKT4_PKT5_S7_PT6_21rocsparse_index_base_b,"axG",@progbits,_ZN9rocsparseL18bsrxmvn_3x3_kernelILj256ELj8E21rocsparse_complex_numIdElldS2_S2_EEvT3_20rocsparse_direction_NS_24const_host_device_scalarIT1_EES3_PKS3_PKT2_SC_S9_PKT4_PKT5_S7_PT6_21rocsparse_index_base_b,comdat
.Lfunc_end146:
	.size	_ZN9rocsparseL18bsrxmvn_3x3_kernelILj256ELj8E21rocsparse_complex_numIdElldS2_S2_EEvT3_20rocsparse_direction_NS_24const_host_device_scalarIT1_EES3_PKS3_PKT2_SC_S9_PKT4_PKT5_S7_PT6_21rocsparse_index_base_b, .Lfunc_end146-_ZN9rocsparseL18bsrxmvn_3x3_kernelILj256ELj8E21rocsparse_complex_numIdElldS2_S2_EEvT3_20rocsparse_direction_NS_24const_host_device_scalarIT1_EES3_PKS3_PKT2_SC_S9_PKT4_PKT5_S7_PT6_21rocsparse_index_base_b
                                        ; -- End function
	.set _ZN9rocsparseL18bsrxmvn_3x3_kernelILj256ELj8E21rocsparse_complex_numIdElldS2_S2_EEvT3_20rocsparse_direction_NS_24const_host_device_scalarIT1_EES3_PKS3_PKT2_SC_S9_PKT4_PKT5_S7_PT6_21rocsparse_index_base_b.num_vgpr, 67
	.set _ZN9rocsparseL18bsrxmvn_3x3_kernelILj256ELj8E21rocsparse_complex_numIdElldS2_S2_EEvT3_20rocsparse_direction_NS_24const_host_device_scalarIT1_EES3_PKS3_PKT2_SC_S9_PKT4_PKT5_S7_PT6_21rocsparse_index_base_b.num_agpr, 0
	.set _ZN9rocsparseL18bsrxmvn_3x3_kernelILj256ELj8E21rocsparse_complex_numIdElldS2_S2_EEvT3_20rocsparse_direction_NS_24const_host_device_scalarIT1_EES3_PKS3_PKT2_SC_S9_PKT4_PKT5_S7_PT6_21rocsparse_index_base_b.numbered_sgpr, 12
	.set _ZN9rocsparseL18bsrxmvn_3x3_kernelILj256ELj8E21rocsparse_complex_numIdElldS2_S2_EEvT3_20rocsparse_direction_NS_24const_host_device_scalarIT1_EES3_PKS3_PKT2_SC_S9_PKT4_PKT5_S7_PT6_21rocsparse_index_base_b.num_named_barrier, 0
	.set _ZN9rocsparseL18bsrxmvn_3x3_kernelILj256ELj8E21rocsparse_complex_numIdElldS2_S2_EEvT3_20rocsparse_direction_NS_24const_host_device_scalarIT1_EES3_PKS3_PKT2_SC_S9_PKT4_PKT5_S7_PT6_21rocsparse_index_base_b.private_seg_size, 0
	.set _ZN9rocsparseL18bsrxmvn_3x3_kernelILj256ELj8E21rocsparse_complex_numIdElldS2_S2_EEvT3_20rocsparse_direction_NS_24const_host_device_scalarIT1_EES3_PKS3_PKT2_SC_S9_PKT4_PKT5_S7_PT6_21rocsparse_index_base_b.uses_vcc, 1
	.set _ZN9rocsparseL18bsrxmvn_3x3_kernelILj256ELj8E21rocsparse_complex_numIdElldS2_S2_EEvT3_20rocsparse_direction_NS_24const_host_device_scalarIT1_EES3_PKS3_PKT2_SC_S9_PKT4_PKT5_S7_PT6_21rocsparse_index_base_b.uses_flat_scratch, 0
	.set _ZN9rocsparseL18bsrxmvn_3x3_kernelILj256ELj8E21rocsparse_complex_numIdElldS2_S2_EEvT3_20rocsparse_direction_NS_24const_host_device_scalarIT1_EES3_PKS3_PKT2_SC_S9_PKT4_PKT5_S7_PT6_21rocsparse_index_base_b.has_dyn_sized_stack, 0
	.set _ZN9rocsparseL18bsrxmvn_3x3_kernelILj256ELj8E21rocsparse_complex_numIdElldS2_S2_EEvT3_20rocsparse_direction_NS_24const_host_device_scalarIT1_EES3_PKS3_PKT2_SC_S9_PKT4_PKT5_S7_PT6_21rocsparse_index_base_b.has_recursion, 0
	.set _ZN9rocsparseL18bsrxmvn_3x3_kernelILj256ELj8E21rocsparse_complex_numIdElldS2_S2_EEvT3_20rocsparse_direction_NS_24const_host_device_scalarIT1_EES3_PKS3_PKT2_SC_S9_PKT4_PKT5_S7_PT6_21rocsparse_index_base_b.has_indirect_call, 0
	.section	.AMDGPU.csdata,"",@progbits
; Kernel info:
; codeLenInByte = 3196
; TotalNumSgprs: 14
; NumVgprs: 67
; ScratchSize: 0
; MemoryBound: 0
; FloatMode: 240
; IeeeMode: 1
; LDSByteSize: 0 bytes/workgroup (compile time only)
; SGPRBlocks: 0
; VGPRBlocks: 8
; NumSGPRsForWavesPerEU: 14
; NumVGPRsForWavesPerEU: 67
; Occupancy: 16
; WaveLimiterHint : 1
; COMPUTE_PGM_RSRC2:SCRATCH_EN: 0
; COMPUTE_PGM_RSRC2:USER_SGPR: 2
; COMPUTE_PGM_RSRC2:TRAP_HANDLER: 0
; COMPUTE_PGM_RSRC2:TGID_X_EN: 1
; COMPUTE_PGM_RSRC2:TGID_Y_EN: 0
; COMPUTE_PGM_RSRC2:TGID_Z_EN: 0
; COMPUTE_PGM_RSRC2:TIDIG_COMP_CNT: 0
	.section	.text._ZN9rocsparseL18bsrxmvn_3x3_kernelILj256ELj16E21rocsparse_complex_numIdElldS2_S2_EEvT3_20rocsparse_direction_NS_24const_host_device_scalarIT1_EES3_PKS3_PKT2_SC_S9_PKT4_PKT5_S7_PT6_21rocsparse_index_base_b,"axG",@progbits,_ZN9rocsparseL18bsrxmvn_3x3_kernelILj256ELj16E21rocsparse_complex_numIdElldS2_S2_EEvT3_20rocsparse_direction_NS_24const_host_device_scalarIT1_EES3_PKS3_PKT2_SC_S9_PKT4_PKT5_S7_PT6_21rocsparse_index_base_b,comdat
	.globl	_ZN9rocsparseL18bsrxmvn_3x3_kernelILj256ELj16E21rocsparse_complex_numIdElldS2_S2_EEvT3_20rocsparse_direction_NS_24const_host_device_scalarIT1_EES3_PKS3_PKT2_SC_S9_PKT4_PKT5_S7_PT6_21rocsparse_index_base_b ; -- Begin function _ZN9rocsparseL18bsrxmvn_3x3_kernelILj256ELj16E21rocsparse_complex_numIdElldS2_S2_EEvT3_20rocsparse_direction_NS_24const_host_device_scalarIT1_EES3_PKS3_PKT2_SC_S9_PKT4_PKT5_S7_PT6_21rocsparse_index_base_b
	.p2align	8
	.type	_ZN9rocsparseL18bsrxmvn_3x3_kernelILj256ELj16E21rocsparse_complex_numIdElldS2_S2_EEvT3_20rocsparse_direction_NS_24const_host_device_scalarIT1_EES3_PKS3_PKT2_SC_S9_PKT4_PKT5_S7_PT6_21rocsparse_index_base_b,@function
_ZN9rocsparseL18bsrxmvn_3x3_kernelILj256ELj16E21rocsparse_complex_numIdElldS2_S2_EEvT3_20rocsparse_direction_NS_24const_host_device_scalarIT1_EES3_PKS3_PKT2_SC_S9_PKT4_PKT5_S7_PT6_21rocsparse_index_base_b: ; @_ZN9rocsparseL18bsrxmvn_3x3_kernelILj256ELj16E21rocsparse_complex_numIdElldS2_S2_EEvT3_20rocsparse_direction_NS_24const_host_device_scalarIT1_EES3_PKS3_PKT2_SC_S9_PKT4_PKT5_S7_PT6_21rocsparse_index_base_b
; %bb.0:
	s_clause 0x1
	s_load_b64 s[4:5], s[0:1], 0x70
	s_load_b64 s[2:3], s[0:1], 0x10
	s_add_nc_u64 s[6:7], s[0:1], 16
	s_load_b64 s[8:9], s[0:1], 0x58
	s_wait_kmcnt 0x0
	s_bitcmp1_b32 s5, 0
	s_cselect_b32 s2, s6, s2
	s_cselect_b32 s3, s7, s3
	s_delay_alu instid0(SALU_CYCLE_1)
	v_dual_mov_b32 v1, s2 :: v_dual_mov_b32 v2, s3
	s_add_nc_u64 s[2:3], s[0:1], 0x58
	s_wait_alu 0xfffe
	s_cselect_b32 s2, s2, s8
	s_cselect_b32 s3, s3, s9
	flat_load_b128 v[5:8], v[1:2]
	s_wait_alu 0xfffe
	v_dual_mov_b32 v1, s2 :: v_dual_mov_b32 v2, s3
	flat_load_b128 v[1:4], v[1:2]
	s_wait_loadcnt_dscnt 0x101
	v_cmp_eq_f64_e32 vcc_lo, 0, v[5:6]
	v_cmp_eq_f64_e64 s2, 0, v[7:8]
	s_and_b32 s5, vcc_lo, s2
	s_mov_b32 s2, -1
	s_and_saveexec_b32 s3, s5
	s_cbranch_execz .LBB147_2
; %bb.1:
	s_wait_loadcnt_dscnt 0x0
	v_cmp_neq_f64_e32 vcc_lo, 1.0, v[1:2]
	v_cmp_neq_f64_e64 s2, 0, v[3:4]
	s_wait_alu 0xfffe
	s_or_b32 s2, vcc_lo, s2
	s_wait_alu 0xfffe
	s_or_not1_b32 s2, s2, exec_lo
.LBB147_2:
	s_wait_alu 0xfffe
	s_or_b32 exec_lo, exec_lo, s3
	s_and_saveexec_b32 s3, s2
	s_cbranch_execz .LBB147_8
; %bb.3:
	s_load_b64 s[2:3], s[0:1], 0x28
	v_lshrrev_b32_e32 v9, 4, v0
	v_mov_b32_e32 v12, 0
	s_delay_alu instid0(VALU_DEP_2)
	v_lshl_or_b32 v11, ttmp9, 4, v9
	s_wait_kmcnt 0x0
	s_cmp_lg_u64 s[2:3], 0
	s_cbranch_scc0 .LBB147_9
; %bb.4:
	s_load_b64 s[6:7], s[0:1], 0x20
                                        ; implicit-def: $vgpr17_vgpr18
                                        ; implicit-def: $vgpr9_vgpr10
	s_wait_kmcnt 0x0
	v_cmp_gt_i64_e32 vcc_lo, s[6:7], v[11:12]
	s_mov_b32 s7, 0
	s_mov_b32 s6, 0
	s_and_saveexec_b32 s5, vcc_lo
	s_delay_alu instid0(SALU_CYCLE_1)
	s_xor_b32 s8, exec_lo, s5
	s_cbranch_execz .LBB147_6
; %bb.5:
	v_lshlrev_b64_e32 v[9:10], 3, v[11:12]
	s_mov_b32 s5, 0
	s_mov_b32 s6, exec_lo
	s_delay_alu instid0(VALU_DEP_1) | instskip(NEXT) | instid1(VALU_DEP_1)
	v_add_co_u32 v9, vcc_lo, s2, v9
	v_add_co_ci_u32_e64 v10, null, s3, v10, vcc_lo
	global_load_b64 v[9:10], v[9:10], off
	s_wait_loadcnt 0x0
	v_sub_co_u32 v17, vcc_lo, v9, s4
	s_wait_alu 0xfffd
	v_subrev_co_ci_u32_e64 v18, null, 0, v10, vcc_lo
	v_dual_mov_b32 v10, s5 :: v_dual_mov_b32 v9, s4
.LBB147_6:
	s_or_b32 exec_lo, exec_lo, s8
	s_wait_alu 0xfffe
	s_and_b32 vcc_lo, exec_lo, s7
	s_wait_alu 0xfffe
	s_cbranch_vccnz .LBB147_10
.LBB147_7:
	s_and_b32 exec_lo, exec_lo, s6
	s_cbranch_execnz .LBB147_13
.LBB147_8:
	s_endpgm
.LBB147_9:
	s_mov_b32 s6, 0
                                        ; implicit-def: $vgpr17_vgpr18
                                        ; implicit-def: $vgpr9_vgpr10
	s_cbranch_execz .LBB147_7
.LBB147_10:
	s_load_b64 s[2:3], s[0:1], 0x0
	s_wait_kmcnt 0x0
	v_cmp_gt_i64_e32 vcc_lo, s[2:3], v[11:12]
	s_and_saveexec_b32 s2, vcc_lo
; %bb.11:
	s_mov_b32 s5, 0
	s_or_b32 s6, s6, exec_lo
; %bb.12:
	s_wait_alu 0xfffe
	s_or_b32 exec_lo, exec_lo, s2
	v_dual_mov_b32 v10, s5 :: v_dual_mov_b32 v9, s4
	v_dual_mov_b32 v18, v12 :: v_dual_mov_b32 v17, v11
	s_and_b32 exec_lo, exec_lo, s6
	s_cbranch_execz .LBB147_8
.LBB147_13:
	s_load_b256 s[4:11], s[0:1], 0x30
	s_delay_alu instid0(VALU_DEP_1) | instskip(SKIP_2) | instid1(VALU_DEP_2)
	v_lshlrev_b64_e32 v[11:12], 3, v[17:18]
	v_and_b32_e32 v0, 15, v0
	s_wait_kmcnt 0x0
	v_add_co_u32 v13, vcc_lo, s4, v11
	s_wait_alu 0xfffd
	s_delay_alu instid0(VALU_DEP_3)
	v_add_co_ci_u32_e64 v14, null, s5, v12, vcc_lo
	v_add_co_u32 v11, vcc_lo, s6, v11
	s_wait_alu 0xfffd
	v_add_co_ci_u32_e64 v12, null, s7, v12, vcc_lo
	global_load_b64 v[15:16], v[13:14], off
	v_add_co_u32 v13, vcc_lo, v13, 8
	s_wait_alu 0xfffd
	v_add_co_ci_u32_e64 v14, null, 0, v14, vcc_lo
	s_cmp_eq_u64 s[6:7], 0
	s_cselect_b32 vcc_lo, -1, 0
	s_wait_alu 0xfffe
	v_dual_cndmask_b32 v12, v12, v14 :: v_dual_cndmask_b32 v11, v11, v13
	global_load_b64 v[11:12], v[11:12], off
	s_clause 0x1
	s_load_b32 s3, s[0:1], 0x8
	s_load_b64 s[4:5], s[0:1], 0x50
	s_wait_kmcnt 0x0
	s_cmp_eq_u32 s3, 1
	s_wait_loadcnt 0x1
	v_sub_co_u32 v13, vcc_lo, v15, v9
	s_wait_alu 0xfffd
	v_sub_co_ci_u32_e64 v14, null, v16, v10, vcc_lo
	s_delay_alu instid0(VALU_DEP_2) | instskip(SKIP_1) | instid1(VALU_DEP_2)
	v_add_co_u32 v25, vcc_lo, v13, v0
	s_wait_alu 0xfffd
	v_add_co_ci_u32_e64 v26, null, 0, v14, vcc_lo
	s_delay_alu instid0(VALU_DEP_2) | instskip(SKIP_4) | instid1(VALU_DEP_3)
	v_mad_co_u64_u32 v[27:28], null, 0x48, v25, s[10:11]
	s_wait_loadcnt 0x0
	v_sub_co_u32 v29, vcc_lo, v11, v9
	s_wait_alu 0xfffd
	v_sub_co_ci_u32_e64 v30, null, v12, v10, vcc_lo
	v_mov_b32_e32 v13, v28
	s_delay_alu instid0(VALU_DEP_2) | instskip(NEXT) | instid1(VALU_DEP_2)
	v_cmp_lt_i64_e64 s2, v[25:26], v[29:30]
	v_mad_co_u64_u32 v[13:14], null, 0x48, v26, v[13:14]
	s_delay_alu instid0(VALU_DEP_1)
	v_mov_b32_e32 v28, v13
	s_cbranch_scc1 .LBB147_19
; %bb.14:
	v_mov_b32_e32 v11, 0
	v_mov_b32_e32 v15, 0
	v_dual_mov_b32 v21, 0 :: v_dual_mov_b32 v12, 0
	v_dual_mov_b32 v13, 0 :: v_dual_mov_b32 v16, 0
	;; [unrolled: 1-line block ×4, first 2 shown]
	v_mov_b32_e32 v20, 0
	v_mov_b32_e32 v24, 0
	s_and_saveexec_b32 s6, s2
	s_cbranch_execz .LBB147_18
; %bb.15:
	v_lshlrev_b64_e32 v[13:14], 3, v[25:26]
	v_mov_b32_e32 v19, 0
	v_dual_mov_b32 v11, 0 :: v_dual_mov_b32 v32, v26
	v_dual_mov_b32 v20, 0 :: v_dual_mov_b32 v21, 0
	s_delay_alu instid0(VALU_DEP_4)
	v_add_co_u32 v33, vcc_lo, s8, v13
	s_wait_alu 0xfffd
	v_add_co_ci_u32_e64 v34, null, s9, v14, vcc_lo
	v_mov_b32_e32 v13, 0
	v_dual_mov_b32 v14, 0 :: v_dual_mov_b32 v15, 0
	v_dual_mov_b32 v23, 0 :: v_dual_mov_b32 v36, v28
	;; [unrolled: 1-line block ×3, first 2 shown]
	v_mov_b32_e32 v16, 0
	v_mov_b32_e32 v22, 0
	v_dual_mov_b32 v24, 0 :: v_dual_mov_b32 v35, v27
	s_mov_b32 s7, 0
.LBB147_16:                             ; =>This Inner Loop Header: Depth=1
	global_load_b64 v[37:38], v[33:34], off
	v_add_co_u32 v33, s3, 0x80, v33
	s_wait_alu 0xf1ff
	v_add_co_ci_u32_e64 v34, null, 0, v34, s3
	s_wait_loadcnt 0x0
	v_sub_co_u32 v37, vcc_lo, v37, v9
	s_wait_alu 0xfffd
	v_sub_co_ci_u32_e64 v42, null, v38, v10, vcc_lo
	v_add_co_u32 v31, vcc_lo, v31, 16
	s_delay_alu instid0(VALU_DEP_3) | instskip(SKIP_4) | instid1(VALU_DEP_1)
	v_mad_co_u64_u32 v[61:62], null, v37, 48, s[4:5]
	global_load_b128 v[37:40], v[35:36], off offset:48
	s_wait_alu 0xfffd
	v_add_co_ci_u32_e64 v32, null, 0, v32, vcc_lo
	v_mov_b32_e32 v41, v62
	v_mad_co_u64_u32 v[49:50], null, v42, 48, v[41:42]
	s_clause 0x1
	global_load_b128 v[41:44], v[35:36], off offset:16
	global_load_b128 v[45:48], v[35:36], off
	v_mov_b32_e32 v62, v49
	s_clause 0x1
	global_load_b128 v[49:52], v[61:62], off
	global_load_b128 v[53:56], v[61:62], off offset:16
	s_clause 0x1
	global_load_b128 v[57:60], v[35:36], off offset:32
	global_load_b64 v[65:66], v[35:36], off offset:64
	global_load_b128 v[61:64], v[61:62], off offset:32
	v_add_co_u32 v35, vcc_lo, 0x480, v35
	s_wait_alu 0xfffd
	v_add_co_ci_u32_e64 v36, null, 0, v36, vcc_lo
	v_cmp_ge_i64_e32 vcc_lo, v[31:32], v[29:30]
	s_wait_alu 0xfffe
	s_or_b32 s7, vcc_lo, s7
	s_wait_loadcnt 0x4
	v_fma_f64 v[13:14], v[45:46], v[49:50], v[13:14]
	v_fma_f64 v[11:12], v[49:50], 0, v[11:12]
	;; [unrolled: 1-line block ×12, first 2 shown]
	s_wait_loadcnt 0x3
	v_fma_f64 v[13:14], v[47:48], v[53:54], v[13:14]
	v_fma_f64 v[11:12], v[53:54], 0, v[11:12]
	s_wait_loadcnt 0x2
	v_fma_f64 v[19:20], v[57:58], v[53:54], v[19:20]
	v_fma_f64 v[15:16], v[53:54], 0, v[15:16]
	v_fma_f64 v[23:24], v[39:40], v[53:54], v[23:24]
	v_fma_f64 v[21:22], v[53:54], 0, v[21:22]
	v_fma_f64 v[13:14], 0x80000000, v[55:56], v[13:14]
	v_fma_f64 v[11:12], v[47:48], v[55:56], v[11:12]
	v_fma_f64 v[19:20], 0x80000000, v[55:56], v[19:20]
	v_fma_f64 v[15:16], v[57:58], v[55:56], v[15:16]
	v_fma_f64 v[23:24], 0x80000000, v[55:56], v[23:24]
	v_fma_f64 v[21:22], v[39:40], v[55:56], v[21:22]
	s_wait_loadcnt 0x0
	v_fma_f64 v[13:14], v[41:42], v[61:62], v[13:14]
	v_fma_f64 v[11:12], v[61:62], 0, v[11:12]
	;; [unrolled: 1-line block ×12, first 2 shown]
	s_wait_alu 0xfffe
	s_and_not1_b32 exec_lo, exec_lo, s7
	s_cbranch_execnz .LBB147_16
; %bb.17:
	s_or_b32 exec_lo, exec_lo, s7
.LBB147_18:
	s_wait_alu 0xfffe
	s_or_b32 exec_lo, exec_lo, s6
	s_cbranch_execz .LBB147_20
	s_branch .LBB147_25
.LBB147_19:
                                        ; implicit-def: $vgpr11_vgpr12
                                        ; implicit-def: $vgpr13_vgpr14
                                        ; implicit-def: $vgpr15_vgpr16
                                        ; implicit-def: $vgpr19_vgpr20
                                        ; implicit-def: $vgpr21_vgpr22
                                        ; implicit-def: $vgpr23_vgpr24
.LBB147_20:
	v_mov_b32_e32 v11, 0
	v_mov_b32_e32 v15, 0
	v_dual_mov_b32 v21, 0 :: v_dual_mov_b32 v12, 0
	v_dual_mov_b32 v13, 0 :: v_dual_mov_b32 v16, 0
	v_dual_mov_b32 v19, 0 :: v_dual_mov_b32 v22, 0
	v_dual_mov_b32 v23, 0 :: v_dual_mov_b32 v14, 0
	v_mov_b32_e32 v20, 0
	v_mov_b32_e32 v24, 0
	s_and_saveexec_b32 s3, s2
	s_cbranch_execz .LBB147_24
; %bb.21:
	v_lshlrev_b64_e32 v[31:32], 3, v[25:26]
	v_mov_b32_e32 v11, 0
	v_mov_b32_e32 v15, 0
	v_dual_mov_b32 v21, 0 :: v_dual_mov_b32 v12, 0
	v_mov_b32_e32 v13, 0
	v_add_co_u32 v31, vcc_lo, s8, v31
	v_dual_mov_b32 v16, 0 :: v_dual_mov_b32 v19, 0
	v_dual_mov_b32 v22, 0 :: v_dual_mov_b32 v23, 0
	v_mov_b32_e32 v14, 0
	v_mov_b32_e32 v20, 0
	;; [unrolled: 1-line block ×3, first 2 shown]
	s_wait_alu 0xfffd
	v_add_co_ci_u32_e64 v32, null, s9, v32, vcc_lo
	s_mov_b32 s6, 0
.LBB147_22:                             ; =>This Inner Loop Header: Depth=1
	global_load_b64 v[33:34], v[31:32], off
	v_add_co_u32 v31, s2, 0x80, v31
	s_wait_alu 0xf1ff
	v_add_co_ci_u32_e64 v32, null, 0, v32, s2
	s_wait_loadcnt 0x0
	v_sub_co_u32 v33, vcc_lo, v33, v9
	s_wait_alu 0xfffd
	v_sub_co_ci_u32_e64 v34, null, v34, v10, vcc_lo
	v_add_co_u32 v25, vcc_lo, v25, 16
	s_delay_alu instid0(VALU_DEP_3) | instskip(SKIP_2) | instid1(VALU_DEP_2)
	v_mad_co_u64_u32 v[57:58], null, v33, 48, s[4:5]
	s_wait_alu 0xfffd
	v_add_co_ci_u32_e64 v26, null, 0, v26, vcc_lo
	v_mov_b32_e32 v33, v58
	s_delay_alu instid0(VALU_DEP_1)
	v_mad_co_u64_u32 v[41:42], null, v34, 48, v[33:34]
	s_clause 0x1
	global_load_b128 v[33:36], v[27:28], off offset:16
	global_load_b128 v[37:40], v[27:28], off
	v_mov_b32_e32 v58, v41
	s_clause 0x1
	global_load_b128 v[41:44], v[57:58], off
	global_load_b128 v[45:48], v[57:58], off offset:16
	s_clause 0x2
	global_load_b128 v[49:52], v[27:28], off offset:32
	global_load_b128 v[53:56], v[27:28], off offset:48
	global_load_b64 v[61:62], v[27:28], off offset:64
	global_load_b128 v[57:60], v[57:58], off offset:32
	v_add_co_u32 v27, vcc_lo, 0x480, v27
	s_wait_alu 0xfffd
	v_add_co_ci_u32_e64 v28, null, 0, v28, vcc_lo
	v_cmp_ge_i64_e32 vcc_lo, v[25:26], v[29:30]
	s_wait_alu 0xfffe
	s_or_b32 s6, vcc_lo, s6
	s_wait_loadcnt 0x5
	v_fma_f64 v[13:14], v[37:38], v[41:42], v[13:14]
	v_fma_f64 v[11:12], v[41:42], 0, v[11:12]
	;; [unrolled: 1-line block ×12, first 2 shown]
	s_wait_loadcnt 0x4
	v_fma_f64 v[13:14], v[35:36], v[45:46], v[13:14]
	v_fma_f64 v[11:12], v[45:46], 0, v[11:12]
	s_wait_loadcnt 0x3
	v_fma_f64 v[19:20], v[49:50], v[45:46], v[19:20]
	v_fma_f64 v[15:16], v[45:46], 0, v[15:16]
	;; [unrolled: 1-line block ×10, first 2 shown]
	s_wait_loadcnt 0x0
	v_fma_f64 v[13:14], v[53:54], v[57:58], v[13:14]
	v_fma_f64 v[11:12], v[57:58], 0, v[11:12]
	;; [unrolled: 1-line block ×12, first 2 shown]
	s_wait_alu 0xfffe
	s_and_not1_b32 exec_lo, exec_lo, s6
	s_cbranch_execnz .LBB147_22
; %bb.23:
	s_or_b32 exec_lo, exec_lo, s6
.LBB147_24:
	s_wait_alu 0xfffe
	s_or_b32 exec_lo, exec_lo, s3
.LBB147_25:
	v_mbcnt_lo_u32_b32 v35, -1, 0
	s_delay_alu instid0(VALU_DEP_1) | instskip(NEXT) | instid1(VALU_DEP_1)
	v_xor_b32_e32 v9, 8, v35
	v_cmp_gt_i32_e32 vcc_lo, 32, v9
	s_wait_alu 0xfffd
	v_cndmask_b32_e32 v9, v35, v9, vcc_lo
	s_delay_alu instid0(VALU_DEP_1)
	v_lshlrev_b32_e32 v34, 2, v9
	ds_bpermute_b32 v9, v34, v13
	ds_bpermute_b32 v10, v34, v14
	;; [unrolled: 1-line block ×6, first 2 shown]
	s_wait_dscnt 0x4
	v_add_f64_e32 v[9:10], v[13:14], v[9:10]
	s_wait_dscnt 0x2
	v_add_f64_e32 v[13:14], v[19:20], v[27:28]
	;; [unrolled: 2-line block ×3, first 2 shown]
	v_xor_b32_e32 v23, 4, v35
	s_delay_alu instid0(VALU_DEP_1)
	v_cmp_gt_i32_e32 vcc_lo, 32, v23
	s_wait_alu 0xfffd
	v_cndmask_b32_e32 v23, v35, v23, vcc_lo
	ds_bpermute_b32 v25, v34, v11
	ds_bpermute_b32 v26, v34, v12
	;; [unrolled: 1-line block ×6, first 2 shown]
	s_wait_dscnt 0x4
	v_add_f64_e32 v[11:12], v[11:12], v[25:26]
	s_wait_dscnt 0x2
	v_add_f64_e32 v[15:16], v[15:16], v[29:30]
	;; [unrolled: 2-line block ×3, first 2 shown]
	v_lshlrev_b32_e32 v34, 2, v23
	ds_bpermute_b32 v23, v34, v9
	ds_bpermute_b32 v24, v34, v10
	;; [unrolled: 1-line block ×6, first 2 shown]
	s_wait_dscnt 0x4
	v_add_f64_e32 v[9:10], v[9:10], v[23:24]
	s_wait_dscnt 0x2
	v_add_f64_e32 v[13:14], v[13:14], v[27:28]
	ds_bpermute_b32 v25, v34, v11
	ds_bpermute_b32 v26, v34, v12
	;; [unrolled: 1-line block ×6, first 2 shown]
	s_wait_dscnt 0x4
	v_add_f64_e32 v[11:12], v[11:12], v[25:26]
	v_add_f64_e32 v[25:26], v[19:20], v[31:32]
	s_wait_dscnt 0x2
	v_add_f64_e32 v[15:16], v[15:16], v[29:30]
	v_xor_b32_e32 v19, 2, v35
	s_wait_dscnt 0x0
	v_add_f64_e32 v[21:22], v[21:22], v[33:34]
	s_delay_alu instid0(VALU_DEP_2) | instskip(SKIP_2) | instid1(VALU_DEP_1)
	v_cmp_gt_i32_e32 vcc_lo, 32, v19
	s_wait_alu 0xfffd
	v_cndmask_b32_e32 v19, v35, v19, vcc_lo
	v_lshlrev_b32_e32 v34, 2, v19
	ds_bpermute_b32 v19, v34, v9
	ds_bpermute_b32 v20, v34, v10
	;; [unrolled: 1-line block ×12, first 2 shown]
	s_wait_dscnt 0xa
	v_add_f64_e32 v[9:10], v[9:10], v[19:20]
	s_wait_dscnt 0x6
	v_add_f64_e32 v[23:24], v[11:12], v[23:24]
	v_add_f64_e32 v[11:12], v[13:14], v[27:28]
	s_wait_dscnt 0x4
	v_add_f64_e32 v[19:20], v[15:16], v[29:30]
	s_wait_dscnt 0x2
	;; [unrolled: 2-line block ×3, first 2 shown]
	v_add_f64_e32 v[15:16], v[21:22], v[33:34]
	v_xor_b32_e32 v21, 1, v35
	s_delay_alu instid0(VALU_DEP_1) | instskip(SKIP_3) | instid1(VALU_DEP_2)
	v_cmp_gt_i32_e32 vcc_lo, 32, v21
	s_wait_alu 0xfffd
	v_cndmask_b32_e32 v21, v35, v21, vcc_lo
	v_cmp_eq_u32_e32 vcc_lo, 15, v0
	v_lshlrev_b32_e32 v30, 2, v21
	ds_bpermute_b32 v21, v30, v9
	ds_bpermute_b32 v22, v30, v10
	;; [unrolled: 1-line block ×12, first 2 shown]
	s_and_b32 exec_lo, exec_lo, vcc_lo
	s_cbranch_execz .LBB147_8
; %bb.26:
	s_wait_dscnt 0x8
	v_add_f64_e32 v[23:24], v[23:24], v[33:34]
	s_wait_dscnt 0x4
	v_add_f64_e32 v[19:20], v[19:20], v[31:32]
	;; [unrolled: 2-line block ×3, first 2 shown]
	v_add_f64_e32 v[9:10], v[9:10], v[21:22]
	v_add_f64_e32 v[11:12], v[11:12], v[25:26]
	;; [unrolled: 1-line block ×3, first 2 shown]
	v_cmp_eq_f64_e32 vcc_lo, 0, v[1:2]
	v_cmp_eq_f64_e64 s2, 0, v[3:4]
	s_load_b64 s[0:1], s[0:1], 0x68
	v_mul_f64_e64 v[13:14], v[23:24], -v[7:8]
	v_mul_f64_e32 v[23:24], v[5:6], v[23:24]
	v_mul_f64_e64 v[25:26], v[19:20], -v[7:8]
	v_mul_f64_e32 v[19:20], v[5:6], v[19:20]
	;; [unrolled: 2-line block ×3, first 2 shown]
	s_and_b32 s2, vcc_lo, s2
	v_fma_f64 v[13:14], v[5:6], v[9:10], v[13:14]
	v_fma_f64 v[15:16], v[7:8], v[9:10], v[23:24]
	;; [unrolled: 1-line block ×6, first 2 shown]
	s_wait_alu 0xfffe
	s_and_saveexec_b32 s3, s2
	s_wait_alu 0xfffe
	s_xor_b32 s2, exec_lo, s3
	s_cbranch_execz .LBB147_28
; %bb.27:
	s_wait_kmcnt 0x0
	v_mad_co_u64_u32 v[0:1], null, v17, 48, s[0:1]
	s_delay_alu instid0(VALU_DEP_1)
	v_mad_co_u64_u32 v[1:2], null, v18, 48, v[1:2]
                                        ; implicit-def: $vgpr17_vgpr18
	s_clause 0x2
	global_store_b128 v[0:1], v[13:16], off
	global_store_b128 v[0:1], v[9:12], off offset:16
	global_store_b128 v[0:1], v[5:8], off offset:32
                                        ; implicit-def: $vgpr3_vgpr4
                                        ; implicit-def: $vgpr13_vgpr14
                                        ; implicit-def: $vgpr9_vgpr10
                                        ; implicit-def: $vgpr5_vgpr6
.LBB147_28:
	s_wait_alu 0xfffe
	s_and_not1_saveexec_b32 s2, s2
	s_cbranch_execz .LBB147_8
; %bb.29:
	s_wait_kmcnt 0x0
	v_mad_co_u64_u32 v[29:30], null, v17, 48, s[0:1]
	s_delay_alu instid0(VALU_DEP_1) | instskip(NEXT) | instid1(VALU_DEP_1)
	v_mov_b32_e32 v0, v30
	v_mad_co_u64_u32 v[17:18], null, v18, 48, v[0:1]
	s_delay_alu instid0(VALU_DEP_1)
	v_mov_b32_e32 v30, v17
	s_clause 0x2
	global_load_b128 v[17:20], v[29:30], off
	global_load_b128 v[21:24], v[29:30], off offset:16
	global_load_b128 v[25:28], v[29:30], off offset:32
	s_wait_loadcnt 0x2
	v_fma_f64 v[13:14], v[1:2], v[17:18], v[13:14]
	v_fma_f64 v[15:16], v[3:4], v[17:18], v[15:16]
	s_wait_loadcnt 0x1
	v_fma_f64 v[9:10], v[1:2], v[21:22], v[9:10]
	v_fma_f64 v[11:12], v[3:4], v[21:22], v[11:12]
	;; [unrolled: 3-line block ×3, first 2 shown]
	v_fma_f64 v[5:6], -v[3:4], v[19:20], v[13:14]
	v_fma_f64 v[7:8], v[1:2], v[19:20], v[15:16]
	v_fma_f64 v[9:10], -v[3:4], v[23:24], v[9:10]
	v_fma_f64 v[11:12], v[1:2], v[23:24], v[11:12]
	;; [unrolled: 2-line block ×3, first 2 shown]
	s_clause 0x2
	global_store_b128 v[29:30], v[5:8], off
	global_store_b128 v[29:30], v[9:12], off offset:16
	global_store_b128 v[29:30], v[13:16], off offset:32
	s_endpgm
	.section	.rodata,"a",@progbits
	.p2align	6, 0x0
	.amdhsa_kernel _ZN9rocsparseL18bsrxmvn_3x3_kernelILj256ELj16E21rocsparse_complex_numIdElldS2_S2_EEvT3_20rocsparse_direction_NS_24const_host_device_scalarIT1_EES3_PKS3_PKT2_SC_S9_PKT4_PKT5_S7_PT6_21rocsparse_index_base_b
		.amdhsa_group_segment_fixed_size 0
		.amdhsa_private_segment_fixed_size 0
		.amdhsa_kernarg_size 120
		.amdhsa_user_sgpr_count 2
		.amdhsa_user_sgpr_dispatch_ptr 0
		.amdhsa_user_sgpr_queue_ptr 0
		.amdhsa_user_sgpr_kernarg_segment_ptr 1
		.amdhsa_user_sgpr_dispatch_id 0
		.amdhsa_user_sgpr_private_segment_size 0
		.amdhsa_wavefront_size32 1
		.amdhsa_uses_dynamic_stack 0
		.amdhsa_enable_private_segment 0
		.amdhsa_system_sgpr_workgroup_id_x 1
		.amdhsa_system_sgpr_workgroup_id_y 0
		.amdhsa_system_sgpr_workgroup_id_z 0
		.amdhsa_system_sgpr_workgroup_info 0
		.amdhsa_system_vgpr_workitem_id 0
		.amdhsa_next_free_vgpr 67
		.amdhsa_next_free_sgpr 12
		.amdhsa_reserve_vcc 1
		.amdhsa_float_round_mode_32 0
		.amdhsa_float_round_mode_16_64 0
		.amdhsa_float_denorm_mode_32 3
		.amdhsa_float_denorm_mode_16_64 3
		.amdhsa_fp16_overflow 0
		.amdhsa_workgroup_processor_mode 1
		.amdhsa_memory_ordered 1
		.amdhsa_forward_progress 1
		.amdhsa_inst_pref_size 27
		.amdhsa_round_robin_scheduling 0
		.amdhsa_exception_fp_ieee_invalid_op 0
		.amdhsa_exception_fp_denorm_src 0
		.amdhsa_exception_fp_ieee_div_zero 0
		.amdhsa_exception_fp_ieee_overflow 0
		.amdhsa_exception_fp_ieee_underflow 0
		.amdhsa_exception_fp_ieee_inexact 0
		.amdhsa_exception_int_div_zero 0
	.end_amdhsa_kernel
	.section	.text._ZN9rocsparseL18bsrxmvn_3x3_kernelILj256ELj16E21rocsparse_complex_numIdElldS2_S2_EEvT3_20rocsparse_direction_NS_24const_host_device_scalarIT1_EES3_PKS3_PKT2_SC_S9_PKT4_PKT5_S7_PT6_21rocsparse_index_base_b,"axG",@progbits,_ZN9rocsparseL18bsrxmvn_3x3_kernelILj256ELj16E21rocsparse_complex_numIdElldS2_S2_EEvT3_20rocsparse_direction_NS_24const_host_device_scalarIT1_EES3_PKS3_PKT2_SC_S9_PKT4_PKT5_S7_PT6_21rocsparse_index_base_b,comdat
.Lfunc_end147:
	.size	_ZN9rocsparseL18bsrxmvn_3x3_kernelILj256ELj16E21rocsparse_complex_numIdElldS2_S2_EEvT3_20rocsparse_direction_NS_24const_host_device_scalarIT1_EES3_PKS3_PKT2_SC_S9_PKT4_PKT5_S7_PT6_21rocsparse_index_base_b, .Lfunc_end147-_ZN9rocsparseL18bsrxmvn_3x3_kernelILj256ELj16E21rocsparse_complex_numIdElldS2_S2_EEvT3_20rocsparse_direction_NS_24const_host_device_scalarIT1_EES3_PKS3_PKT2_SC_S9_PKT4_PKT5_S7_PT6_21rocsparse_index_base_b
                                        ; -- End function
	.set _ZN9rocsparseL18bsrxmvn_3x3_kernelILj256ELj16E21rocsparse_complex_numIdElldS2_S2_EEvT3_20rocsparse_direction_NS_24const_host_device_scalarIT1_EES3_PKS3_PKT2_SC_S9_PKT4_PKT5_S7_PT6_21rocsparse_index_base_b.num_vgpr, 67
	.set _ZN9rocsparseL18bsrxmvn_3x3_kernelILj256ELj16E21rocsparse_complex_numIdElldS2_S2_EEvT3_20rocsparse_direction_NS_24const_host_device_scalarIT1_EES3_PKS3_PKT2_SC_S9_PKT4_PKT5_S7_PT6_21rocsparse_index_base_b.num_agpr, 0
	.set _ZN9rocsparseL18bsrxmvn_3x3_kernelILj256ELj16E21rocsparse_complex_numIdElldS2_S2_EEvT3_20rocsparse_direction_NS_24const_host_device_scalarIT1_EES3_PKS3_PKT2_SC_S9_PKT4_PKT5_S7_PT6_21rocsparse_index_base_b.numbered_sgpr, 12
	.set _ZN9rocsparseL18bsrxmvn_3x3_kernelILj256ELj16E21rocsparse_complex_numIdElldS2_S2_EEvT3_20rocsparse_direction_NS_24const_host_device_scalarIT1_EES3_PKS3_PKT2_SC_S9_PKT4_PKT5_S7_PT6_21rocsparse_index_base_b.num_named_barrier, 0
	.set _ZN9rocsparseL18bsrxmvn_3x3_kernelILj256ELj16E21rocsparse_complex_numIdElldS2_S2_EEvT3_20rocsparse_direction_NS_24const_host_device_scalarIT1_EES3_PKS3_PKT2_SC_S9_PKT4_PKT5_S7_PT6_21rocsparse_index_base_b.private_seg_size, 0
	.set _ZN9rocsparseL18bsrxmvn_3x3_kernelILj256ELj16E21rocsparse_complex_numIdElldS2_S2_EEvT3_20rocsparse_direction_NS_24const_host_device_scalarIT1_EES3_PKS3_PKT2_SC_S9_PKT4_PKT5_S7_PT6_21rocsparse_index_base_b.uses_vcc, 1
	.set _ZN9rocsparseL18bsrxmvn_3x3_kernelILj256ELj16E21rocsparse_complex_numIdElldS2_S2_EEvT3_20rocsparse_direction_NS_24const_host_device_scalarIT1_EES3_PKS3_PKT2_SC_S9_PKT4_PKT5_S7_PT6_21rocsparse_index_base_b.uses_flat_scratch, 0
	.set _ZN9rocsparseL18bsrxmvn_3x3_kernelILj256ELj16E21rocsparse_complex_numIdElldS2_S2_EEvT3_20rocsparse_direction_NS_24const_host_device_scalarIT1_EES3_PKS3_PKT2_SC_S9_PKT4_PKT5_S7_PT6_21rocsparse_index_base_b.has_dyn_sized_stack, 0
	.set _ZN9rocsparseL18bsrxmvn_3x3_kernelILj256ELj16E21rocsparse_complex_numIdElldS2_S2_EEvT3_20rocsparse_direction_NS_24const_host_device_scalarIT1_EES3_PKS3_PKT2_SC_S9_PKT4_PKT5_S7_PT6_21rocsparse_index_base_b.has_recursion, 0
	.set _ZN9rocsparseL18bsrxmvn_3x3_kernelILj256ELj16E21rocsparse_complex_numIdElldS2_S2_EEvT3_20rocsparse_direction_NS_24const_host_device_scalarIT1_EES3_PKS3_PKT2_SC_S9_PKT4_PKT5_S7_PT6_21rocsparse_index_base_b.has_indirect_call, 0
	.section	.AMDGPU.csdata,"",@progbits
; Kernel info:
; codeLenInByte = 3376
; TotalNumSgprs: 14
; NumVgprs: 67
; ScratchSize: 0
; MemoryBound: 0
; FloatMode: 240
; IeeeMode: 1
; LDSByteSize: 0 bytes/workgroup (compile time only)
; SGPRBlocks: 0
; VGPRBlocks: 8
; NumSGPRsForWavesPerEU: 14
; NumVGPRsForWavesPerEU: 67
; Occupancy: 16
; WaveLimiterHint : 1
; COMPUTE_PGM_RSRC2:SCRATCH_EN: 0
; COMPUTE_PGM_RSRC2:USER_SGPR: 2
; COMPUTE_PGM_RSRC2:TRAP_HANDLER: 0
; COMPUTE_PGM_RSRC2:TGID_X_EN: 1
; COMPUTE_PGM_RSRC2:TGID_Y_EN: 0
; COMPUTE_PGM_RSRC2:TGID_Z_EN: 0
; COMPUTE_PGM_RSRC2:TIDIG_COMP_CNT: 0
	.section	.text._ZN9rocsparseL18bsrxmvn_3x3_kernelILj256ELj32E21rocsparse_complex_numIdElldS2_S2_EEvT3_20rocsparse_direction_NS_24const_host_device_scalarIT1_EES3_PKS3_PKT2_SC_S9_PKT4_PKT5_S7_PT6_21rocsparse_index_base_b,"axG",@progbits,_ZN9rocsparseL18bsrxmvn_3x3_kernelILj256ELj32E21rocsparse_complex_numIdElldS2_S2_EEvT3_20rocsparse_direction_NS_24const_host_device_scalarIT1_EES3_PKS3_PKT2_SC_S9_PKT4_PKT5_S7_PT6_21rocsparse_index_base_b,comdat
	.globl	_ZN9rocsparseL18bsrxmvn_3x3_kernelILj256ELj32E21rocsparse_complex_numIdElldS2_S2_EEvT3_20rocsparse_direction_NS_24const_host_device_scalarIT1_EES3_PKS3_PKT2_SC_S9_PKT4_PKT5_S7_PT6_21rocsparse_index_base_b ; -- Begin function _ZN9rocsparseL18bsrxmvn_3x3_kernelILj256ELj32E21rocsparse_complex_numIdElldS2_S2_EEvT3_20rocsparse_direction_NS_24const_host_device_scalarIT1_EES3_PKS3_PKT2_SC_S9_PKT4_PKT5_S7_PT6_21rocsparse_index_base_b
	.p2align	8
	.type	_ZN9rocsparseL18bsrxmvn_3x3_kernelILj256ELj32E21rocsparse_complex_numIdElldS2_S2_EEvT3_20rocsparse_direction_NS_24const_host_device_scalarIT1_EES3_PKS3_PKT2_SC_S9_PKT4_PKT5_S7_PT6_21rocsparse_index_base_b,@function
_ZN9rocsparseL18bsrxmvn_3x3_kernelILj256ELj32E21rocsparse_complex_numIdElldS2_S2_EEvT3_20rocsparse_direction_NS_24const_host_device_scalarIT1_EES3_PKS3_PKT2_SC_S9_PKT4_PKT5_S7_PT6_21rocsparse_index_base_b: ; @_ZN9rocsparseL18bsrxmvn_3x3_kernelILj256ELj32E21rocsparse_complex_numIdElldS2_S2_EEvT3_20rocsparse_direction_NS_24const_host_device_scalarIT1_EES3_PKS3_PKT2_SC_S9_PKT4_PKT5_S7_PT6_21rocsparse_index_base_b
; %bb.0:
	s_clause 0x1
	s_load_b64 s[4:5], s[0:1], 0x70
	s_load_b64 s[2:3], s[0:1], 0x10
	s_add_nc_u64 s[6:7], s[0:1], 16
	s_load_b64 s[8:9], s[0:1], 0x58
	s_wait_kmcnt 0x0
	s_bitcmp1_b32 s5, 0
	s_cselect_b32 s2, s6, s2
	s_cselect_b32 s3, s7, s3
	s_delay_alu instid0(SALU_CYCLE_1)
	v_dual_mov_b32 v1, s2 :: v_dual_mov_b32 v2, s3
	s_add_nc_u64 s[2:3], s[0:1], 0x58
	s_wait_alu 0xfffe
	s_cselect_b32 s2, s2, s8
	s_cselect_b32 s3, s3, s9
	flat_load_b128 v[5:8], v[1:2]
	s_wait_alu 0xfffe
	v_dual_mov_b32 v1, s2 :: v_dual_mov_b32 v2, s3
	flat_load_b128 v[1:4], v[1:2]
	s_wait_loadcnt_dscnt 0x101
	v_cmp_eq_f64_e32 vcc_lo, 0, v[5:6]
	v_cmp_eq_f64_e64 s2, 0, v[7:8]
	s_and_b32 s5, vcc_lo, s2
	s_mov_b32 s2, -1
	s_and_saveexec_b32 s3, s5
	s_cbranch_execz .LBB148_2
; %bb.1:
	s_wait_loadcnt_dscnt 0x0
	v_cmp_neq_f64_e32 vcc_lo, 1.0, v[1:2]
	v_cmp_neq_f64_e64 s2, 0, v[3:4]
	s_wait_alu 0xfffe
	s_or_b32 s2, vcc_lo, s2
	s_wait_alu 0xfffe
	s_or_not1_b32 s2, s2, exec_lo
.LBB148_2:
	s_wait_alu 0xfffe
	s_or_b32 exec_lo, exec_lo, s3
	s_and_saveexec_b32 s3, s2
	s_cbranch_execz .LBB148_8
; %bb.3:
	s_load_b64 s[2:3], s[0:1], 0x28
	v_lshrrev_b32_e32 v9, 5, v0
	v_mov_b32_e32 v12, 0
	s_delay_alu instid0(VALU_DEP_2)
	v_lshl_or_b32 v11, ttmp9, 3, v9
	s_wait_kmcnt 0x0
	s_cmp_lg_u64 s[2:3], 0
	s_cbranch_scc0 .LBB148_9
; %bb.4:
	s_load_b64 s[6:7], s[0:1], 0x20
                                        ; implicit-def: $vgpr17_vgpr18
                                        ; implicit-def: $vgpr9_vgpr10
	s_wait_kmcnt 0x0
	v_cmp_gt_i64_e32 vcc_lo, s[6:7], v[11:12]
	s_mov_b32 s7, 0
	s_mov_b32 s6, 0
	s_and_saveexec_b32 s5, vcc_lo
	s_delay_alu instid0(SALU_CYCLE_1)
	s_xor_b32 s8, exec_lo, s5
	s_cbranch_execz .LBB148_6
; %bb.5:
	v_lshlrev_b64_e32 v[9:10], 3, v[11:12]
	s_mov_b32 s5, 0
	s_mov_b32 s6, exec_lo
	s_delay_alu instid0(VALU_DEP_1) | instskip(NEXT) | instid1(VALU_DEP_1)
	v_add_co_u32 v9, vcc_lo, s2, v9
	v_add_co_ci_u32_e64 v10, null, s3, v10, vcc_lo
	global_load_b64 v[9:10], v[9:10], off
	s_wait_loadcnt 0x0
	v_sub_co_u32 v17, vcc_lo, v9, s4
	s_wait_alu 0xfffd
	v_subrev_co_ci_u32_e64 v18, null, 0, v10, vcc_lo
	v_dual_mov_b32 v10, s5 :: v_dual_mov_b32 v9, s4
.LBB148_6:
	s_or_b32 exec_lo, exec_lo, s8
	s_wait_alu 0xfffe
	s_and_b32 vcc_lo, exec_lo, s7
	s_wait_alu 0xfffe
	s_cbranch_vccnz .LBB148_10
.LBB148_7:
	s_and_b32 exec_lo, exec_lo, s6
	s_cbranch_execnz .LBB148_13
.LBB148_8:
	s_endpgm
.LBB148_9:
	s_mov_b32 s6, 0
                                        ; implicit-def: $vgpr17_vgpr18
                                        ; implicit-def: $vgpr9_vgpr10
	s_cbranch_execz .LBB148_7
.LBB148_10:
	s_load_b64 s[2:3], s[0:1], 0x0
	s_wait_kmcnt 0x0
	v_cmp_gt_i64_e32 vcc_lo, s[2:3], v[11:12]
	s_and_saveexec_b32 s2, vcc_lo
; %bb.11:
	s_mov_b32 s5, 0
	s_or_b32 s6, s6, exec_lo
; %bb.12:
	s_wait_alu 0xfffe
	s_or_b32 exec_lo, exec_lo, s2
	v_dual_mov_b32 v10, s5 :: v_dual_mov_b32 v9, s4
	v_dual_mov_b32 v18, v12 :: v_dual_mov_b32 v17, v11
	s_and_b32 exec_lo, exec_lo, s6
	s_cbranch_execz .LBB148_8
.LBB148_13:
	s_load_b256 s[4:11], s[0:1], 0x30
	s_delay_alu instid0(VALU_DEP_1) | instskip(SKIP_2) | instid1(VALU_DEP_2)
	v_lshlrev_b64_e32 v[11:12], 3, v[17:18]
	v_and_b32_e32 v0, 31, v0
	s_wait_kmcnt 0x0
	v_add_co_u32 v13, vcc_lo, s4, v11
	s_wait_alu 0xfffd
	s_delay_alu instid0(VALU_DEP_3)
	v_add_co_ci_u32_e64 v14, null, s5, v12, vcc_lo
	v_add_co_u32 v11, vcc_lo, s6, v11
	s_wait_alu 0xfffd
	v_add_co_ci_u32_e64 v12, null, s7, v12, vcc_lo
	global_load_b64 v[15:16], v[13:14], off
	v_add_co_u32 v13, vcc_lo, v13, 8
	s_wait_alu 0xfffd
	v_add_co_ci_u32_e64 v14, null, 0, v14, vcc_lo
	s_cmp_eq_u64 s[6:7], 0
	s_cselect_b32 vcc_lo, -1, 0
	s_wait_alu 0xfffe
	v_dual_cndmask_b32 v12, v12, v14 :: v_dual_cndmask_b32 v11, v11, v13
	global_load_b64 v[11:12], v[11:12], off
	s_clause 0x1
	s_load_b32 s3, s[0:1], 0x8
	s_load_b64 s[4:5], s[0:1], 0x50
	s_wait_kmcnt 0x0
	s_cmp_eq_u32 s3, 1
	s_wait_loadcnt 0x1
	v_sub_co_u32 v13, vcc_lo, v15, v9
	s_wait_alu 0xfffd
	v_sub_co_ci_u32_e64 v14, null, v16, v10, vcc_lo
	s_delay_alu instid0(VALU_DEP_2) | instskip(SKIP_1) | instid1(VALU_DEP_2)
	v_add_co_u32 v25, vcc_lo, v13, v0
	s_wait_alu 0xfffd
	v_add_co_ci_u32_e64 v26, null, 0, v14, vcc_lo
	s_delay_alu instid0(VALU_DEP_2) | instskip(SKIP_4) | instid1(VALU_DEP_3)
	v_mad_co_u64_u32 v[27:28], null, 0x48, v25, s[10:11]
	s_wait_loadcnt 0x0
	v_sub_co_u32 v29, vcc_lo, v11, v9
	s_wait_alu 0xfffd
	v_sub_co_ci_u32_e64 v30, null, v12, v10, vcc_lo
	v_mov_b32_e32 v13, v28
	s_delay_alu instid0(VALU_DEP_2) | instskip(NEXT) | instid1(VALU_DEP_2)
	v_cmp_lt_i64_e64 s2, v[25:26], v[29:30]
	v_mad_co_u64_u32 v[13:14], null, 0x48, v26, v[13:14]
	s_delay_alu instid0(VALU_DEP_1)
	v_mov_b32_e32 v28, v13
	s_cbranch_scc1 .LBB148_19
; %bb.14:
	v_mov_b32_e32 v11, 0
	v_mov_b32_e32 v15, 0
	v_dual_mov_b32 v21, 0 :: v_dual_mov_b32 v12, 0
	v_dual_mov_b32 v13, 0 :: v_dual_mov_b32 v16, 0
	;; [unrolled: 1-line block ×4, first 2 shown]
	v_mov_b32_e32 v20, 0
	v_mov_b32_e32 v24, 0
	s_and_saveexec_b32 s6, s2
	s_cbranch_execz .LBB148_18
; %bb.15:
	v_lshlrev_b64_e32 v[13:14], 3, v[25:26]
	v_mov_b32_e32 v19, 0
	v_dual_mov_b32 v11, 0 :: v_dual_mov_b32 v32, v26
	v_dual_mov_b32 v20, 0 :: v_dual_mov_b32 v21, 0
	s_delay_alu instid0(VALU_DEP_4)
	v_add_co_u32 v33, vcc_lo, s8, v13
	s_wait_alu 0xfffd
	v_add_co_ci_u32_e64 v34, null, s9, v14, vcc_lo
	v_mov_b32_e32 v13, 0
	v_dual_mov_b32 v14, 0 :: v_dual_mov_b32 v15, 0
	v_dual_mov_b32 v23, 0 :: v_dual_mov_b32 v36, v28
	;; [unrolled: 1-line block ×3, first 2 shown]
	v_mov_b32_e32 v16, 0
	v_mov_b32_e32 v22, 0
	v_dual_mov_b32 v24, 0 :: v_dual_mov_b32 v35, v27
	s_mov_b32 s7, 0
.LBB148_16:                             ; =>This Inner Loop Header: Depth=1
	global_load_b64 v[37:38], v[33:34], off
	v_add_co_u32 v33, s3, 0x100, v33
	s_wait_alu 0xf1ff
	v_add_co_ci_u32_e64 v34, null, 0, v34, s3
	s_wait_loadcnt 0x0
	v_sub_co_u32 v37, vcc_lo, v37, v9
	s_wait_alu 0xfffd
	v_sub_co_ci_u32_e64 v42, null, v38, v10, vcc_lo
	v_add_co_u32 v31, vcc_lo, v31, 32
	s_delay_alu instid0(VALU_DEP_3) | instskip(SKIP_4) | instid1(VALU_DEP_1)
	v_mad_co_u64_u32 v[61:62], null, v37, 48, s[4:5]
	global_load_b128 v[37:40], v[35:36], off offset:48
	s_wait_alu 0xfffd
	v_add_co_ci_u32_e64 v32, null, 0, v32, vcc_lo
	v_mov_b32_e32 v41, v62
	v_mad_co_u64_u32 v[49:50], null, v42, 48, v[41:42]
	s_clause 0x1
	global_load_b128 v[41:44], v[35:36], off offset:16
	global_load_b128 v[45:48], v[35:36], off
	v_mov_b32_e32 v62, v49
	s_clause 0x1
	global_load_b128 v[49:52], v[61:62], off
	global_load_b128 v[53:56], v[61:62], off offset:16
	s_clause 0x1
	global_load_b128 v[57:60], v[35:36], off offset:32
	global_load_b64 v[65:66], v[35:36], off offset:64
	global_load_b128 v[61:64], v[61:62], off offset:32
	v_add_co_u32 v35, vcc_lo, 0x900, v35
	s_wait_alu 0xfffd
	v_add_co_ci_u32_e64 v36, null, 0, v36, vcc_lo
	v_cmp_ge_i64_e32 vcc_lo, v[31:32], v[29:30]
	s_wait_alu 0xfffe
	s_or_b32 s7, vcc_lo, s7
	s_wait_loadcnt 0x4
	v_fma_f64 v[13:14], v[45:46], v[49:50], v[13:14]
	v_fma_f64 v[11:12], v[49:50], 0, v[11:12]
	;; [unrolled: 1-line block ×12, first 2 shown]
	s_wait_loadcnt 0x3
	v_fma_f64 v[13:14], v[47:48], v[53:54], v[13:14]
	v_fma_f64 v[11:12], v[53:54], 0, v[11:12]
	s_wait_loadcnt 0x2
	v_fma_f64 v[19:20], v[57:58], v[53:54], v[19:20]
	v_fma_f64 v[15:16], v[53:54], 0, v[15:16]
	;; [unrolled: 1-line block ×10, first 2 shown]
	s_wait_loadcnt 0x0
	v_fma_f64 v[13:14], v[41:42], v[61:62], v[13:14]
	v_fma_f64 v[11:12], v[61:62], 0, v[11:12]
	;; [unrolled: 1-line block ×12, first 2 shown]
	s_wait_alu 0xfffe
	s_and_not1_b32 exec_lo, exec_lo, s7
	s_cbranch_execnz .LBB148_16
; %bb.17:
	s_or_b32 exec_lo, exec_lo, s7
.LBB148_18:
	s_wait_alu 0xfffe
	s_or_b32 exec_lo, exec_lo, s6
	s_cbranch_execz .LBB148_20
	s_branch .LBB148_25
.LBB148_19:
                                        ; implicit-def: $vgpr11_vgpr12
                                        ; implicit-def: $vgpr13_vgpr14
                                        ; implicit-def: $vgpr15_vgpr16
                                        ; implicit-def: $vgpr19_vgpr20
                                        ; implicit-def: $vgpr21_vgpr22
                                        ; implicit-def: $vgpr23_vgpr24
.LBB148_20:
	v_mov_b32_e32 v11, 0
	v_mov_b32_e32 v15, 0
	v_dual_mov_b32 v21, 0 :: v_dual_mov_b32 v12, 0
	v_dual_mov_b32 v13, 0 :: v_dual_mov_b32 v16, 0
	;; [unrolled: 1-line block ×4, first 2 shown]
	v_mov_b32_e32 v20, 0
	v_mov_b32_e32 v24, 0
	s_and_saveexec_b32 s3, s2
	s_cbranch_execz .LBB148_24
; %bb.21:
	v_lshlrev_b64_e32 v[31:32], 3, v[25:26]
	v_mov_b32_e32 v11, 0
	v_mov_b32_e32 v15, 0
	v_dual_mov_b32 v21, 0 :: v_dual_mov_b32 v12, 0
	v_mov_b32_e32 v13, 0
	v_add_co_u32 v31, vcc_lo, s8, v31
	v_dual_mov_b32 v16, 0 :: v_dual_mov_b32 v19, 0
	v_dual_mov_b32 v22, 0 :: v_dual_mov_b32 v23, 0
	v_mov_b32_e32 v14, 0
	v_mov_b32_e32 v20, 0
	;; [unrolled: 1-line block ×3, first 2 shown]
	s_wait_alu 0xfffd
	v_add_co_ci_u32_e64 v32, null, s9, v32, vcc_lo
	s_mov_b32 s6, 0
.LBB148_22:                             ; =>This Inner Loop Header: Depth=1
	global_load_b64 v[33:34], v[31:32], off
	v_add_co_u32 v31, s2, 0x100, v31
	s_wait_alu 0xf1ff
	v_add_co_ci_u32_e64 v32, null, 0, v32, s2
	s_wait_loadcnt 0x0
	v_sub_co_u32 v33, vcc_lo, v33, v9
	s_wait_alu 0xfffd
	v_sub_co_ci_u32_e64 v34, null, v34, v10, vcc_lo
	v_add_co_u32 v25, vcc_lo, v25, 32
	s_delay_alu instid0(VALU_DEP_3) | instskip(SKIP_2) | instid1(VALU_DEP_2)
	v_mad_co_u64_u32 v[57:58], null, v33, 48, s[4:5]
	s_wait_alu 0xfffd
	v_add_co_ci_u32_e64 v26, null, 0, v26, vcc_lo
	v_mov_b32_e32 v33, v58
	s_delay_alu instid0(VALU_DEP_1)
	v_mad_co_u64_u32 v[41:42], null, v34, 48, v[33:34]
	s_clause 0x1
	global_load_b128 v[33:36], v[27:28], off offset:16
	global_load_b128 v[37:40], v[27:28], off
	v_mov_b32_e32 v58, v41
	s_clause 0x1
	global_load_b128 v[41:44], v[57:58], off
	global_load_b128 v[45:48], v[57:58], off offset:16
	s_clause 0x2
	global_load_b128 v[49:52], v[27:28], off offset:32
	global_load_b128 v[53:56], v[27:28], off offset:48
	global_load_b64 v[61:62], v[27:28], off offset:64
	global_load_b128 v[57:60], v[57:58], off offset:32
	v_add_co_u32 v27, vcc_lo, 0x900, v27
	s_wait_alu 0xfffd
	v_add_co_ci_u32_e64 v28, null, 0, v28, vcc_lo
	v_cmp_ge_i64_e32 vcc_lo, v[25:26], v[29:30]
	s_wait_alu 0xfffe
	s_or_b32 s6, vcc_lo, s6
	s_wait_loadcnt 0x5
	v_fma_f64 v[13:14], v[37:38], v[41:42], v[13:14]
	v_fma_f64 v[11:12], v[41:42], 0, v[11:12]
	;; [unrolled: 1-line block ×12, first 2 shown]
	s_wait_loadcnt 0x4
	v_fma_f64 v[13:14], v[35:36], v[45:46], v[13:14]
	v_fma_f64 v[11:12], v[45:46], 0, v[11:12]
	s_wait_loadcnt 0x3
	v_fma_f64 v[19:20], v[49:50], v[45:46], v[19:20]
	v_fma_f64 v[15:16], v[45:46], 0, v[15:16]
	v_fma_f64 v[23:24], v[51:52], v[45:46], v[23:24]
	v_fma_f64 v[21:22], v[45:46], 0, v[21:22]
	v_fma_f64 v[13:14], 0x80000000, v[47:48], v[13:14]
	v_fma_f64 v[11:12], v[35:36], v[47:48], v[11:12]
	v_fma_f64 v[19:20], 0x80000000, v[47:48], v[19:20]
	v_fma_f64 v[15:16], v[49:50], v[47:48], v[15:16]
	v_fma_f64 v[23:24], 0x80000000, v[47:48], v[23:24]
	v_fma_f64 v[21:22], v[51:52], v[47:48], v[21:22]
	s_wait_loadcnt 0x0
	v_fma_f64 v[13:14], v[53:54], v[57:58], v[13:14]
	v_fma_f64 v[11:12], v[57:58], 0, v[11:12]
	;; [unrolled: 1-line block ×12, first 2 shown]
	s_wait_alu 0xfffe
	s_and_not1_b32 exec_lo, exec_lo, s6
	s_cbranch_execnz .LBB148_22
; %bb.23:
	s_or_b32 exec_lo, exec_lo, s6
.LBB148_24:
	s_wait_alu 0xfffe
	s_or_b32 exec_lo, exec_lo, s3
.LBB148_25:
	v_mbcnt_lo_u32_b32 v35, -1, 0
	s_delay_alu instid0(VALU_DEP_1) | instskip(NEXT) | instid1(VALU_DEP_1)
	v_xor_b32_e32 v9, 16, v35
	v_cmp_gt_i32_e32 vcc_lo, 32, v9
	s_wait_alu 0xfffd
	v_cndmask_b32_e32 v9, v35, v9, vcc_lo
	s_delay_alu instid0(VALU_DEP_1)
	v_lshlrev_b32_e32 v34, 2, v9
	ds_bpermute_b32 v9, v34, v13
	ds_bpermute_b32 v10, v34, v14
	;; [unrolled: 1-line block ×6, first 2 shown]
	s_wait_dscnt 0x4
	v_add_f64_e32 v[9:10], v[13:14], v[9:10]
	s_wait_dscnt 0x2
	v_add_f64_e32 v[13:14], v[19:20], v[27:28]
	;; [unrolled: 2-line block ×3, first 2 shown]
	v_xor_b32_e32 v23, 8, v35
	s_delay_alu instid0(VALU_DEP_1)
	v_cmp_gt_i32_e32 vcc_lo, 32, v23
	s_wait_alu 0xfffd
	v_cndmask_b32_e32 v23, v35, v23, vcc_lo
	ds_bpermute_b32 v25, v34, v11
	ds_bpermute_b32 v26, v34, v12
	;; [unrolled: 1-line block ×6, first 2 shown]
	s_wait_dscnt 0x4
	v_add_f64_e32 v[11:12], v[11:12], v[25:26]
	s_wait_dscnt 0x2
	v_add_f64_e32 v[15:16], v[15:16], v[29:30]
	;; [unrolled: 2-line block ×3, first 2 shown]
	v_lshlrev_b32_e32 v34, 2, v23
	ds_bpermute_b32 v23, v34, v9
	ds_bpermute_b32 v24, v34, v10
	ds_bpermute_b32 v27, v34, v13
	ds_bpermute_b32 v28, v34, v14
	ds_bpermute_b32 v31, v34, v19
	ds_bpermute_b32 v32, v34, v20
	s_wait_dscnt 0x4
	v_add_f64_e32 v[9:10], v[9:10], v[23:24]
	v_xor_b32_e32 v23, 4, v35
	s_wait_dscnt 0x2
	v_add_f64_e32 v[13:14], v[13:14], v[27:28]
	s_wait_dscnt 0x0
	v_add_f64_e32 v[19:20], v[19:20], v[31:32]
	v_cmp_gt_i32_e32 vcc_lo, 32, v23
	ds_bpermute_b32 v25, v34, v11
	ds_bpermute_b32 v26, v34, v12
	;; [unrolled: 1-line block ×6, first 2 shown]
	s_wait_alu 0xfffd
	v_cndmask_b32_e32 v23, v35, v23, vcc_lo
	s_wait_dscnt 0x4
	v_add_f64_e32 v[11:12], v[11:12], v[25:26]
	s_wait_dscnt 0x2
	v_add_f64_e32 v[15:16], v[15:16], v[29:30]
	;; [unrolled: 2-line block ×3, first 2 shown]
	v_lshlrev_b32_e32 v34, 2, v23
	ds_bpermute_b32 v23, v34, v9
	ds_bpermute_b32 v24, v34, v10
	;; [unrolled: 1-line block ×6, first 2 shown]
	s_wait_dscnt 0x4
	v_add_f64_e32 v[9:10], v[9:10], v[23:24]
	s_wait_dscnt 0x2
	v_add_f64_e32 v[13:14], v[13:14], v[27:28]
	ds_bpermute_b32 v25, v34, v11
	ds_bpermute_b32 v26, v34, v12
	;; [unrolled: 1-line block ×6, first 2 shown]
	s_wait_dscnt 0x4
	v_add_f64_e32 v[11:12], v[11:12], v[25:26]
	v_add_f64_e32 v[25:26], v[19:20], v[31:32]
	s_wait_dscnt 0x2
	v_add_f64_e32 v[15:16], v[15:16], v[29:30]
	v_xor_b32_e32 v19, 2, v35
	s_wait_dscnt 0x0
	v_add_f64_e32 v[21:22], v[21:22], v[33:34]
	s_delay_alu instid0(VALU_DEP_2) | instskip(SKIP_2) | instid1(VALU_DEP_1)
	v_cmp_gt_i32_e32 vcc_lo, 32, v19
	s_wait_alu 0xfffd
	v_cndmask_b32_e32 v19, v35, v19, vcc_lo
	v_lshlrev_b32_e32 v34, 2, v19
	ds_bpermute_b32 v19, v34, v9
	ds_bpermute_b32 v20, v34, v10
	;; [unrolled: 1-line block ×12, first 2 shown]
	s_wait_dscnt 0xa
	v_add_f64_e32 v[9:10], v[9:10], v[19:20]
	s_wait_dscnt 0x6
	v_add_f64_e32 v[23:24], v[11:12], v[23:24]
	v_add_f64_e32 v[11:12], v[13:14], v[27:28]
	s_wait_dscnt 0x4
	v_add_f64_e32 v[19:20], v[15:16], v[29:30]
	s_wait_dscnt 0x2
	;; [unrolled: 2-line block ×3, first 2 shown]
	v_add_f64_e32 v[15:16], v[21:22], v[33:34]
	v_xor_b32_e32 v21, 1, v35
	s_delay_alu instid0(VALU_DEP_1) | instskip(SKIP_3) | instid1(VALU_DEP_2)
	v_cmp_gt_i32_e32 vcc_lo, 32, v21
	s_wait_alu 0xfffd
	v_cndmask_b32_e32 v21, v35, v21, vcc_lo
	v_cmp_eq_u32_e32 vcc_lo, 31, v0
	v_lshlrev_b32_e32 v30, 2, v21
	ds_bpermute_b32 v21, v30, v9
	ds_bpermute_b32 v22, v30, v10
	;; [unrolled: 1-line block ×12, first 2 shown]
	s_and_b32 exec_lo, exec_lo, vcc_lo
	s_cbranch_execz .LBB148_8
; %bb.26:
	s_wait_dscnt 0x8
	v_add_f64_e32 v[23:24], v[23:24], v[33:34]
	s_wait_dscnt 0x4
	v_add_f64_e32 v[19:20], v[19:20], v[31:32]
	;; [unrolled: 2-line block ×3, first 2 shown]
	v_add_f64_e32 v[9:10], v[9:10], v[21:22]
	v_add_f64_e32 v[11:12], v[11:12], v[25:26]
	;; [unrolled: 1-line block ×3, first 2 shown]
	v_cmp_eq_f64_e32 vcc_lo, 0, v[1:2]
	v_cmp_eq_f64_e64 s2, 0, v[3:4]
	s_load_b64 s[0:1], s[0:1], 0x68
	v_mul_f64_e64 v[13:14], v[23:24], -v[7:8]
	v_mul_f64_e32 v[23:24], v[5:6], v[23:24]
	v_mul_f64_e64 v[25:26], v[19:20], -v[7:8]
	v_mul_f64_e32 v[19:20], v[5:6], v[19:20]
	;; [unrolled: 2-line block ×3, first 2 shown]
	s_and_b32 s2, vcc_lo, s2
	v_fma_f64 v[13:14], v[5:6], v[9:10], v[13:14]
	v_fma_f64 v[15:16], v[7:8], v[9:10], v[23:24]
	;; [unrolled: 1-line block ×6, first 2 shown]
	s_wait_alu 0xfffe
	s_and_saveexec_b32 s3, s2
	s_wait_alu 0xfffe
	s_xor_b32 s2, exec_lo, s3
	s_cbranch_execz .LBB148_28
; %bb.27:
	s_wait_kmcnt 0x0
	v_mad_co_u64_u32 v[0:1], null, v17, 48, s[0:1]
	s_delay_alu instid0(VALU_DEP_1)
	v_mad_co_u64_u32 v[1:2], null, v18, 48, v[1:2]
                                        ; implicit-def: $vgpr17_vgpr18
	s_clause 0x2
	global_store_b128 v[0:1], v[13:16], off
	global_store_b128 v[0:1], v[9:12], off offset:16
	global_store_b128 v[0:1], v[5:8], off offset:32
                                        ; implicit-def: $vgpr3_vgpr4
                                        ; implicit-def: $vgpr13_vgpr14
                                        ; implicit-def: $vgpr9_vgpr10
                                        ; implicit-def: $vgpr5_vgpr6
.LBB148_28:
	s_wait_alu 0xfffe
	s_and_not1_saveexec_b32 s2, s2
	s_cbranch_execz .LBB148_8
; %bb.29:
	s_wait_kmcnt 0x0
	v_mad_co_u64_u32 v[29:30], null, v17, 48, s[0:1]
	s_delay_alu instid0(VALU_DEP_1) | instskip(NEXT) | instid1(VALU_DEP_1)
	v_mov_b32_e32 v0, v30
	v_mad_co_u64_u32 v[17:18], null, v18, 48, v[0:1]
	s_delay_alu instid0(VALU_DEP_1)
	v_mov_b32_e32 v30, v17
	s_clause 0x2
	global_load_b128 v[17:20], v[29:30], off
	global_load_b128 v[21:24], v[29:30], off offset:16
	global_load_b128 v[25:28], v[29:30], off offset:32
	s_wait_loadcnt 0x2
	v_fma_f64 v[13:14], v[1:2], v[17:18], v[13:14]
	v_fma_f64 v[15:16], v[3:4], v[17:18], v[15:16]
	s_wait_loadcnt 0x1
	v_fma_f64 v[9:10], v[1:2], v[21:22], v[9:10]
	v_fma_f64 v[11:12], v[3:4], v[21:22], v[11:12]
	;; [unrolled: 3-line block ×3, first 2 shown]
	v_fma_f64 v[5:6], -v[3:4], v[19:20], v[13:14]
	v_fma_f64 v[7:8], v[1:2], v[19:20], v[15:16]
	v_fma_f64 v[9:10], -v[3:4], v[23:24], v[9:10]
	v_fma_f64 v[11:12], v[1:2], v[23:24], v[11:12]
	;; [unrolled: 2-line block ×3, first 2 shown]
	s_clause 0x2
	global_store_b128 v[29:30], v[5:8], off
	global_store_b128 v[29:30], v[9:12], off offset:16
	global_store_b128 v[29:30], v[13:16], off offset:32
	s_endpgm
	.section	.rodata,"a",@progbits
	.p2align	6, 0x0
	.amdhsa_kernel _ZN9rocsparseL18bsrxmvn_3x3_kernelILj256ELj32E21rocsparse_complex_numIdElldS2_S2_EEvT3_20rocsparse_direction_NS_24const_host_device_scalarIT1_EES3_PKS3_PKT2_SC_S9_PKT4_PKT5_S7_PT6_21rocsparse_index_base_b
		.amdhsa_group_segment_fixed_size 0
		.amdhsa_private_segment_fixed_size 0
		.amdhsa_kernarg_size 120
		.amdhsa_user_sgpr_count 2
		.amdhsa_user_sgpr_dispatch_ptr 0
		.amdhsa_user_sgpr_queue_ptr 0
		.amdhsa_user_sgpr_kernarg_segment_ptr 1
		.amdhsa_user_sgpr_dispatch_id 0
		.amdhsa_user_sgpr_private_segment_size 0
		.amdhsa_wavefront_size32 1
		.amdhsa_uses_dynamic_stack 0
		.amdhsa_enable_private_segment 0
		.amdhsa_system_sgpr_workgroup_id_x 1
		.amdhsa_system_sgpr_workgroup_id_y 0
		.amdhsa_system_sgpr_workgroup_id_z 0
		.amdhsa_system_sgpr_workgroup_info 0
		.amdhsa_system_vgpr_workitem_id 0
		.amdhsa_next_free_vgpr 67
		.amdhsa_next_free_sgpr 12
		.amdhsa_reserve_vcc 1
		.amdhsa_float_round_mode_32 0
		.amdhsa_float_round_mode_16_64 0
		.amdhsa_float_denorm_mode_32 3
		.amdhsa_float_denorm_mode_16_64 3
		.amdhsa_fp16_overflow 0
		.amdhsa_workgroup_processor_mode 1
		.amdhsa_memory_ordered 1
		.amdhsa_forward_progress 1
		.amdhsa_inst_pref_size 28
		.amdhsa_round_robin_scheduling 0
		.amdhsa_exception_fp_ieee_invalid_op 0
		.amdhsa_exception_fp_denorm_src 0
		.amdhsa_exception_fp_ieee_div_zero 0
		.amdhsa_exception_fp_ieee_overflow 0
		.amdhsa_exception_fp_ieee_underflow 0
		.amdhsa_exception_fp_ieee_inexact 0
		.amdhsa_exception_int_div_zero 0
	.end_amdhsa_kernel
	.section	.text._ZN9rocsparseL18bsrxmvn_3x3_kernelILj256ELj32E21rocsparse_complex_numIdElldS2_S2_EEvT3_20rocsparse_direction_NS_24const_host_device_scalarIT1_EES3_PKS3_PKT2_SC_S9_PKT4_PKT5_S7_PT6_21rocsparse_index_base_b,"axG",@progbits,_ZN9rocsparseL18bsrxmvn_3x3_kernelILj256ELj32E21rocsparse_complex_numIdElldS2_S2_EEvT3_20rocsparse_direction_NS_24const_host_device_scalarIT1_EES3_PKS3_PKT2_SC_S9_PKT4_PKT5_S7_PT6_21rocsparse_index_base_b,comdat
.Lfunc_end148:
	.size	_ZN9rocsparseL18bsrxmvn_3x3_kernelILj256ELj32E21rocsparse_complex_numIdElldS2_S2_EEvT3_20rocsparse_direction_NS_24const_host_device_scalarIT1_EES3_PKS3_PKT2_SC_S9_PKT4_PKT5_S7_PT6_21rocsparse_index_base_b, .Lfunc_end148-_ZN9rocsparseL18bsrxmvn_3x3_kernelILj256ELj32E21rocsparse_complex_numIdElldS2_S2_EEvT3_20rocsparse_direction_NS_24const_host_device_scalarIT1_EES3_PKS3_PKT2_SC_S9_PKT4_PKT5_S7_PT6_21rocsparse_index_base_b
                                        ; -- End function
	.set _ZN9rocsparseL18bsrxmvn_3x3_kernelILj256ELj32E21rocsparse_complex_numIdElldS2_S2_EEvT3_20rocsparse_direction_NS_24const_host_device_scalarIT1_EES3_PKS3_PKT2_SC_S9_PKT4_PKT5_S7_PT6_21rocsparse_index_base_b.num_vgpr, 67
	.set _ZN9rocsparseL18bsrxmvn_3x3_kernelILj256ELj32E21rocsparse_complex_numIdElldS2_S2_EEvT3_20rocsparse_direction_NS_24const_host_device_scalarIT1_EES3_PKS3_PKT2_SC_S9_PKT4_PKT5_S7_PT6_21rocsparse_index_base_b.num_agpr, 0
	.set _ZN9rocsparseL18bsrxmvn_3x3_kernelILj256ELj32E21rocsparse_complex_numIdElldS2_S2_EEvT3_20rocsparse_direction_NS_24const_host_device_scalarIT1_EES3_PKS3_PKT2_SC_S9_PKT4_PKT5_S7_PT6_21rocsparse_index_base_b.numbered_sgpr, 12
	.set _ZN9rocsparseL18bsrxmvn_3x3_kernelILj256ELj32E21rocsparse_complex_numIdElldS2_S2_EEvT3_20rocsparse_direction_NS_24const_host_device_scalarIT1_EES3_PKS3_PKT2_SC_S9_PKT4_PKT5_S7_PT6_21rocsparse_index_base_b.num_named_barrier, 0
	.set _ZN9rocsparseL18bsrxmvn_3x3_kernelILj256ELj32E21rocsparse_complex_numIdElldS2_S2_EEvT3_20rocsparse_direction_NS_24const_host_device_scalarIT1_EES3_PKS3_PKT2_SC_S9_PKT4_PKT5_S7_PT6_21rocsparse_index_base_b.private_seg_size, 0
	.set _ZN9rocsparseL18bsrxmvn_3x3_kernelILj256ELj32E21rocsparse_complex_numIdElldS2_S2_EEvT3_20rocsparse_direction_NS_24const_host_device_scalarIT1_EES3_PKS3_PKT2_SC_S9_PKT4_PKT5_S7_PT6_21rocsparse_index_base_b.uses_vcc, 1
	.set _ZN9rocsparseL18bsrxmvn_3x3_kernelILj256ELj32E21rocsparse_complex_numIdElldS2_S2_EEvT3_20rocsparse_direction_NS_24const_host_device_scalarIT1_EES3_PKS3_PKT2_SC_S9_PKT4_PKT5_S7_PT6_21rocsparse_index_base_b.uses_flat_scratch, 0
	.set _ZN9rocsparseL18bsrxmvn_3x3_kernelILj256ELj32E21rocsparse_complex_numIdElldS2_S2_EEvT3_20rocsparse_direction_NS_24const_host_device_scalarIT1_EES3_PKS3_PKT2_SC_S9_PKT4_PKT5_S7_PT6_21rocsparse_index_base_b.has_dyn_sized_stack, 0
	.set _ZN9rocsparseL18bsrxmvn_3x3_kernelILj256ELj32E21rocsparse_complex_numIdElldS2_S2_EEvT3_20rocsparse_direction_NS_24const_host_device_scalarIT1_EES3_PKS3_PKT2_SC_S9_PKT4_PKT5_S7_PT6_21rocsparse_index_base_b.has_recursion, 0
	.set _ZN9rocsparseL18bsrxmvn_3x3_kernelILj256ELj32E21rocsparse_complex_numIdElldS2_S2_EEvT3_20rocsparse_direction_NS_24const_host_device_scalarIT1_EES3_PKS3_PKT2_SC_S9_PKT4_PKT5_S7_PT6_21rocsparse_index_base_b.has_indirect_call, 0
	.section	.AMDGPU.csdata,"",@progbits
; Kernel info:
; codeLenInByte = 3540
; TotalNumSgprs: 14
; NumVgprs: 67
; ScratchSize: 0
; MemoryBound: 0
; FloatMode: 240
; IeeeMode: 1
; LDSByteSize: 0 bytes/workgroup (compile time only)
; SGPRBlocks: 0
; VGPRBlocks: 8
; NumSGPRsForWavesPerEU: 14
; NumVGPRsForWavesPerEU: 67
; Occupancy: 16
; WaveLimiterHint : 1
; COMPUTE_PGM_RSRC2:SCRATCH_EN: 0
; COMPUTE_PGM_RSRC2:USER_SGPR: 2
; COMPUTE_PGM_RSRC2:TRAP_HANDLER: 0
; COMPUTE_PGM_RSRC2:TGID_X_EN: 1
; COMPUTE_PGM_RSRC2:TGID_Y_EN: 0
; COMPUTE_PGM_RSRC2:TGID_Z_EN: 0
; COMPUTE_PGM_RSRC2:TIDIG_COMP_CNT: 0
	.section	.text._ZN9rocsparseL18bsrxmvn_3x3_kernelILj256ELj64E21rocsparse_complex_numIdElldS2_S2_EEvT3_20rocsparse_direction_NS_24const_host_device_scalarIT1_EES3_PKS3_PKT2_SC_S9_PKT4_PKT5_S7_PT6_21rocsparse_index_base_b,"axG",@progbits,_ZN9rocsparseL18bsrxmvn_3x3_kernelILj256ELj64E21rocsparse_complex_numIdElldS2_S2_EEvT3_20rocsparse_direction_NS_24const_host_device_scalarIT1_EES3_PKS3_PKT2_SC_S9_PKT4_PKT5_S7_PT6_21rocsparse_index_base_b,comdat
	.globl	_ZN9rocsparseL18bsrxmvn_3x3_kernelILj256ELj64E21rocsparse_complex_numIdElldS2_S2_EEvT3_20rocsparse_direction_NS_24const_host_device_scalarIT1_EES3_PKS3_PKT2_SC_S9_PKT4_PKT5_S7_PT6_21rocsparse_index_base_b ; -- Begin function _ZN9rocsparseL18bsrxmvn_3x3_kernelILj256ELj64E21rocsparse_complex_numIdElldS2_S2_EEvT3_20rocsparse_direction_NS_24const_host_device_scalarIT1_EES3_PKS3_PKT2_SC_S9_PKT4_PKT5_S7_PT6_21rocsparse_index_base_b
	.p2align	8
	.type	_ZN9rocsparseL18bsrxmvn_3x3_kernelILj256ELj64E21rocsparse_complex_numIdElldS2_S2_EEvT3_20rocsparse_direction_NS_24const_host_device_scalarIT1_EES3_PKS3_PKT2_SC_S9_PKT4_PKT5_S7_PT6_21rocsparse_index_base_b,@function
_ZN9rocsparseL18bsrxmvn_3x3_kernelILj256ELj64E21rocsparse_complex_numIdElldS2_S2_EEvT3_20rocsparse_direction_NS_24const_host_device_scalarIT1_EES3_PKS3_PKT2_SC_S9_PKT4_PKT5_S7_PT6_21rocsparse_index_base_b: ; @_ZN9rocsparseL18bsrxmvn_3x3_kernelILj256ELj64E21rocsparse_complex_numIdElldS2_S2_EEvT3_20rocsparse_direction_NS_24const_host_device_scalarIT1_EES3_PKS3_PKT2_SC_S9_PKT4_PKT5_S7_PT6_21rocsparse_index_base_b
; %bb.0:
	s_clause 0x1
	s_load_b64 s[4:5], s[0:1], 0x70
	s_load_b64 s[2:3], s[0:1], 0x10
	s_add_nc_u64 s[6:7], s[0:1], 16
	s_load_b64 s[8:9], s[0:1], 0x58
	s_wait_kmcnt 0x0
	s_bitcmp1_b32 s5, 0
	s_cselect_b32 s2, s6, s2
	s_cselect_b32 s3, s7, s3
	s_delay_alu instid0(SALU_CYCLE_1)
	v_dual_mov_b32 v1, s2 :: v_dual_mov_b32 v2, s3
	s_add_nc_u64 s[2:3], s[0:1], 0x58
	s_wait_alu 0xfffe
	s_cselect_b32 s2, s2, s8
	s_cselect_b32 s3, s3, s9
	flat_load_b128 v[5:8], v[1:2]
	s_wait_alu 0xfffe
	v_dual_mov_b32 v1, s2 :: v_dual_mov_b32 v2, s3
	flat_load_b128 v[1:4], v[1:2]
	s_wait_loadcnt_dscnt 0x101
	v_cmp_eq_f64_e32 vcc_lo, 0, v[5:6]
	v_cmp_eq_f64_e64 s2, 0, v[7:8]
	s_and_b32 s5, vcc_lo, s2
	s_mov_b32 s2, -1
	s_and_saveexec_b32 s3, s5
	s_cbranch_execz .LBB149_2
; %bb.1:
	s_wait_loadcnt_dscnt 0x0
	v_cmp_neq_f64_e32 vcc_lo, 1.0, v[1:2]
	v_cmp_neq_f64_e64 s2, 0, v[3:4]
	s_wait_alu 0xfffe
	s_or_b32 s2, vcc_lo, s2
	s_wait_alu 0xfffe
	s_or_not1_b32 s2, s2, exec_lo
.LBB149_2:
	s_wait_alu 0xfffe
	s_or_b32 exec_lo, exec_lo, s3
	s_and_saveexec_b32 s3, s2
	s_cbranch_execz .LBB149_8
; %bb.3:
	s_load_b64 s[2:3], s[0:1], 0x28
	v_lshrrev_b32_e32 v9, 6, v0
	v_mov_b32_e32 v10, 0
	s_delay_alu instid0(VALU_DEP_2)
	v_lshl_or_b32 v9, ttmp9, 2, v9
	s_wait_kmcnt 0x0
	s_cmp_lg_u64 s[2:3], 0
	s_cbranch_scc0 .LBB149_9
; %bb.4:
	s_load_b64 s[6:7], s[0:1], 0x20
                                        ; implicit-def: $vgpr17_vgpr18
                                        ; implicit-def: $vgpr11_vgpr12
	s_wait_kmcnt 0x0
	v_cmp_gt_i64_e32 vcc_lo, s[6:7], v[9:10]
	s_mov_b32 s7, 0
	s_mov_b32 s6, 0
	s_and_saveexec_b32 s5, vcc_lo
	s_delay_alu instid0(SALU_CYCLE_1)
	s_xor_b32 s8, exec_lo, s5
	s_cbranch_execz .LBB149_6
; %bb.5:
	v_lshlrev_b64_e32 v[11:12], 3, v[9:10]
	s_mov_b32 s5, 0
	s_mov_b32 s6, exec_lo
	s_delay_alu instid0(VALU_DEP_1) | instskip(NEXT) | instid1(VALU_DEP_1)
	v_add_co_u32 v11, vcc_lo, s2, v11
	v_add_co_ci_u32_e64 v12, null, s3, v12, vcc_lo
	global_load_b64 v[11:12], v[11:12], off
	s_wait_loadcnt 0x0
	v_sub_co_u32 v17, vcc_lo, v11, s4
	s_wait_alu 0xfffd
	v_subrev_co_ci_u32_e64 v18, null, 0, v12, vcc_lo
	v_dual_mov_b32 v12, s5 :: v_dual_mov_b32 v11, s4
.LBB149_6:
	s_or_b32 exec_lo, exec_lo, s8
	s_wait_alu 0xfffe
	s_and_b32 vcc_lo, exec_lo, s7
	s_wait_alu 0xfffe
	s_cbranch_vccnz .LBB149_10
.LBB149_7:
	s_and_b32 exec_lo, exec_lo, s6
	s_cbranch_execnz .LBB149_13
.LBB149_8:
	s_endpgm
.LBB149_9:
	s_mov_b32 s6, 0
                                        ; implicit-def: $vgpr17_vgpr18
                                        ; implicit-def: $vgpr11_vgpr12
	s_cbranch_execz .LBB149_7
.LBB149_10:
	s_load_b64 s[2:3], s[0:1], 0x0
	s_wait_kmcnt 0x0
	v_cmp_gt_i64_e32 vcc_lo, s[2:3], v[9:10]
	s_and_saveexec_b32 s2, vcc_lo
; %bb.11:
	s_mov_b32 s5, 0
	s_or_b32 s6, s6, exec_lo
; %bb.12:
	s_wait_alu 0xfffe
	s_or_b32 exec_lo, exec_lo, s2
	v_dual_mov_b32 v12, s5 :: v_dual_mov_b32 v11, s4
	v_dual_mov_b32 v18, v10 :: v_dual_mov_b32 v17, v9
	s_and_b32 exec_lo, exec_lo, s6
	s_cbranch_execz .LBB149_8
.LBB149_13:
	s_load_b256 s[4:11], s[0:1], 0x30
	s_delay_alu instid0(VALU_DEP_1) | instskip(SKIP_2) | instid1(VALU_DEP_2)
	v_lshlrev_b64_e32 v[9:10], 3, v[17:18]
	v_and_b32_e32 v0, 63, v0
	s_wait_kmcnt 0x0
	v_add_co_u32 v13, vcc_lo, s4, v9
	s_wait_alu 0xfffd
	s_delay_alu instid0(VALU_DEP_3)
	v_add_co_ci_u32_e64 v14, null, s5, v10, vcc_lo
	v_add_co_u32 v9, vcc_lo, s6, v9
	s_wait_alu 0xfffd
	v_add_co_ci_u32_e64 v10, null, s7, v10, vcc_lo
	global_load_b64 v[15:16], v[13:14], off
	v_add_co_u32 v13, vcc_lo, v13, 8
	s_wait_alu 0xfffd
	v_add_co_ci_u32_e64 v14, null, 0, v14, vcc_lo
	s_cmp_eq_u64 s[6:7], 0
	s_cselect_b32 vcc_lo, -1, 0
	s_wait_alu 0xfffe
	v_dual_cndmask_b32 v10, v10, v14 :: v_dual_cndmask_b32 v9, v9, v13
	global_load_b64 v[9:10], v[9:10], off
	s_clause 0x1
	s_load_b32 s3, s[0:1], 0x8
	s_load_b64 s[4:5], s[0:1], 0x50
	s_wait_kmcnt 0x0
	s_cmp_eq_u32 s3, 1
	s_wait_loadcnt 0x1
	v_sub_co_u32 v13, vcc_lo, v15, v11
	s_wait_alu 0xfffd
	v_sub_co_ci_u32_e64 v14, null, v16, v12, vcc_lo
	s_delay_alu instid0(VALU_DEP_2) | instskip(SKIP_1) | instid1(VALU_DEP_2)
	v_add_co_u32 v25, vcc_lo, v13, v0
	s_wait_alu 0xfffd
	v_add_co_ci_u32_e64 v26, null, 0, v14, vcc_lo
	s_delay_alu instid0(VALU_DEP_2) | instskip(SKIP_4) | instid1(VALU_DEP_3)
	v_mad_co_u64_u32 v[27:28], null, 0x48, v25, s[10:11]
	s_wait_loadcnt 0x0
	v_sub_co_u32 v29, vcc_lo, v9, v11
	s_wait_alu 0xfffd
	v_sub_co_ci_u32_e64 v30, null, v10, v12, vcc_lo
	v_mov_b32_e32 v13, v28
	s_delay_alu instid0(VALU_DEP_2) | instskip(NEXT) | instid1(VALU_DEP_2)
	v_cmp_lt_i64_e64 s2, v[25:26], v[29:30]
	v_mad_co_u64_u32 v[13:14], null, 0x48, v26, v[13:14]
	s_delay_alu instid0(VALU_DEP_1)
	v_mov_b32_e32 v28, v13
	s_cbranch_scc1 .LBB149_19
; %bb.14:
	v_mov_b32_e32 v9, 0
	v_mov_b32_e32 v15, 0
	v_dual_mov_b32 v21, 0 :: v_dual_mov_b32 v10, 0
	v_dual_mov_b32 v13, 0 :: v_dual_mov_b32 v16, 0
	;; [unrolled: 1-line block ×4, first 2 shown]
	v_mov_b32_e32 v20, 0
	v_mov_b32_e32 v24, 0
	s_and_saveexec_b32 s6, s2
	s_cbranch_execz .LBB149_18
; %bb.15:
	v_lshlrev_b64_e32 v[13:14], 3, v[25:26]
	v_mov_b32_e32 v19, 0
	v_dual_mov_b32 v9, 0 :: v_dual_mov_b32 v32, v26
	v_dual_mov_b32 v20, 0 :: v_dual_mov_b32 v21, 0
	s_delay_alu instid0(VALU_DEP_4)
	v_add_co_u32 v33, vcc_lo, s8, v13
	s_wait_alu 0xfffd
	v_add_co_ci_u32_e64 v34, null, s9, v14, vcc_lo
	v_mov_b32_e32 v13, 0
	v_dual_mov_b32 v14, 0 :: v_dual_mov_b32 v15, 0
	v_dual_mov_b32 v23, 0 :: v_dual_mov_b32 v36, v28
	;; [unrolled: 1-line block ×3, first 2 shown]
	v_mov_b32_e32 v16, 0
	v_mov_b32_e32 v22, 0
	v_dual_mov_b32 v24, 0 :: v_dual_mov_b32 v35, v27
	s_mov_b32 s7, 0
.LBB149_16:                             ; =>This Inner Loop Header: Depth=1
	global_load_b64 v[37:38], v[33:34], off
	v_add_co_u32 v33, s3, 0x200, v33
	s_wait_alu 0xf1ff
	v_add_co_ci_u32_e64 v34, null, 0, v34, s3
	s_wait_loadcnt 0x0
	v_sub_co_u32 v37, vcc_lo, v37, v11
	s_wait_alu 0xfffd
	v_sub_co_ci_u32_e64 v42, null, v38, v12, vcc_lo
	v_add_co_u32 v31, vcc_lo, v31, 64
	s_delay_alu instid0(VALU_DEP_3) | instskip(SKIP_4) | instid1(VALU_DEP_1)
	v_mad_co_u64_u32 v[61:62], null, v37, 48, s[4:5]
	global_load_b128 v[37:40], v[35:36], off offset:48
	s_wait_alu 0xfffd
	v_add_co_ci_u32_e64 v32, null, 0, v32, vcc_lo
	v_mov_b32_e32 v41, v62
	v_mad_co_u64_u32 v[49:50], null, v42, 48, v[41:42]
	s_clause 0x1
	global_load_b128 v[41:44], v[35:36], off offset:16
	global_load_b128 v[45:48], v[35:36], off
	v_mov_b32_e32 v62, v49
	s_clause 0x1
	global_load_b128 v[49:52], v[61:62], off
	global_load_b128 v[53:56], v[61:62], off offset:16
	s_clause 0x1
	global_load_b128 v[57:60], v[35:36], off offset:32
	global_load_b64 v[65:66], v[35:36], off offset:64
	global_load_b128 v[61:64], v[61:62], off offset:32
	v_add_co_u32 v35, vcc_lo, 0x1200, v35
	s_wait_alu 0xfffd
	v_add_co_ci_u32_e64 v36, null, 0, v36, vcc_lo
	v_cmp_ge_i64_e32 vcc_lo, v[31:32], v[29:30]
	s_wait_alu 0xfffe
	s_or_b32 s7, vcc_lo, s7
	s_wait_loadcnt 0x4
	v_fma_f64 v[13:14], v[45:46], v[49:50], v[13:14]
	v_fma_f64 v[9:10], v[49:50], 0, v[9:10]
	;; [unrolled: 1-line block ×12, first 2 shown]
	s_wait_loadcnt 0x3
	v_fma_f64 v[13:14], v[47:48], v[53:54], v[13:14]
	v_fma_f64 v[9:10], v[53:54], 0, v[9:10]
	s_wait_loadcnt 0x2
	v_fma_f64 v[19:20], v[57:58], v[53:54], v[19:20]
	v_fma_f64 v[15:16], v[53:54], 0, v[15:16]
	;; [unrolled: 1-line block ×10, first 2 shown]
	s_wait_loadcnt 0x0
	v_fma_f64 v[13:14], v[41:42], v[61:62], v[13:14]
	v_fma_f64 v[9:10], v[61:62], 0, v[9:10]
	;; [unrolled: 1-line block ×12, first 2 shown]
	s_wait_alu 0xfffe
	s_and_not1_b32 exec_lo, exec_lo, s7
	s_cbranch_execnz .LBB149_16
; %bb.17:
	s_or_b32 exec_lo, exec_lo, s7
.LBB149_18:
	s_wait_alu 0xfffe
	s_or_b32 exec_lo, exec_lo, s6
	s_cbranch_execz .LBB149_20
	s_branch .LBB149_25
.LBB149_19:
                                        ; implicit-def: $vgpr9_vgpr10
                                        ; implicit-def: $vgpr13_vgpr14
                                        ; implicit-def: $vgpr15_vgpr16
                                        ; implicit-def: $vgpr19_vgpr20
                                        ; implicit-def: $vgpr21_vgpr22
                                        ; implicit-def: $vgpr23_vgpr24
.LBB149_20:
	v_mov_b32_e32 v9, 0
	v_mov_b32_e32 v15, 0
	v_dual_mov_b32 v21, 0 :: v_dual_mov_b32 v10, 0
	v_dual_mov_b32 v13, 0 :: v_dual_mov_b32 v16, 0
	;; [unrolled: 1-line block ×4, first 2 shown]
	v_mov_b32_e32 v20, 0
	v_mov_b32_e32 v24, 0
	s_and_saveexec_b32 s3, s2
	s_cbranch_execz .LBB149_24
; %bb.21:
	v_lshlrev_b64_e32 v[31:32], 3, v[25:26]
	v_mov_b32_e32 v9, 0
	v_mov_b32_e32 v15, 0
	v_dual_mov_b32 v21, 0 :: v_dual_mov_b32 v10, 0
	v_mov_b32_e32 v13, 0
	v_add_co_u32 v31, vcc_lo, s8, v31
	v_dual_mov_b32 v16, 0 :: v_dual_mov_b32 v19, 0
	v_dual_mov_b32 v22, 0 :: v_dual_mov_b32 v23, 0
	v_mov_b32_e32 v14, 0
	v_mov_b32_e32 v20, 0
	;; [unrolled: 1-line block ×3, first 2 shown]
	s_wait_alu 0xfffd
	v_add_co_ci_u32_e64 v32, null, s9, v32, vcc_lo
	s_mov_b32 s6, 0
.LBB149_22:                             ; =>This Inner Loop Header: Depth=1
	global_load_b64 v[33:34], v[31:32], off
	v_add_co_u32 v31, s2, 0x200, v31
	s_wait_alu 0xf1ff
	v_add_co_ci_u32_e64 v32, null, 0, v32, s2
	s_wait_loadcnt 0x0
	v_sub_co_u32 v33, vcc_lo, v33, v11
	s_wait_alu 0xfffd
	v_sub_co_ci_u32_e64 v34, null, v34, v12, vcc_lo
	v_add_co_u32 v25, vcc_lo, v25, 64
	s_delay_alu instid0(VALU_DEP_3) | instskip(SKIP_2) | instid1(VALU_DEP_2)
	v_mad_co_u64_u32 v[57:58], null, v33, 48, s[4:5]
	s_wait_alu 0xfffd
	v_add_co_ci_u32_e64 v26, null, 0, v26, vcc_lo
	v_mov_b32_e32 v33, v58
	s_delay_alu instid0(VALU_DEP_1)
	v_mad_co_u64_u32 v[41:42], null, v34, 48, v[33:34]
	s_clause 0x1
	global_load_b128 v[33:36], v[27:28], off offset:16
	global_load_b128 v[37:40], v[27:28], off
	v_mov_b32_e32 v58, v41
	s_clause 0x1
	global_load_b128 v[41:44], v[57:58], off
	global_load_b128 v[45:48], v[57:58], off offset:16
	s_clause 0x2
	global_load_b128 v[49:52], v[27:28], off offset:32
	global_load_b128 v[53:56], v[27:28], off offset:48
	global_load_b64 v[61:62], v[27:28], off offset:64
	global_load_b128 v[57:60], v[57:58], off offset:32
	v_add_co_u32 v27, vcc_lo, 0x1200, v27
	s_wait_alu 0xfffd
	v_add_co_ci_u32_e64 v28, null, 0, v28, vcc_lo
	v_cmp_ge_i64_e32 vcc_lo, v[25:26], v[29:30]
	s_wait_alu 0xfffe
	s_or_b32 s6, vcc_lo, s6
	s_wait_loadcnt 0x5
	v_fma_f64 v[13:14], v[37:38], v[41:42], v[13:14]
	v_fma_f64 v[9:10], v[41:42], 0, v[9:10]
	;; [unrolled: 1-line block ×12, first 2 shown]
	s_wait_loadcnt 0x4
	v_fma_f64 v[13:14], v[35:36], v[45:46], v[13:14]
	v_fma_f64 v[9:10], v[45:46], 0, v[9:10]
	s_wait_loadcnt 0x3
	v_fma_f64 v[19:20], v[49:50], v[45:46], v[19:20]
	v_fma_f64 v[15:16], v[45:46], 0, v[15:16]
	;; [unrolled: 1-line block ×10, first 2 shown]
	s_wait_loadcnt 0x0
	v_fma_f64 v[13:14], v[53:54], v[57:58], v[13:14]
	v_fma_f64 v[9:10], v[57:58], 0, v[9:10]
	;; [unrolled: 1-line block ×12, first 2 shown]
	s_wait_alu 0xfffe
	s_and_not1_b32 exec_lo, exec_lo, s6
	s_cbranch_execnz .LBB149_22
; %bb.23:
	s_or_b32 exec_lo, exec_lo, s6
.LBB149_24:
	s_wait_alu 0xfffe
	s_or_b32 exec_lo, exec_lo, s3
.LBB149_25:
	v_mbcnt_lo_u32_b32 v35, -1, 0
	s_delay_alu instid0(VALU_DEP_1) | instskip(NEXT) | instid1(VALU_DEP_1)
	v_or_b32_e32 v11, 32, v35
	v_cmp_gt_i32_e32 vcc_lo, 32, v11
	s_wait_alu 0xfffd
	v_cndmask_b32_e32 v11, v35, v11, vcc_lo
	s_delay_alu instid0(VALU_DEP_1)
	v_lshlrev_b32_e32 v34, 2, v11
	ds_bpermute_b32 v11, v34, v13
	ds_bpermute_b32 v12, v34, v14
	;; [unrolled: 1-line block ×12, first 2 shown]
	s_wait_dscnt 0xa
	v_add_f64_e32 v[11:12], v[13:14], v[11:12]
	s_wait_dscnt 0x8
	v_add_f64_e32 v[9:10], v[9:10], v[25:26]
	;; [unrolled: 2-line block ×5, first 2 shown]
	v_xor_b32_e32 v23, 16, v35
	s_wait_dscnt 0x0
	v_add_f64_e32 v[21:22], v[21:22], v[33:34]
	s_delay_alu instid0(VALU_DEP_2) | instskip(SKIP_2) | instid1(VALU_DEP_1)
	v_cmp_gt_i32_e32 vcc_lo, 32, v23
	s_wait_alu 0xfffd
	v_cndmask_b32_e32 v23, v35, v23, vcc_lo
	v_lshlrev_b32_e32 v34, 2, v23
	ds_bpermute_b32 v23, v34, v11
	ds_bpermute_b32 v24, v34, v12
	;; [unrolled: 1-line block ×12, first 2 shown]
	s_wait_dscnt 0xa
	v_add_f64_e32 v[11:12], v[11:12], v[23:24]
	v_xor_b32_e32 v23, 8, v35
	s_wait_dscnt 0x8
	v_add_f64_e32 v[9:10], v[9:10], v[25:26]
	s_wait_dscnt 0x6
	v_add_f64_e32 v[13:14], v[13:14], v[27:28]
	;; [unrolled: 2-line block ×3, first 2 shown]
	v_cmp_gt_i32_e32 vcc_lo, 32, v23
	s_wait_dscnt 0x2
	v_add_f64_e32 v[19:20], v[19:20], v[31:32]
	s_wait_dscnt 0x0
	v_add_f64_e32 v[21:22], v[21:22], v[33:34]
	s_wait_alu 0xfffd
	v_cndmask_b32_e32 v23, v35, v23, vcc_lo
	s_delay_alu instid0(VALU_DEP_1)
	v_lshlrev_b32_e32 v34, 2, v23
	ds_bpermute_b32 v23, v34, v11
	ds_bpermute_b32 v24, v34, v12
	;; [unrolled: 1-line block ×12, first 2 shown]
	s_wait_dscnt 0xa
	v_add_f64_e32 v[11:12], v[11:12], v[23:24]
	v_xor_b32_e32 v23, 4, v35
	s_wait_dscnt 0x8
	v_add_f64_e32 v[9:10], v[9:10], v[25:26]
	s_wait_dscnt 0x6
	v_add_f64_e32 v[13:14], v[13:14], v[27:28]
	;; [unrolled: 2-line block ×3, first 2 shown]
	v_cmp_gt_i32_e32 vcc_lo, 32, v23
	s_wait_dscnt 0x2
	v_add_f64_e32 v[19:20], v[19:20], v[31:32]
	s_wait_dscnt 0x0
	v_add_f64_e32 v[21:22], v[21:22], v[33:34]
	s_wait_alu 0xfffd
	v_cndmask_b32_e32 v23, v35, v23, vcc_lo
	s_delay_alu instid0(VALU_DEP_1)
	v_lshlrev_b32_e32 v34, 2, v23
	ds_bpermute_b32 v23, v34, v11
	ds_bpermute_b32 v24, v34, v12
	ds_bpermute_b32 v25, v34, v9
	ds_bpermute_b32 v26, v34, v10
	ds_bpermute_b32 v27, v34, v13
	ds_bpermute_b32 v28, v34, v14
	ds_bpermute_b32 v29, v34, v15
	ds_bpermute_b32 v30, v34, v16
	ds_bpermute_b32 v31, v34, v19
	ds_bpermute_b32 v32, v34, v20
	ds_bpermute_b32 v33, v34, v21
	ds_bpermute_b32 v34, v34, v22
	s_wait_dscnt 0xa
	v_add_f64_e32 v[11:12], v[11:12], v[23:24]
	s_wait_dscnt 0x8
	v_add_f64_e32 v[23:24], v[9:10], v[25:26]
	v_xor_b32_e32 v9, 2, v35
	s_wait_dscnt 0x6
	v_add_f64_e32 v[13:14], v[13:14], v[27:28]
	s_wait_dscnt 0x4
	v_add_f64_e32 v[15:16], v[15:16], v[29:30]
	;; [unrolled: 2-line block ×3, first 2 shown]
	v_cmp_gt_i32_e32 vcc_lo, 32, v9
	s_wait_dscnt 0x0
	v_add_f64_e32 v[21:22], v[21:22], v[33:34]
	s_wait_alu 0xfffd
	v_cndmask_b32_e32 v9, v35, v9, vcc_lo
	s_delay_alu instid0(VALU_DEP_1)
	v_lshlrev_b32_e32 v34, 2, v9
	ds_bpermute_b32 v9, v34, v11
	ds_bpermute_b32 v10, v34, v12
	;; [unrolled: 1-line block ×12, first 2 shown]
	s_wait_dscnt 0xa
	v_add_f64_e32 v[9:10], v[11:12], v[9:10]
	s_wait_dscnt 0x8
	v_add_f64_e32 v[23:24], v[23:24], v[19:20]
	;; [unrolled: 2-line block ×6, first 2 shown]
	v_xor_b32_e32 v21, 1, v35
	s_delay_alu instid0(VALU_DEP_1) | instskip(SKIP_3) | instid1(VALU_DEP_2)
	v_cmp_gt_i32_e32 vcc_lo, 32, v21
	s_wait_alu 0xfffd
	v_cndmask_b32_e32 v21, v35, v21, vcc_lo
	v_cmp_eq_u32_e32 vcc_lo, 63, v0
	v_lshlrev_b32_e32 v30, 2, v21
	ds_bpermute_b32 v21, v30, v9
	ds_bpermute_b32 v22, v30, v10
	;; [unrolled: 1-line block ×12, first 2 shown]
	s_and_b32 exec_lo, exec_lo, vcc_lo
	s_cbranch_execz .LBB149_8
; %bb.26:
	s_wait_dscnt 0x8
	v_add_f64_e32 v[23:24], v[23:24], v[33:34]
	s_wait_dscnt 0x4
	v_add_f64_e32 v[19:20], v[19:20], v[31:32]
	;; [unrolled: 2-line block ×3, first 2 shown]
	v_add_f64_e32 v[9:10], v[9:10], v[21:22]
	v_add_f64_e32 v[11:12], v[11:12], v[25:26]
	;; [unrolled: 1-line block ×3, first 2 shown]
	v_cmp_eq_f64_e32 vcc_lo, 0, v[1:2]
	v_cmp_eq_f64_e64 s2, 0, v[3:4]
	s_load_b64 s[0:1], s[0:1], 0x68
	v_mul_f64_e64 v[13:14], v[23:24], -v[7:8]
	v_mul_f64_e32 v[23:24], v[5:6], v[23:24]
	v_mul_f64_e64 v[25:26], v[19:20], -v[7:8]
	v_mul_f64_e32 v[19:20], v[5:6], v[19:20]
	;; [unrolled: 2-line block ×3, first 2 shown]
	s_and_b32 s2, vcc_lo, s2
	v_fma_f64 v[13:14], v[5:6], v[9:10], v[13:14]
	v_fma_f64 v[15:16], v[7:8], v[9:10], v[23:24]
	;; [unrolled: 1-line block ×6, first 2 shown]
	s_wait_alu 0xfffe
	s_and_saveexec_b32 s3, s2
	s_wait_alu 0xfffe
	s_xor_b32 s2, exec_lo, s3
	s_cbranch_execz .LBB149_28
; %bb.27:
	s_wait_kmcnt 0x0
	v_mad_co_u64_u32 v[0:1], null, v17, 48, s[0:1]
	s_delay_alu instid0(VALU_DEP_1)
	v_mad_co_u64_u32 v[1:2], null, v18, 48, v[1:2]
                                        ; implicit-def: $vgpr17_vgpr18
	s_clause 0x2
	global_store_b128 v[0:1], v[13:16], off
	global_store_b128 v[0:1], v[9:12], off offset:16
	global_store_b128 v[0:1], v[5:8], off offset:32
                                        ; implicit-def: $vgpr3_vgpr4
                                        ; implicit-def: $vgpr13_vgpr14
                                        ; implicit-def: $vgpr9_vgpr10
                                        ; implicit-def: $vgpr5_vgpr6
.LBB149_28:
	s_wait_alu 0xfffe
	s_and_not1_saveexec_b32 s2, s2
	s_cbranch_execz .LBB149_8
; %bb.29:
	s_wait_kmcnt 0x0
	v_mad_co_u64_u32 v[29:30], null, v17, 48, s[0:1]
	s_delay_alu instid0(VALU_DEP_1) | instskip(NEXT) | instid1(VALU_DEP_1)
	v_mov_b32_e32 v0, v30
	v_mad_co_u64_u32 v[17:18], null, v18, 48, v[0:1]
	s_delay_alu instid0(VALU_DEP_1)
	v_mov_b32_e32 v30, v17
	s_clause 0x2
	global_load_b128 v[17:20], v[29:30], off
	global_load_b128 v[21:24], v[29:30], off offset:16
	global_load_b128 v[25:28], v[29:30], off offset:32
	s_wait_loadcnt 0x2
	v_fma_f64 v[13:14], v[1:2], v[17:18], v[13:14]
	v_fma_f64 v[15:16], v[3:4], v[17:18], v[15:16]
	s_wait_loadcnt 0x1
	v_fma_f64 v[9:10], v[1:2], v[21:22], v[9:10]
	v_fma_f64 v[11:12], v[3:4], v[21:22], v[11:12]
	;; [unrolled: 3-line block ×3, first 2 shown]
	v_fma_f64 v[5:6], -v[3:4], v[19:20], v[13:14]
	v_fma_f64 v[7:8], v[1:2], v[19:20], v[15:16]
	v_fma_f64 v[9:10], -v[3:4], v[23:24], v[9:10]
	v_fma_f64 v[11:12], v[1:2], v[23:24], v[11:12]
	;; [unrolled: 2-line block ×3, first 2 shown]
	s_clause 0x2
	global_store_b128 v[29:30], v[5:8], off
	global_store_b128 v[29:30], v[9:12], off offset:16
	global_store_b128 v[29:30], v[13:16], off offset:32
	s_endpgm
	.section	.rodata,"a",@progbits
	.p2align	6, 0x0
	.amdhsa_kernel _ZN9rocsparseL18bsrxmvn_3x3_kernelILj256ELj64E21rocsparse_complex_numIdElldS2_S2_EEvT3_20rocsparse_direction_NS_24const_host_device_scalarIT1_EES3_PKS3_PKT2_SC_S9_PKT4_PKT5_S7_PT6_21rocsparse_index_base_b
		.amdhsa_group_segment_fixed_size 0
		.amdhsa_private_segment_fixed_size 0
		.amdhsa_kernarg_size 120
		.amdhsa_user_sgpr_count 2
		.amdhsa_user_sgpr_dispatch_ptr 0
		.amdhsa_user_sgpr_queue_ptr 0
		.amdhsa_user_sgpr_kernarg_segment_ptr 1
		.amdhsa_user_sgpr_dispatch_id 0
		.amdhsa_user_sgpr_private_segment_size 0
		.amdhsa_wavefront_size32 1
		.amdhsa_uses_dynamic_stack 0
		.amdhsa_enable_private_segment 0
		.amdhsa_system_sgpr_workgroup_id_x 1
		.amdhsa_system_sgpr_workgroup_id_y 0
		.amdhsa_system_sgpr_workgroup_id_z 0
		.amdhsa_system_sgpr_workgroup_info 0
		.amdhsa_system_vgpr_workitem_id 0
		.amdhsa_next_free_vgpr 67
		.amdhsa_next_free_sgpr 12
		.amdhsa_reserve_vcc 1
		.amdhsa_float_round_mode_32 0
		.amdhsa_float_round_mode_16_64 0
		.amdhsa_float_denorm_mode_32 3
		.amdhsa_float_denorm_mode_16_64 3
		.amdhsa_fp16_overflow 0
		.amdhsa_workgroup_processor_mode 1
		.amdhsa_memory_ordered 1
		.amdhsa_forward_progress 1
		.amdhsa_inst_pref_size 30
		.amdhsa_round_robin_scheduling 0
		.amdhsa_exception_fp_ieee_invalid_op 0
		.amdhsa_exception_fp_denorm_src 0
		.amdhsa_exception_fp_ieee_div_zero 0
		.amdhsa_exception_fp_ieee_overflow 0
		.amdhsa_exception_fp_ieee_underflow 0
		.amdhsa_exception_fp_ieee_inexact 0
		.amdhsa_exception_int_div_zero 0
	.end_amdhsa_kernel
	.section	.text._ZN9rocsparseL18bsrxmvn_3x3_kernelILj256ELj64E21rocsparse_complex_numIdElldS2_S2_EEvT3_20rocsparse_direction_NS_24const_host_device_scalarIT1_EES3_PKS3_PKT2_SC_S9_PKT4_PKT5_S7_PT6_21rocsparse_index_base_b,"axG",@progbits,_ZN9rocsparseL18bsrxmvn_3x3_kernelILj256ELj64E21rocsparse_complex_numIdElldS2_S2_EEvT3_20rocsparse_direction_NS_24const_host_device_scalarIT1_EES3_PKS3_PKT2_SC_S9_PKT4_PKT5_S7_PT6_21rocsparse_index_base_b,comdat
.Lfunc_end149:
	.size	_ZN9rocsparseL18bsrxmvn_3x3_kernelILj256ELj64E21rocsparse_complex_numIdElldS2_S2_EEvT3_20rocsparse_direction_NS_24const_host_device_scalarIT1_EES3_PKS3_PKT2_SC_S9_PKT4_PKT5_S7_PT6_21rocsparse_index_base_b, .Lfunc_end149-_ZN9rocsparseL18bsrxmvn_3x3_kernelILj256ELj64E21rocsparse_complex_numIdElldS2_S2_EEvT3_20rocsparse_direction_NS_24const_host_device_scalarIT1_EES3_PKS3_PKT2_SC_S9_PKT4_PKT5_S7_PT6_21rocsparse_index_base_b
                                        ; -- End function
	.set _ZN9rocsparseL18bsrxmvn_3x3_kernelILj256ELj64E21rocsparse_complex_numIdElldS2_S2_EEvT3_20rocsparse_direction_NS_24const_host_device_scalarIT1_EES3_PKS3_PKT2_SC_S9_PKT4_PKT5_S7_PT6_21rocsparse_index_base_b.num_vgpr, 67
	.set _ZN9rocsparseL18bsrxmvn_3x3_kernelILj256ELj64E21rocsparse_complex_numIdElldS2_S2_EEvT3_20rocsparse_direction_NS_24const_host_device_scalarIT1_EES3_PKS3_PKT2_SC_S9_PKT4_PKT5_S7_PT6_21rocsparse_index_base_b.num_agpr, 0
	.set _ZN9rocsparseL18bsrxmvn_3x3_kernelILj256ELj64E21rocsparse_complex_numIdElldS2_S2_EEvT3_20rocsparse_direction_NS_24const_host_device_scalarIT1_EES3_PKS3_PKT2_SC_S9_PKT4_PKT5_S7_PT6_21rocsparse_index_base_b.numbered_sgpr, 12
	.set _ZN9rocsparseL18bsrxmvn_3x3_kernelILj256ELj64E21rocsparse_complex_numIdElldS2_S2_EEvT3_20rocsparse_direction_NS_24const_host_device_scalarIT1_EES3_PKS3_PKT2_SC_S9_PKT4_PKT5_S7_PT6_21rocsparse_index_base_b.num_named_barrier, 0
	.set _ZN9rocsparseL18bsrxmvn_3x3_kernelILj256ELj64E21rocsparse_complex_numIdElldS2_S2_EEvT3_20rocsparse_direction_NS_24const_host_device_scalarIT1_EES3_PKS3_PKT2_SC_S9_PKT4_PKT5_S7_PT6_21rocsparse_index_base_b.private_seg_size, 0
	.set _ZN9rocsparseL18bsrxmvn_3x3_kernelILj256ELj64E21rocsparse_complex_numIdElldS2_S2_EEvT3_20rocsparse_direction_NS_24const_host_device_scalarIT1_EES3_PKS3_PKT2_SC_S9_PKT4_PKT5_S7_PT6_21rocsparse_index_base_b.uses_vcc, 1
	.set _ZN9rocsparseL18bsrxmvn_3x3_kernelILj256ELj64E21rocsparse_complex_numIdElldS2_S2_EEvT3_20rocsparse_direction_NS_24const_host_device_scalarIT1_EES3_PKS3_PKT2_SC_S9_PKT4_PKT5_S7_PT6_21rocsparse_index_base_b.uses_flat_scratch, 0
	.set _ZN9rocsparseL18bsrxmvn_3x3_kernelILj256ELj64E21rocsparse_complex_numIdElldS2_S2_EEvT3_20rocsparse_direction_NS_24const_host_device_scalarIT1_EES3_PKS3_PKT2_SC_S9_PKT4_PKT5_S7_PT6_21rocsparse_index_base_b.has_dyn_sized_stack, 0
	.set _ZN9rocsparseL18bsrxmvn_3x3_kernelILj256ELj64E21rocsparse_complex_numIdElldS2_S2_EEvT3_20rocsparse_direction_NS_24const_host_device_scalarIT1_EES3_PKS3_PKT2_SC_S9_PKT4_PKT5_S7_PT6_21rocsparse_index_base_b.has_recursion, 0
	.set _ZN9rocsparseL18bsrxmvn_3x3_kernelILj256ELj64E21rocsparse_complex_numIdElldS2_S2_EEvT3_20rocsparse_direction_NS_24const_host_device_scalarIT1_EES3_PKS3_PKT2_SC_S9_PKT4_PKT5_S7_PT6_21rocsparse_index_base_b.has_indirect_call, 0
	.section	.AMDGPU.csdata,"",@progbits
; Kernel info:
; codeLenInByte = 3720
; TotalNumSgprs: 14
; NumVgprs: 67
; ScratchSize: 0
; MemoryBound: 0
; FloatMode: 240
; IeeeMode: 1
; LDSByteSize: 0 bytes/workgroup (compile time only)
; SGPRBlocks: 0
; VGPRBlocks: 8
; NumSGPRsForWavesPerEU: 14
; NumVGPRsForWavesPerEU: 67
; Occupancy: 16
; WaveLimiterHint : 1
; COMPUTE_PGM_RSRC2:SCRATCH_EN: 0
; COMPUTE_PGM_RSRC2:USER_SGPR: 2
; COMPUTE_PGM_RSRC2:TRAP_HANDLER: 0
; COMPUTE_PGM_RSRC2:TGID_X_EN: 1
; COMPUTE_PGM_RSRC2:TGID_Y_EN: 0
; COMPUTE_PGM_RSRC2:TGID_Z_EN: 0
; COMPUTE_PGM_RSRC2:TIDIG_COMP_CNT: 0
	.section	.text._ZN9rocsparseL18bsrxmvn_3x3_kernelILj256ELj4EdiifddEEvT3_20rocsparse_direction_NS_24const_host_device_scalarIT1_EES1_PKS1_PKT2_SA_S7_PKT4_PKT5_S5_PT6_21rocsparse_index_base_b,"axG",@progbits,_ZN9rocsparseL18bsrxmvn_3x3_kernelILj256ELj4EdiifddEEvT3_20rocsparse_direction_NS_24const_host_device_scalarIT1_EES1_PKS1_PKT2_SA_S7_PKT4_PKT5_S5_PT6_21rocsparse_index_base_b,comdat
	.globl	_ZN9rocsparseL18bsrxmvn_3x3_kernelILj256ELj4EdiifddEEvT3_20rocsparse_direction_NS_24const_host_device_scalarIT1_EES1_PKS1_PKT2_SA_S7_PKT4_PKT5_S5_PT6_21rocsparse_index_base_b ; -- Begin function _ZN9rocsparseL18bsrxmvn_3x3_kernelILj256ELj4EdiifddEEvT3_20rocsparse_direction_NS_24const_host_device_scalarIT1_EES1_PKS1_PKT2_SA_S7_PKT4_PKT5_S5_PT6_21rocsparse_index_base_b
	.p2align	8
	.type	_ZN9rocsparseL18bsrxmvn_3x3_kernelILj256ELj4EdiifddEEvT3_20rocsparse_direction_NS_24const_host_device_scalarIT1_EES1_PKS1_PKT2_SA_S7_PKT4_PKT5_S5_PT6_21rocsparse_index_base_b,@function
_ZN9rocsparseL18bsrxmvn_3x3_kernelILj256ELj4EdiifddEEvT3_20rocsparse_direction_NS_24const_host_device_scalarIT1_EES1_PKS1_PKT2_SA_S7_PKT4_PKT5_S5_PT6_21rocsparse_index_base_b: ; @_ZN9rocsparseL18bsrxmvn_3x3_kernelILj256ELj4EdiifddEEvT3_20rocsparse_direction_NS_24const_host_device_scalarIT1_EES1_PKS1_PKT2_SA_S7_PKT4_PKT5_S5_PT6_21rocsparse_index_base_b
; %bb.0:
	s_clause 0x2
	s_load_b64 s[12:13], s[0:1], 0x58
	s_load_b64 s[4:5], s[0:1], 0x8
	s_load_b64 s[2:3], s[0:1], 0x48
	s_wait_kmcnt 0x0
	s_bitcmp1_b32 s13, 0
	v_dual_mov_b32 v7, s5 :: v_dual_mov_b32 v6, s4
	s_cselect_b32 s6, -1, 0
	s_delay_alu instid0(SALU_CYCLE_1)
	s_and_b32 vcc_lo, exec_lo, s6
	s_xor_b32 s6, s6, -1
	s_cbranch_vccnz .LBB150_2
; %bb.1:
	v_dual_mov_b32 v1, s4 :: v_dual_mov_b32 v2, s5
	flat_load_b64 v[6:7], v[1:2]
.LBB150_2:
	v_dual_mov_b32 v5, s3 :: v_dual_mov_b32 v4, s2
	s_and_not1_b32 vcc_lo, exec_lo, s6
	s_cbranch_vccnz .LBB150_4
; %bb.3:
	v_dual_mov_b32 v1, s2 :: v_dual_mov_b32 v2, s3
	flat_load_b64 v[4:5], v[1:2]
.LBB150_4:
	s_wait_loadcnt_dscnt 0x0
	v_cmp_neq_f64_e32 vcc_lo, 0, v[6:7]
	v_cmp_neq_f64_e64 s2, 1.0, v[4:5]
	s_or_b32 s2, vcc_lo, s2
	s_wait_alu 0xfffe
	s_and_saveexec_b32 s3, s2
	s_cbranch_execz .LBB150_10
; %bb.5:
	s_clause 0x1
	s_load_b64 s[4:5], s[0:1], 0x18
	s_load_b64 s[2:3], s[0:1], 0x0
	v_lshrrev_b32_e32 v1, 2, v0
	s_delay_alu instid0(VALU_DEP_1)
	v_lshl_or_b32 v8, ttmp9, 6, v1
	s_wait_kmcnt 0x0
	s_cmp_lg_u64 s[4:5], 0
	s_cbranch_scc0 .LBB150_11
; %bb.6:
	s_load_b32 s6, s[0:1], 0x10
	s_mov_b32 s7, 0
                                        ; implicit-def: $vgpr1
	s_wait_kmcnt 0x0
	v_cmp_gt_i32_e32 vcc_lo, s6, v8
	s_mov_b32 s6, 0
	s_and_saveexec_b32 s8, vcc_lo
	s_delay_alu instid0(SALU_CYCLE_1)
	s_xor_b32 s8, exec_lo, s8
	s_cbranch_execz .LBB150_8
; %bb.7:
	v_ashrrev_i32_e32 v9, 31, v8
	s_mov_b32 s6, exec_lo
	s_delay_alu instid0(VALU_DEP_1) | instskip(NEXT) | instid1(VALU_DEP_1)
	v_lshlrev_b64_e32 v[1:2], 2, v[8:9]
	v_add_co_u32 v1, vcc_lo, s4, v1
	s_delay_alu instid0(VALU_DEP_1)
	v_add_co_ci_u32_e64 v2, null, s5, v2, vcc_lo
	global_load_b32 v1, v[1:2], off
	s_wait_loadcnt 0x0
	v_subrev_nc_u32_e32 v1, s12, v1
.LBB150_8:
	s_or_b32 exec_lo, exec_lo, s8
	s_delay_alu instid0(SALU_CYCLE_1)
	s_and_b32 vcc_lo, exec_lo, s7
	s_wait_alu 0xfffe
	s_cbranch_vccz .LBB150_12
.LBB150_9:
	v_cmp_gt_i32_e32 vcc_lo, s2, v8
	s_and_not1_b32 s2, s6, exec_lo
	s_and_b32 s4, vcc_lo, exec_lo
	s_wait_alu 0xfffe
	s_or_b32 s6, s2, s4
	s_wait_alu 0xfffe
	s_and_b32 exec_lo, exec_lo, s6
	s_cbranch_execnz .LBB150_13
.LBB150_10:
	s_endpgm
.LBB150_11:
	s_mov_b32 s6, 0
                                        ; implicit-def: $vgpr1
	s_cbranch_execnz .LBB150_9
.LBB150_12:
	v_mov_b32_e32 v8, v1
	s_and_b32 exec_lo, exec_lo, s6
	s_cbranch_execz .LBB150_10
.LBB150_13:
	s_load_b256 s[4:11], s[0:1], 0x20
	s_delay_alu instid0(VALU_DEP_1) | instskip(SKIP_1) | instid1(VALU_DEP_2)
	v_ashrrev_i32_e32 v9, 31, v8
	v_and_b32_e32 v19, 3, v0
	v_lshlrev_b64_e32 v[1:2], 2, v[8:9]
	s_wait_kmcnt 0x0
	s_delay_alu instid0(VALU_DEP_1) | instskip(SKIP_1) | instid1(VALU_DEP_2)
	v_add_co_u32 v9, vcc_lo, s4, v1
	s_wait_alu 0xfffd
	v_add_co_ci_u32_e64 v10, null, s5, v2, vcc_lo
	v_add_co_u32 v1, vcc_lo, s6, v1
	s_wait_alu 0xfffd
	v_add_co_ci_u32_e64 v2, null, s7, v2, vcc_lo
	;; [unrolled: 3-line block ×3, first 2 shown]
	s_cmp_eq_u64 s[6:7], 0
	global_load_b32 v9, v[9:10], off
	s_cselect_b32 vcc_lo, -1, 0
	s_load_b64 s[4:5], s[0:1], 0x40
	v_cndmask_b32_e32 v2, v2, v11, vcc_lo
	v_cndmask_b32_e32 v1, v1, v3, vcc_lo
	s_cmp_eq_u32 s3, 1
	global_load_b32 v1, v[1:2], off
	s_wait_loadcnt 0x1
	v_subrev_nc_u32_e32 v0, s12, v9
	s_delay_alu instid0(VALU_DEP_1) | instskip(SKIP_2) | instid1(VALU_DEP_2)
	v_add_nc_u32_e32 v2, v0, v19
	s_wait_loadcnt 0x0
	v_subrev_nc_u32_e32 v20, s12, v1
	v_mad_co_i64_i32 v[9:10], null, v2, 36, s[10:11]
	s_delay_alu instid0(VALU_DEP_2)
	v_cmp_lt_i32_e64 s2, v2, v20
	s_cbranch_scc1 .LBB150_19
; %bb.14:
	v_dual_mov_b32 v0, 0 :: v_dual_mov_b32 v11, 0
	v_mov_b32_e32 v13, 0
	v_dual_mov_b32 v1, 0 :: v_dual_mov_b32 v12, 0
	v_mov_b32_e32 v14, 0
	s_and_saveexec_b32 s6, s2
	s_cbranch_execz .LBB150_18
; %bb.15:
	v_dual_mov_b32 v0, 0 :: v_dual_mov_b32 v11, 0
	v_dual_mov_b32 v1, 0 :: v_dual_mov_b32 v16, v10
	;; [unrolled: 1-line block ×4, first 2 shown]
	v_mov_b32_e32 v17, v2
	s_mov_b32 s7, 0
.LBB150_16:                             ; =>This Inner Loop Header: Depth=1
	s_delay_alu instid0(VALU_DEP_1) | instskip(NEXT) | instid1(VALU_DEP_1)
	v_ashrrev_i32_e32 v18, 31, v17
	v_lshlrev_b64_e32 v[21:22], 2, v[17:18]
	v_add_nc_u32_e32 v17, 4, v17
	s_delay_alu instid0(VALU_DEP_2) | instskip(SKIP_1) | instid1(VALU_DEP_3)
	v_add_co_u32 v21, vcc_lo, s8, v21
	s_wait_alu 0xfffd
	v_add_co_ci_u32_e64 v22, null, s9, v22, vcc_lo
	global_load_b32 v3, v[21:22], off
	s_clause 0x1
	global_load_b128 v[21:24], v[15:16], off
	global_load_b128 v[25:28], v[15:16], off offset:16
	s_wait_loadcnt 0x2
	v_subrev_nc_u32_e32 v3, s12, v3
	s_wait_loadcnt 0x1
	v_cvt_f64_f32_e32 v[35:36], v21
	v_cvt_f64_f32_e32 v[37:38], v24
	s_wait_loadcnt 0x0
	v_cvt_f64_f32_e32 v[39:40], v27
	v_cvt_f64_f32_e32 v[21:22], v22
	v_lshl_add_u32 v29, v3, 1, v3
	v_cvt_f64_f32_e32 v[24:25], v25
	v_cvt_f64_f32_e32 v[27:28], v28
	s_delay_alu instid0(VALU_DEP_3) | instskip(NEXT) | instid1(VALU_DEP_1)
	v_ashrrev_i32_e32 v30, 31, v29
	v_lshlrev_b64_e32 v[29:30], 3, v[29:30]
	s_wait_kmcnt 0x0
	s_delay_alu instid0(VALU_DEP_1) | instskip(SKIP_1) | instid1(VALU_DEP_2)
	v_add_co_u32 v33, vcc_lo, s4, v29
	s_wait_alu 0xfffd
	v_add_co_ci_u32_e64 v34, null, s5, v30, vcc_lo
	v_cmp_ge_i32_e32 vcc_lo, v17, v20
	s_clause 0x1
	global_load_b128 v[29:32], v[33:34], off
	global_load_b64 v[33:34], v[33:34], off offset:16
	global_load_b32 v3, v[15:16], off offset:32
	v_add_co_u32 v15, s3, 0x90, v15
	s_wait_alu 0xf1ff
	v_add_co_ci_u32_e64 v16, null, 0, v16, s3
	s_wait_alu 0xfffe
	s_or_b32 s7, vcc_lo, s7
	s_wait_loadcnt 0x2
	v_fma_f64 v[13:14], v[35:36], v[29:30], v[13:14]
	v_fma_f64 v[11:12], v[37:38], v[29:30], v[11:12]
	;; [unrolled: 1-line block ×3, first 2 shown]
	v_cvt_f64_f32_e32 v[29:30], v23
	v_cvt_f64_f32_e32 v[35:36], v26
	s_wait_loadcnt 0x0
	v_cvt_f64_f32_e32 v[37:38], v3
	v_fma_f64 v[13:14], v[21:22], v[31:32], v[13:14]
	v_fma_f64 v[11:12], v[24:25], v[31:32], v[11:12]
	;; [unrolled: 1-line block ×3, first 2 shown]
	s_delay_alu instid0(VALU_DEP_3) | instskip(NEXT) | instid1(VALU_DEP_3)
	v_fma_f64 v[13:14], v[29:30], v[33:34], v[13:14]
	v_fma_f64 v[11:12], v[35:36], v[33:34], v[11:12]
	s_delay_alu instid0(VALU_DEP_3)
	v_fma_f64 v[0:1], v[37:38], v[33:34], v[0:1]
	s_wait_alu 0xfffe
	s_and_not1_b32 exec_lo, exec_lo, s7
	s_cbranch_execnz .LBB150_16
; %bb.17:
	s_or_b32 exec_lo, exec_lo, s7
.LBB150_18:
	s_wait_alu 0xfffe
	s_or_b32 exec_lo, exec_lo, s6
	s_cbranch_execz .LBB150_20
	s_branch .LBB150_25
.LBB150_19:
                                        ; implicit-def: $vgpr0_vgpr1
                                        ; implicit-def: $vgpr11_vgpr12
                                        ; implicit-def: $vgpr13_vgpr14
.LBB150_20:
	v_dual_mov_b32 v0, 0 :: v_dual_mov_b32 v11, 0
	v_mov_b32_e32 v13, 0
	v_dual_mov_b32 v1, 0 :: v_dual_mov_b32 v12, 0
	v_mov_b32_e32 v14, 0
	s_and_saveexec_b32 s3, s2
	s_cbranch_execz .LBB150_24
; %bb.21:
	v_dual_mov_b32 v0, 0 :: v_dual_mov_b32 v11, 0
	v_mov_b32_e32 v13, 0
	v_dual_mov_b32 v1, 0 :: v_dual_mov_b32 v12, 0
	v_mov_b32_e32 v14, 0
	s_mov_b32 s6, 0
.LBB150_22:                             ; =>This Inner Loop Header: Depth=1
	v_ashrrev_i32_e32 v3, 31, v2
	s_delay_alu instid0(VALU_DEP_1) | instskip(SKIP_1) | instid1(VALU_DEP_2)
	v_lshlrev_b64_e32 v[15:16], 2, v[2:3]
	v_add_nc_u32_e32 v2, 4, v2
	v_add_co_u32 v15, vcc_lo, s8, v15
	s_wait_alu 0xfffd
	s_delay_alu instid0(VALU_DEP_3)
	v_add_co_ci_u32_e64 v16, null, s9, v16, vcc_lo
	global_load_b32 v3, v[15:16], off
	s_clause 0x1
	global_load_b128 v[15:18], v[9:10], off
	global_load_b128 v[21:24], v[9:10], off offset:16
	s_wait_loadcnt 0x2
	v_subrev_nc_u32_e32 v3, s12, v3
	s_wait_loadcnt 0x1
	v_cvt_f64_f32_e32 v[31:32], v15
	v_cvt_f64_f32_e32 v[15:16], v16
	;; [unrolled: 1-line block ×4, first 2 shown]
	v_lshl_add_u32 v25, v3, 1, v3
	s_wait_loadcnt 0x0
	v_cvt_f64_f32_e32 v[35:36], v21
	v_cvt_f64_f32_e32 v[21:22], v22
	s_delay_alu instid0(VALU_DEP_3) | instskip(NEXT) | instid1(VALU_DEP_1)
	v_ashrrev_i32_e32 v26, 31, v25
	v_lshlrev_b64_e32 v[25:26], 3, v[25:26]
	s_wait_kmcnt 0x0
	s_delay_alu instid0(VALU_DEP_1) | instskip(SKIP_1) | instid1(VALU_DEP_2)
	v_add_co_u32 v29, vcc_lo, s4, v25
	s_wait_alu 0xfffd
	v_add_co_ci_u32_e64 v30, null, s5, v26, vcc_lo
	v_cmp_ge_i32_e32 vcc_lo, v2, v20
	s_clause 0x1
	global_load_b128 v[25:28], v[29:30], off
	global_load_b64 v[29:30], v[29:30], off offset:16
	global_load_b32 v3, v[9:10], off offset:32
	v_add_co_u32 v9, s2, 0x90, v9
	s_wait_alu 0xf1ff
	v_add_co_ci_u32_e64 v10, null, 0, v10, s2
	s_wait_alu 0xfffe
	s_or_b32 s6, vcc_lo, s6
	s_wait_loadcnt 0x2
	v_fma_f64 v[13:14], v[31:32], v[25:26], v[13:14]
	v_fma_f64 v[11:12], v[15:16], v[25:26], v[11:12]
	;; [unrolled: 1-line block ×3, first 2 shown]
	v_cvt_f64_f32_e32 v[15:16], v23
	v_cvt_f64_f32_e32 v[23:24], v24
	s_wait_loadcnt 0x0
	v_cvt_f64_f32_e32 v[25:26], v3
	v_fma_f64 v[13:14], v[17:18], v[27:28], v[13:14]
	v_fma_f64 v[11:12], v[35:36], v[27:28], v[11:12]
	;; [unrolled: 1-line block ×3, first 2 shown]
	s_delay_alu instid0(VALU_DEP_3) | instskip(NEXT) | instid1(VALU_DEP_3)
	v_fma_f64 v[13:14], v[15:16], v[29:30], v[13:14]
	v_fma_f64 v[11:12], v[23:24], v[29:30], v[11:12]
	s_delay_alu instid0(VALU_DEP_3)
	v_fma_f64 v[0:1], v[25:26], v[29:30], v[0:1]
	s_wait_alu 0xfffe
	s_and_not1_b32 exec_lo, exec_lo, s6
	s_cbranch_execnz .LBB150_22
; %bb.23:
	s_or_b32 exec_lo, exec_lo, s6
.LBB150_24:
	s_wait_alu 0xfffe
	s_or_b32 exec_lo, exec_lo, s3
.LBB150_25:
	v_mbcnt_lo_u32_b32 v20, -1, 0
	s_delay_alu instid0(VALU_DEP_1) | instskip(NEXT) | instid1(VALU_DEP_1)
	v_xor_b32_e32 v2, 2, v20
	v_cmp_gt_i32_e32 vcc_lo, 32, v2
	s_wait_alu 0xfffd
	v_cndmask_b32_e32 v2, v20, v2, vcc_lo
	s_delay_alu instid0(VALU_DEP_1)
	v_lshlrev_b32_e32 v9, 2, v2
	ds_bpermute_b32 v2, v9, v13
	ds_bpermute_b32 v3, v9, v14
	;; [unrolled: 1-line block ×6, first 2 shown]
	s_wait_dscnt 0x4
	v_add_f64_e32 v[9:10], v[13:14], v[2:3]
	s_wait_dscnt 0x2
	v_add_f64_e32 v[2:3], v[11:12], v[15:16]
	v_xor_b32_e32 v11, 1, v20
	s_wait_dscnt 0x0
	v_add_f64_e32 v[0:1], v[0:1], v[17:18]
	s_delay_alu instid0(VALU_DEP_2) | instskip(SKIP_3) | instid1(VALU_DEP_2)
	v_cmp_gt_i32_e32 vcc_lo, 32, v11
	s_wait_alu 0xfffd
	v_cndmask_b32_e32 v11, v20, v11, vcc_lo
	v_cmp_eq_u32_e32 vcc_lo, 3, v19
	v_lshlrev_b32_e32 v12, 2, v11
	ds_bpermute_b32 v15, v12, v9
	ds_bpermute_b32 v16, v12, v10
	;; [unrolled: 1-line block ×6, first 2 shown]
	s_and_b32 exec_lo, exec_lo, vcc_lo
	s_cbranch_execz .LBB150_10
; %bb.26:
	s_wait_dscnt 0x4
	v_add_f64_e32 v[9:10], v[9:10], v[15:16]
	s_wait_dscnt 0x2
	v_add_f64_e32 v[2:3], v[2:3], v[13:14]
	;; [unrolled: 2-line block ×3, first 2 shown]
	s_load_b64 s[0:1], s[0:1], 0x50
	v_lshl_add_u32 v8, v8, 1, v8
	s_mov_b32 s2, exec_lo
	s_delay_alu instid0(VALU_DEP_4) | instskip(NEXT) | instid1(VALU_DEP_4)
	v_mul_f64_e32 v[0:1], v[6:7], v[9:10]
	v_mul_f64_e32 v[2:3], v[6:7], v[2:3]
	s_delay_alu instid0(VALU_DEP_4)
	v_mul_f64_e32 v[6:7], v[6:7], v[11:12]
	v_ashrrev_i32_e32 v9, 31, v8
	v_cmpx_eq_f64_e32 0, v[4:5]
	s_wait_alu 0xfffe
	s_xor_b32 s2, exec_lo, s2
	s_cbranch_execz .LBB150_28
; %bb.27:
	v_lshlrev_b64_e32 v[4:5], 3, v[8:9]
                                        ; implicit-def: $vgpr8
	s_wait_kmcnt 0x0
	s_delay_alu instid0(VALU_DEP_1) | instskip(SKIP_1) | instid1(VALU_DEP_2)
	v_add_co_u32 v4, vcc_lo, s0, v4
	s_wait_alu 0xfffd
	v_add_co_ci_u32_e64 v5, null, s1, v5, vcc_lo
	s_clause 0x1
	global_store_b128 v[4:5], v[0:3], off
	global_store_b64 v[4:5], v[6:7], off offset:16
                                        ; implicit-def: $vgpr4_vgpr5
                                        ; implicit-def: $vgpr0_vgpr1
                                        ; implicit-def: $vgpr6_vgpr7
.LBB150_28:
	s_wait_alu 0xfffe
	s_and_not1_saveexec_b32 s2, s2
	s_cbranch_execz .LBB150_10
; %bb.29:
	v_lshlrev_b64_e32 v[8:9], 3, v[8:9]
	s_wait_kmcnt 0x0
	s_delay_alu instid0(VALU_DEP_1) | instskip(SKIP_1) | instid1(VALU_DEP_2)
	v_add_co_u32 v12, vcc_lo, s0, v8
	s_wait_alu 0xfffd
	v_add_co_ci_u32_e64 v13, null, s1, v9, vcc_lo
	s_clause 0x1
	global_load_b128 v[8:11], v[12:13], off
	global_load_b64 v[14:15], v[12:13], off offset:16
	s_wait_loadcnt 0x1
	v_fma_f64 v[0:1], v[4:5], v[8:9], v[0:1]
	v_fma_f64 v[2:3], v[4:5], v[10:11], v[2:3]
	s_wait_loadcnt 0x0
	v_fma_f64 v[4:5], v[4:5], v[14:15], v[6:7]
	s_clause 0x1
	global_store_b128 v[12:13], v[0:3], off
	global_store_b64 v[12:13], v[4:5], off offset:16
	s_endpgm
	.section	.rodata,"a",@progbits
	.p2align	6, 0x0
	.amdhsa_kernel _ZN9rocsparseL18bsrxmvn_3x3_kernelILj256ELj4EdiifddEEvT3_20rocsparse_direction_NS_24const_host_device_scalarIT1_EES1_PKS1_PKT2_SA_S7_PKT4_PKT5_S5_PT6_21rocsparse_index_base_b
		.amdhsa_group_segment_fixed_size 0
		.amdhsa_private_segment_fixed_size 0
		.amdhsa_kernarg_size 96
		.amdhsa_user_sgpr_count 2
		.amdhsa_user_sgpr_dispatch_ptr 0
		.amdhsa_user_sgpr_queue_ptr 0
		.amdhsa_user_sgpr_kernarg_segment_ptr 1
		.amdhsa_user_sgpr_dispatch_id 0
		.amdhsa_user_sgpr_private_segment_size 0
		.amdhsa_wavefront_size32 1
		.amdhsa_uses_dynamic_stack 0
		.amdhsa_enable_private_segment 0
		.amdhsa_system_sgpr_workgroup_id_x 1
		.amdhsa_system_sgpr_workgroup_id_y 0
		.amdhsa_system_sgpr_workgroup_id_z 0
		.amdhsa_system_sgpr_workgroup_info 0
		.amdhsa_system_vgpr_workitem_id 0
		.amdhsa_next_free_vgpr 41
		.amdhsa_next_free_sgpr 14
		.amdhsa_reserve_vcc 1
		.amdhsa_float_round_mode_32 0
		.amdhsa_float_round_mode_16_64 0
		.amdhsa_float_denorm_mode_32 3
		.amdhsa_float_denorm_mode_16_64 3
		.amdhsa_fp16_overflow 0
		.amdhsa_workgroup_processor_mode 1
		.amdhsa_memory_ordered 1
		.amdhsa_forward_progress 1
		.amdhsa_inst_pref_size 15
		.amdhsa_round_robin_scheduling 0
		.amdhsa_exception_fp_ieee_invalid_op 0
		.amdhsa_exception_fp_denorm_src 0
		.amdhsa_exception_fp_ieee_div_zero 0
		.amdhsa_exception_fp_ieee_overflow 0
		.amdhsa_exception_fp_ieee_underflow 0
		.amdhsa_exception_fp_ieee_inexact 0
		.amdhsa_exception_int_div_zero 0
	.end_amdhsa_kernel
	.section	.text._ZN9rocsparseL18bsrxmvn_3x3_kernelILj256ELj4EdiifddEEvT3_20rocsparse_direction_NS_24const_host_device_scalarIT1_EES1_PKS1_PKT2_SA_S7_PKT4_PKT5_S5_PT6_21rocsparse_index_base_b,"axG",@progbits,_ZN9rocsparseL18bsrxmvn_3x3_kernelILj256ELj4EdiifddEEvT3_20rocsparse_direction_NS_24const_host_device_scalarIT1_EES1_PKS1_PKT2_SA_S7_PKT4_PKT5_S5_PT6_21rocsparse_index_base_b,comdat
.Lfunc_end150:
	.size	_ZN9rocsparseL18bsrxmvn_3x3_kernelILj256ELj4EdiifddEEvT3_20rocsparse_direction_NS_24const_host_device_scalarIT1_EES1_PKS1_PKT2_SA_S7_PKT4_PKT5_S5_PT6_21rocsparse_index_base_b, .Lfunc_end150-_ZN9rocsparseL18bsrxmvn_3x3_kernelILj256ELj4EdiifddEEvT3_20rocsparse_direction_NS_24const_host_device_scalarIT1_EES1_PKS1_PKT2_SA_S7_PKT4_PKT5_S5_PT6_21rocsparse_index_base_b
                                        ; -- End function
	.set _ZN9rocsparseL18bsrxmvn_3x3_kernelILj256ELj4EdiifddEEvT3_20rocsparse_direction_NS_24const_host_device_scalarIT1_EES1_PKS1_PKT2_SA_S7_PKT4_PKT5_S5_PT6_21rocsparse_index_base_b.num_vgpr, 41
	.set _ZN9rocsparseL18bsrxmvn_3x3_kernelILj256ELj4EdiifddEEvT3_20rocsparse_direction_NS_24const_host_device_scalarIT1_EES1_PKS1_PKT2_SA_S7_PKT4_PKT5_S5_PT6_21rocsparse_index_base_b.num_agpr, 0
	.set _ZN9rocsparseL18bsrxmvn_3x3_kernelILj256ELj4EdiifddEEvT3_20rocsparse_direction_NS_24const_host_device_scalarIT1_EES1_PKS1_PKT2_SA_S7_PKT4_PKT5_S5_PT6_21rocsparse_index_base_b.numbered_sgpr, 14
	.set _ZN9rocsparseL18bsrxmvn_3x3_kernelILj256ELj4EdiifddEEvT3_20rocsparse_direction_NS_24const_host_device_scalarIT1_EES1_PKS1_PKT2_SA_S7_PKT4_PKT5_S5_PT6_21rocsparse_index_base_b.num_named_barrier, 0
	.set _ZN9rocsparseL18bsrxmvn_3x3_kernelILj256ELj4EdiifddEEvT3_20rocsparse_direction_NS_24const_host_device_scalarIT1_EES1_PKS1_PKT2_SA_S7_PKT4_PKT5_S5_PT6_21rocsparse_index_base_b.private_seg_size, 0
	.set _ZN9rocsparseL18bsrxmvn_3x3_kernelILj256ELj4EdiifddEEvT3_20rocsparse_direction_NS_24const_host_device_scalarIT1_EES1_PKS1_PKT2_SA_S7_PKT4_PKT5_S5_PT6_21rocsparse_index_base_b.uses_vcc, 1
	.set _ZN9rocsparseL18bsrxmvn_3x3_kernelILj256ELj4EdiifddEEvT3_20rocsparse_direction_NS_24const_host_device_scalarIT1_EES1_PKS1_PKT2_SA_S7_PKT4_PKT5_S5_PT6_21rocsparse_index_base_b.uses_flat_scratch, 0
	.set _ZN9rocsparseL18bsrxmvn_3x3_kernelILj256ELj4EdiifddEEvT3_20rocsparse_direction_NS_24const_host_device_scalarIT1_EES1_PKS1_PKT2_SA_S7_PKT4_PKT5_S5_PT6_21rocsparse_index_base_b.has_dyn_sized_stack, 0
	.set _ZN9rocsparseL18bsrxmvn_3x3_kernelILj256ELj4EdiifddEEvT3_20rocsparse_direction_NS_24const_host_device_scalarIT1_EES1_PKS1_PKT2_SA_S7_PKT4_PKT5_S5_PT6_21rocsparse_index_base_b.has_recursion, 0
	.set _ZN9rocsparseL18bsrxmvn_3x3_kernelILj256ELj4EdiifddEEvT3_20rocsparse_direction_NS_24const_host_device_scalarIT1_EES1_PKS1_PKT2_SA_S7_PKT4_PKT5_S5_PT6_21rocsparse_index_base_b.has_indirect_call, 0
	.section	.AMDGPU.csdata,"",@progbits
; Kernel info:
; codeLenInByte = 1912
; TotalNumSgprs: 16
; NumVgprs: 41
; ScratchSize: 0
; MemoryBound: 0
; FloatMode: 240
; IeeeMode: 1
; LDSByteSize: 0 bytes/workgroup (compile time only)
; SGPRBlocks: 0
; VGPRBlocks: 5
; NumSGPRsForWavesPerEU: 16
; NumVGPRsForWavesPerEU: 41
; Occupancy: 16
; WaveLimiterHint : 1
; COMPUTE_PGM_RSRC2:SCRATCH_EN: 0
; COMPUTE_PGM_RSRC2:USER_SGPR: 2
; COMPUTE_PGM_RSRC2:TRAP_HANDLER: 0
; COMPUTE_PGM_RSRC2:TGID_X_EN: 1
; COMPUTE_PGM_RSRC2:TGID_Y_EN: 0
; COMPUTE_PGM_RSRC2:TGID_Z_EN: 0
; COMPUTE_PGM_RSRC2:TIDIG_COMP_CNT: 0
	.section	.text._ZN9rocsparseL18bsrxmvn_3x3_kernelILj256ELj8EdiifddEEvT3_20rocsparse_direction_NS_24const_host_device_scalarIT1_EES1_PKS1_PKT2_SA_S7_PKT4_PKT5_S5_PT6_21rocsparse_index_base_b,"axG",@progbits,_ZN9rocsparseL18bsrxmvn_3x3_kernelILj256ELj8EdiifddEEvT3_20rocsparse_direction_NS_24const_host_device_scalarIT1_EES1_PKS1_PKT2_SA_S7_PKT4_PKT5_S5_PT6_21rocsparse_index_base_b,comdat
	.globl	_ZN9rocsparseL18bsrxmvn_3x3_kernelILj256ELj8EdiifddEEvT3_20rocsparse_direction_NS_24const_host_device_scalarIT1_EES1_PKS1_PKT2_SA_S7_PKT4_PKT5_S5_PT6_21rocsparse_index_base_b ; -- Begin function _ZN9rocsparseL18bsrxmvn_3x3_kernelILj256ELj8EdiifddEEvT3_20rocsparse_direction_NS_24const_host_device_scalarIT1_EES1_PKS1_PKT2_SA_S7_PKT4_PKT5_S5_PT6_21rocsparse_index_base_b
	.p2align	8
	.type	_ZN9rocsparseL18bsrxmvn_3x3_kernelILj256ELj8EdiifddEEvT3_20rocsparse_direction_NS_24const_host_device_scalarIT1_EES1_PKS1_PKT2_SA_S7_PKT4_PKT5_S5_PT6_21rocsparse_index_base_b,@function
_ZN9rocsparseL18bsrxmvn_3x3_kernelILj256ELj8EdiifddEEvT3_20rocsparse_direction_NS_24const_host_device_scalarIT1_EES1_PKS1_PKT2_SA_S7_PKT4_PKT5_S5_PT6_21rocsparse_index_base_b: ; @_ZN9rocsparseL18bsrxmvn_3x3_kernelILj256ELj8EdiifddEEvT3_20rocsparse_direction_NS_24const_host_device_scalarIT1_EES1_PKS1_PKT2_SA_S7_PKT4_PKT5_S5_PT6_21rocsparse_index_base_b
; %bb.0:
	s_clause 0x2
	s_load_b64 s[12:13], s[0:1], 0x58
	s_load_b64 s[4:5], s[0:1], 0x8
	;; [unrolled: 1-line block ×3, first 2 shown]
	s_wait_kmcnt 0x0
	s_bitcmp1_b32 s13, 0
	v_dual_mov_b32 v7, s5 :: v_dual_mov_b32 v6, s4
	s_cselect_b32 s6, -1, 0
	s_delay_alu instid0(SALU_CYCLE_1)
	s_and_b32 vcc_lo, exec_lo, s6
	s_xor_b32 s6, s6, -1
	s_cbranch_vccnz .LBB151_2
; %bb.1:
	v_dual_mov_b32 v1, s4 :: v_dual_mov_b32 v2, s5
	flat_load_b64 v[6:7], v[1:2]
.LBB151_2:
	v_dual_mov_b32 v5, s3 :: v_dual_mov_b32 v4, s2
	s_and_not1_b32 vcc_lo, exec_lo, s6
	s_cbranch_vccnz .LBB151_4
; %bb.3:
	v_dual_mov_b32 v1, s2 :: v_dual_mov_b32 v2, s3
	flat_load_b64 v[4:5], v[1:2]
.LBB151_4:
	s_wait_loadcnt_dscnt 0x0
	v_cmp_neq_f64_e32 vcc_lo, 0, v[6:7]
	v_cmp_neq_f64_e64 s2, 1.0, v[4:5]
	s_or_b32 s2, vcc_lo, s2
	s_wait_alu 0xfffe
	s_and_saveexec_b32 s3, s2
	s_cbranch_execz .LBB151_10
; %bb.5:
	s_clause 0x1
	s_load_b64 s[4:5], s[0:1], 0x18
	s_load_b64 s[2:3], s[0:1], 0x0
	v_lshrrev_b32_e32 v1, 3, v0
	s_delay_alu instid0(VALU_DEP_1)
	v_lshl_or_b32 v8, ttmp9, 5, v1
	s_wait_kmcnt 0x0
	s_cmp_lg_u64 s[4:5], 0
	s_cbranch_scc0 .LBB151_11
; %bb.6:
	s_load_b32 s6, s[0:1], 0x10
	s_mov_b32 s7, 0
                                        ; implicit-def: $vgpr1
	s_wait_kmcnt 0x0
	v_cmp_gt_i32_e32 vcc_lo, s6, v8
	s_mov_b32 s6, 0
	s_and_saveexec_b32 s8, vcc_lo
	s_delay_alu instid0(SALU_CYCLE_1)
	s_xor_b32 s8, exec_lo, s8
	s_cbranch_execz .LBB151_8
; %bb.7:
	v_ashrrev_i32_e32 v9, 31, v8
	s_mov_b32 s6, exec_lo
	s_delay_alu instid0(VALU_DEP_1) | instskip(NEXT) | instid1(VALU_DEP_1)
	v_lshlrev_b64_e32 v[1:2], 2, v[8:9]
	v_add_co_u32 v1, vcc_lo, s4, v1
	s_delay_alu instid0(VALU_DEP_1)
	v_add_co_ci_u32_e64 v2, null, s5, v2, vcc_lo
	global_load_b32 v1, v[1:2], off
	s_wait_loadcnt 0x0
	v_subrev_nc_u32_e32 v1, s12, v1
.LBB151_8:
	s_or_b32 exec_lo, exec_lo, s8
	s_delay_alu instid0(SALU_CYCLE_1)
	s_and_b32 vcc_lo, exec_lo, s7
	s_wait_alu 0xfffe
	s_cbranch_vccz .LBB151_12
.LBB151_9:
	v_cmp_gt_i32_e32 vcc_lo, s2, v8
	s_and_not1_b32 s2, s6, exec_lo
	s_and_b32 s4, vcc_lo, exec_lo
	s_wait_alu 0xfffe
	s_or_b32 s6, s2, s4
	s_wait_alu 0xfffe
	s_and_b32 exec_lo, exec_lo, s6
	s_cbranch_execnz .LBB151_13
.LBB151_10:
	s_endpgm
.LBB151_11:
	s_mov_b32 s6, 0
                                        ; implicit-def: $vgpr1
	s_cbranch_execnz .LBB151_9
.LBB151_12:
	v_mov_b32_e32 v8, v1
	s_and_b32 exec_lo, exec_lo, s6
	s_cbranch_execz .LBB151_10
.LBB151_13:
	s_load_b256 s[4:11], s[0:1], 0x20
	s_delay_alu instid0(VALU_DEP_1) | instskip(SKIP_1) | instid1(VALU_DEP_2)
	v_ashrrev_i32_e32 v9, 31, v8
	v_and_b32_e32 v19, 7, v0
	v_lshlrev_b64_e32 v[1:2], 2, v[8:9]
	s_wait_kmcnt 0x0
	s_delay_alu instid0(VALU_DEP_1) | instskip(SKIP_1) | instid1(VALU_DEP_2)
	v_add_co_u32 v9, vcc_lo, s4, v1
	s_wait_alu 0xfffd
	v_add_co_ci_u32_e64 v10, null, s5, v2, vcc_lo
	v_add_co_u32 v1, vcc_lo, s6, v1
	s_wait_alu 0xfffd
	v_add_co_ci_u32_e64 v2, null, s7, v2, vcc_lo
	;; [unrolled: 3-line block ×3, first 2 shown]
	s_cmp_eq_u64 s[6:7], 0
	global_load_b32 v9, v[9:10], off
	s_cselect_b32 vcc_lo, -1, 0
	s_load_b64 s[4:5], s[0:1], 0x40
	v_cndmask_b32_e32 v2, v2, v11, vcc_lo
	v_cndmask_b32_e32 v1, v1, v3, vcc_lo
	s_cmp_eq_u32 s3, 1
	global_load_b32 v1, v[1:2], off
	s_wait_loadcnt 0x1
	v_subrev_nc_u32_e32 v0, s12, v9
	s_delay_alu instid0(VALU_DEP_1) | instskip(SKIP_2) | instid1(VALU_DEP_2)
	v_add_nc_u32_e32 v11, v0, v19
	s_wait_loadcnt 0x0
	v_subrev_nc_u32_e32 v20, s12, v1
	v_mad_co_i64_i32 v[13:14], null, v11, 36, s[10:11]
	s_delay_alu instid0(VALU_DEP_2)
	v_cmp_lt_i32_e64 s2, v11, v20
	s_cbranch_scc1 .LBB151_19
; %bb.14:
	v_mov_b32_e32 v0, 0
	v_dual_mov_b32 v1, 0 :: v_dual_mov_b32 v2, 0
	v_mov_b32_e32 v9, 0
	v_dual_mov_b32 v3, 0 :: v_dual_mov_b32 v10, 0
	s_and_saveexec_b32 s6, s2
	s_cbranch_execz .LBB151_18
; %bb.15:
	v_mov_b32_e32 v0, 0
	v_dual_mov_b32 v1, 0 :: v_dual_mov_b32 v16, v14
	v_dual_mov_b32 v2, 0 :: v_dual_mov_b32 v9, 0
	v_mov_b32_e32 v15, v13
	v_dual_mov_b32 v3, 0 :: v_dual_mov_b32 v10, 0
	v_mov_b32_e32 v17, v11
	s_mov_b32 s7, 0
.LBB151_16:                             ; =>This Inner Loop Header: Depth=1
	s_delay_alu instid0(VALU_DEP_1) | instskip(NEXT) | instid1(VALU_DEP_1)
	v_ashrrev_i32_e32 v18, 31, v17
	v_lshlrev_b64_e32 v[21:22], 2, v[17:18]
	v_add_nc_u32_e32 v17, 8, v17
	s_delay_alu instid0(VALU_DEP_2) | instskip(SKIP_1) | instid1(VALU_DEP_3)
	v_add_co_u32 v21, vcc_lo, s8, v21
	s_wait_alu 0xfffd
	v_add_co_ci_u32_e64 v22, null, s9, v22, vcc_lo
	global_load_b32 v12, v[21:22], off
	s_clause 0x1
	global_load_b128 v[21:24], v[15:16], off
	global_load_b128 v[25:28], v[15:16], off offset:16
	s_wait_loadcnt 0x2
	v_subrev_nc_u32_e32 v12, s12, v12
	s_wait_loadcnt 0x1
	v_cvt_f64_f32_e32 v[35:36], v21
	v_cvt_f64_f32_e32 v[37:38], v24
	s_wait_loadcnt 0x0
	v_cvt_f64_f32_e32 v[39:40], v27
	v_cvt_f64_f32_e32 v[21:22], v22
	v_lshl_add_u32 v29, v12, 1, v12
	v_cvt_f64_f32_e32 v[24:25], v25
	v_cvt_f64_f32_e32 v[27:28], v28
	s_delay_alu instid0(VALU_DEP_3) | instskip(NEXT) | instid1(VALU_DEP_1)
	v_ashrrev_i32_e32 v30, 31, v29
	v_lshlrev_b64_e32 v[29:30], 3, v[29:30]
	s_wait_kmcnt 0x0
	s_delay_alu instid0(VALU_DEP_1) | instskip(SKIP_1) | instid1(VALU_DEP_2)
	v_add_co_u32 v33, vcc_lo, s4, v29
	s_wait_alu 0xfffd
	v_add_co_ci_u32_e64 v34, null, s5, v30, vcc_lo
	v_cmp_ge_i32_e32 vcc_lo, v17, v20
	s_clause 0x1
	global_load_b128 v[29:32], v[33:34], off
	global_load_b64 v[33:34], v[33:34], off offset:16
	global_load_b32 v12, v[15:16], off offset:32
	v_add_co_u32 v15, s3, 0x120, v15
	s_wait_alu 0xf1ff
	v_add_co_ci_u32_e64 v16, null, 0, v16, s3
	s_wait_alu 0xfffe
	s_or_b32 s7, vcc_lo, s7
	s_wait_loadcnt 0x2
	v_fma_f64 v[9:10], v[35:36], v[29:30], v[9:10]
	v_fma_f64 v[2:3], v[37:38], v[29:30], v[2:3]
	;; [unrolled: 1-line block ×3, first 2 shown]
	v_cvt_f64_f32_e32 v[29:30], v23
	v_cvt_f64_f32_e32 v[35:36], v26
	s_wait_loadcnt 0x0
	v_cvt_f64_f32_e32 v[37:38], v12
	v_fma_f64 v[9:10], v[21:22], v[31:32], v[9:10]
	v_fma_f64 v[2:3], v[24:25], v[31:32], v[2:3]
	;; [unrolled: 1-line block ×3, first 2 shown]
	s_delay_alu instid0(VALU_DEP_3) | instskip(NEXT) | instid1(VALU_DEP_3)
	v_fma_f64 v[9:10], v[29:30], v[33:34], v[9:10]
	v_fma_f64 v[2:3], v[35:36], v[33:34], v[2:3]
	s_delay_alu instid0(VALU_DEP_3)
	v_fma_f64 v[0:1], v[37:38], v[33:34], v[0:1]
	s_wait_alu 0xfffe
	s_and_not1_b32 exec_lo, exec_lo, s7
	s_cbranch_execnz .LBB151_16
; %bb.17:
	s_or_b32 exec_lo, exec_lo, s7
.LBB151_18:
	s_wait_alu 0xfffe
	s_or_b32 exec_lo, exec_lo, s6
	s_cbranch_execz .LBB151_20
	s_branch .LBB151_25
.LBB151_19:
                                        ; implicit-def: $vgpr0_vgpr1
                                        ; implicit-def: $vgpr2_vgpr3
                                        ; implicit-def: $vgpr9_vgpr10
.LBB151_20:
	v_mov_b32_e32 v0, 0
	v_dual_mov_b32 v1, 0 :: v_dual_mov_b32 v2, 0
	v_mov_b32_e32 v9, 0
	v_dual_mov_b32 v3, 0 :: v_dual_mov_b32 v10, 0
	s_and_saveexec_b32 s3, s2
	s_cbranch_execz .LBB151_24
; %bb.21:
	v_mov_b32_e32 v0, 0
	v_dual_mov_b32 v1, 0 :: v_dual_mov_b32 v2, 0
	v_mov_b32_e32 v9, 0
	v_dual_mov_b32 v3, 0 :: v_dual_mov_b32 v10, 0
	s_mov_b32 s6, 0
.LBB151_22:                             ; =>This Inner Loop Header: Depth=1
	v_ashrrev_i32_e32 v12, 31, v11
	s_delay_alu instid0(VALU_DEP_1) | instskip(SKIP_1) | instid1(VALU_DEP_2)
	v_lshlrev_b64_e32 v[15:16], 2, v[11:12]
	v_add_nc_u32_e32 v11, 8, v11
	v_add_co_u32 v15, vcc_lo, s8, v15
	s_wait_alu 0xfffd
	s_delay_alu instid0(VALU_DEP_3)
	v_add_co_ci_u32_e64 v16, null, s9, v16, vcc_lo
	global_load_b32 v12, v[15:16], off
	s_clause 0x1
	global_load_b128 v[15:18], v[13:14], off
	global_load_b128 v[21:24], v[13:14], off offset:16
	s_wait_loadcnt 0x2
	v_subrev_nc_u32_e32 v12, s12, v12
	s_wait_loadcnt 0x1
	v_cvt_f64_f32_e32 v[31:32], v15
	v_cvt_f64_f32_e32 v[15:16], v16
	;; [unrolled: 1-line block ×4, first 2 shown]
	v_lshl_add_u32 v25, v12, 1, v12
	s_wait_loadcnt 0x0
	v_cvt_f64_f32_e32 v[35:36], v21
	v_cvt_f64_f32_e32 v[21:22], v22
	s_delay_alu instid0(VALU_DEP_3) | instskip(NEXT) | instid1(VALU_DEP_1)
	v_ashrrev_i32_e32 v26, 31, v25
	v_lshlrev_b64_e32 v[25:26], 3, v[25:26]
	s_wait_kmcnt 0x0
	s_delay_alu instid0(VALU_DEP_1) | instskip(SKIP_1) | instid1(VALU_DEP_2)
	v_add_co_u32 v29, vcc_lo, s4, v25
	s_wait_alu 0xfffd
	v_add_co_ci_u32_e64 v30, null, s5, v26, vcc_lo
	v_cmp_ge_i32_e32 vcc_lo, v11, v20
	s_clause 0x1
	global_load_b128 v[25:28], v[29:30], off
	global_load_b64 v[29:30], v[29:30], off offset:16
	global_load_b32 v12, v[13:14], off offset:32
	v_add_co_u32 v13, s2, 0x120, v13
	s_wait_alu 0xf1ff
	v_add_co_ci_u32_e64 v14, null, 0, v14, s2
	s_wait_alu 0xfffe
	s_or_b32 s6, vcc_lo, s6
	s_wait_loadcnt 0x2
	v_fma_f64 v[9:10], v[31:32], v[25:26], v[9:10]
	v_fma_f64 v[2:3], v[15:16], v[25:26], v[2:3]
	;; [unrolled: 1-line block ×3, first 2 shown]
	v_cvt_f64_f32_e32 v[15:16], v23
	v_cvt_f64_f32_e32 v[23:24], v24
	s_wait_loadcnt 0x0
	v_cvt_f64_f32_e32 v[25:26], v12
	v_fma_f64 v[9:10], v[17:18], v[27:28], v[9:10]
	v_fma_f64 v[2:3], v[35:36], v[27:28], v[2:3]
	;; [unrolled: 1-line block ×3, first 2 shown]
	s_delay_alu instid0(VALU_DEP_3) | instskip(NEXT) | instid1(VALU_DEP_3)
	v_fma_f64 v[9:10], v[15:16], v[29:30], v[9:10]
	v_fma_f64 v[2:3], v[23:24], v[29:30], v[2:3]
	s_delay_alu instid0(VALU_DEP_3)
	v_fma_f64 v[0:1], v[25:26], v[29:30], v[0:1]
	s_wait_alu 0xfffe
	s_and_not1_b32 exec_lo, exec_lo, s6
	s_cbranch_execnz .LBB151_22
; %bb.23:
	s_or_b32 exec_lo, exec_lo, s6
.LBB151_24:
	s_wait_alu 0xfffe
	s_or_b32 exec_lo, exec_lo, s3
.LBB151_25:
	v_mbcnt_lo_u32_b32 v17, -1, 0
	s_delay_alu instid0(VALU_DEP_1) | instskip(NEXT) | instid1(VALU_DEP_1)
	v_xor_b32_e32 v11, 4, v17
	v_cmp_gt_i32_e32 vcc_lo, 32, v11
	s_wait_alu 0xfffd
	v_cndmask_b32_e32 v11, v17, v11, vcc_lo
	s_delay_alu instid0(VALU_DEP_1)
	v_lshlrev_b32_e32 v16, 2, v11
	ds_bpermute_b32 v11, v16, v9
	ds_bpermute_b32 v12, v16, v10
	;; [unrolled: 1-line block ×6, first 2 shown]
	s_wait_dscnt 0x4
	v_add_f64_e32 v[9:10], v[9:10], v[11:12]
	s_wait_dscnt 0x2
	v_add_f64_e32 v[2:3], v[2:3], v[13:14]
	;; [unrolled: 2-line block ×3, first 2 shown]
	v_xor_b32_e32 v0, 2, v17
	s_delay_alu instid0(VALU_DEP_1) | instskip(SKIP_2) | instid1(VALU_DEP_1)
	v_cmp_gt_i32_e32 vcc_lo, 32, v0
	s_wait_alu 0xfffd
	v_cndmask_b32_e32 v0, v17, v0, vcc_lo
	v_lshlrev_b32_e32 v16, 2, v0
	ds_bpermute_b32 v0, v16, v9
	ds_bpermute_b32 v1, v16, v10
	;; [unrolled: 1-line block ×6, first 2 shown]
	s_wait_dscnt 0x4
	v_add_f64_e32 v[9:10], v[9:10], v[0:1]
	s_wait_dscnt 0x2
	v_add_f64_e32 v[0:1], v[2:3], v[13:14]
	;; [unrolled: 2-line block ×3, first 2 shown]
	v_xor_b32_e32 v11, 1, v17
	s_delay_alu instid0(VALU_DEP_1) | instskip(SKIP_3) | instid1(VALU_DEP_2)
	v_cmp_gt_i32_e32 vcc_lo, 32, v11
	s_wait_alu 0xfffd
	v_cndmask_b32_e32 v11, v17, v11, vcc_lo
	v_cmp_eq_u32_e32 vcc_lo, 7, v19
	v_lshlrev_b32_e32 v12, 2, v11
	ds_bpermute_b32 v15, v12, v9
	ds_bpermute_b32 v16, v12, v10
	;; [unrolled: 1-line block ×6, first 2 shown]
	s_and_b32 exec_lo, exec_lo, vcc_lo
	s_cbranch_execz .LBB151_10
; %bb.26:
	s_wait_dscnt 0x4
	v_add_f64_e32 v[9:10], v[9:10], v[15:16]
	s_wait_dscnt 0x2
	v_add_f64_e32 v[13:14], v[0:1], v[13:14]
	;; [unrolled: 2-line block ×3, first 2 shown]
	s_load_b64 s[0:1], s[0:1], 0x50
	v_lshl_add_u32 v8, v8, 1, v8
	s_mov_b32 s2, exec_lo
	s_delay_alu instid0(VALU_DEP_4) | instskip(NEXT) | instid1(VALU_DEP_4)
	v_mul_f64_e32 v[0:1], v[6:7], v[9:10]
	v_mul_f64_e32 v[2:3], v[6:7], v[13:14]
	s_delay_alu instid0(VALU_DEP_4)
	v_mul_f64_e32 v[6:7], v[6:7], v[11:12]
	v_ashrrev_i32_e32 v9, 31, v8
	v_cmpx_eq_f64_e32 0, v[4:5]
	s_wait_alu 0xfffe
	s_xor_b32 s2, exec_lo, s2
	s_cbranch_execz .LBB151_28
; %bb.27:
	v_lshlrev_b64_e32 v[4:5], 3, v[8:9]
                                        ; implicit-def: $vgpr8
	s_wait_kmcnt 0x0
	s_delay_alu instid0(VALU_DEP_1) | instskip(SKIP_1) | instid1(VALU_DEP_2)
	v_add_co_u32 v4, vcc_lo, s0, v4
	s_wait_alu 0xfffd
	v_add_co_ci_u32_e64 v5, null, s1, v5, vcc_lo
	s_clause 0x1
	global_store_b128 v[4:5], v[0:3], off
	global_store_b64 v[4:5], v[6:7], off offset:16
                                        ; implicit-def: $vgpr4_vgpr5
                                        ; implicit-def: $vgpr0_vgpr1
                                        ; implicit-def: $vgpr6_vgpr7
.LBB151_28:
	s_wait_alu 0xfffe
	s_and_not1_saveexec_b32 s2, s2
	s_cbranch_execz .LBB151_10
; %bb.29:
	v_lshlrev_b64_e32 v[8:9], 3, v[8:9]
	s_wait_kmcnt 0x0
	s_delay_alu instid0(VALU_DEP_1) | instskip(SKIP_1) | instid1(VALU_DEP_2)
	v_add_co_u32 v12, vcc_lo, s0, v8
	s_wait_alu 0xfffd
	v_add_co_ci_u32_e64 v13, null, s1, v9, vcc_lo
	s_clause 0x1
	global_load_b128 v[8:11], v[12:13], off
	global_load_b64 v[14:15], v[12:13], off offset:16
	s_wait_loadcnt 0x1
	v_fma_f64 v[0:1], v[4:5], v[8:9], v[0:1]
	v_fma_f64 v[2:3], v[4:5], v[10:11], v[2:3]
	s_wait_loadcnt 0x0
	v_fma_f64 v[4:5], v[4:5], v[14:15], v[6:7]
	s_clause 0x1
	global_store_b128 v[12:13], v[0:3], off
	global_store_b64 v[12:13], v[4:5], off offset:16
	s_endpgm
	.section	.rodata,"a",@progbits
	.p2align	6, 0x0
	.amdhsa_kernel _ZN9rocsparseL18bsrxmvn_3x3_kernelILj256ELj8EdiifddEEvT3_20rocsparse_direction_NS_24const_host_device_scalarIT1_EES1_PKS1_PKT2_SA_S7_PKT4_PKT5_S5_PT6_21rocsparse_index_base_b
		.amdhsa_group_segment_fixed_size 0
		.amdhsa_private_segment_fixed_size 0
		.amdhsa_kernarg_size 96
		.amdhsa_user_sgpr_count 2
		.amdhsa_user_sgpr_dispatch_ptr 0
		.amdhsa_user_sgpr_queue_ptr 0
		.amdhsa_user_sgpr_kernarg_segment_ptr 1
		.amdhsa_user_sgpr_dispatch_id 0
		.amdhsa_user_sgpr_private_segment_size 0
		.amdhsa_wavefront_size32 1
		.amdhsa_uses_dynamic_stack 0
		.amdhsa_enable_private_segment 0
		.amdhsa_system_sgpr_workgroup_id_x 1
		.amdhsa_system_sgpr_workgroup_id_y 0
		.amdhsa_system_sgpr_workgroup_id_z 0
		.amdhsa_system_sgpr_workgroup_info 0
		.amdhsa_system_vgpr_workitem_id 0
		.amdhsa_next_free_vgpr 41
		.amdhsa_next_free_sgpr 14
		.amdhsa_reserve_vcc 1
		.amdhsa_float_round_mode_32 0
		.amdhsa_float_round_mode_16_64 0
		.amdhsa_float_denorm_mode_32 3
		.amdhsa_float_denorm_mode_16_64 3
		.amdhsa_fp16_overflow 0
		.amdhsa_workgroup_processor_mode 1
		.amdhsa_memory_ordered 1
		.amdhsa_forward_progress 1
		.amdhsa_inst_pref_size 16
		.amdhsa_round_robin_scheduling 0
		.amdhsa_exception_fp_ieee_invalid_op 0
		.amdhsa_exception_fp_denorm_src 0
		.amdhsa_exception_fp_ieee_div_zero 0
		.amdhsa_exception_fp_ieee_overflow 0
		.amdhsa_exception_fp_ieee_underflow 0
		.amdhsa_exception_fp_ieee_inexact 0
		.amdhsa_exception_int_div_zero 0
	.end_amdhsa_kernel
	.section	.text._ZN9rocsparseL18bsrxmvn_3x3_kernelILj256ELj8EdiifddEEvT3_20rocsparse_direction_NS_24const_host_device_scalarIT1_EES1_PKS1_PKT2_SA_S7_PKT4_PKT5_S5_PT6_21rocsparse_index_base_b,"axG",@progbits,_ZN9rocsparseL18bsrxmvn_3x3_kernelILj256ELj8EdiifddEEvT3_20rocsparse_direction_NS_24const_host_device_scalarIT1_EES1_PKS1_PKT2_SA_S7_PKT4_PKT5_S5_PT6_21rocsparse_index_base_b,comdat
.Lfunc_end151:
	.size	_ZN9rocsparseL18bsrxmvn_3x3_kernelILj256ELj8EdiifddEEvT3_20rocsparse_direction_NS_24const_host_device_scalarIT1_EES1_PKS1_PKT2_SA_S7_PKT4_PKT5_S5_PT6_21rocsparse_index_base_b, .Lfunc_end151-_ZN9rocsparseL18bsrxmvn_3x3_kernelILj256ELj8EdiifddEEvT3_20rocsparse_direction_NS_24const_host_device_scalarIT1_EES1_PKS1_PKT2_SA_S7_PKT4_PKT5_S5_PT6_21rocsparse_index_base_b
                                        ; -- End function
	.set _ZN9rocsparseL18bsrxmvn_3x3_kernelILj256ELj8EdiifddEEvT3_20rocsparse_direction_NS_24const_host_device_scalarIT1_EES1_PKS1_PKT2_SA_S7_PKT4_PKT5_S5_PT6_21rocsparse_index_base_b.num_vgpr, 41
	.set _ZN9rocsparseL18bsrxmvn_3x3_kernelILj256ELj8EdiifddEEvT3_20rocsparse_direction_NS_24const_host_device_scalarIT1_EES1_PKS1_PKT2_SA_S7_PKT4_PKT5_S5_PT6_21rocsparse_index_base_b.num_agpr, 0
	.set _ZN9rocsparseL18bsrxmvn_3x3_kernelILj256ELj8EdiifddEEvT3_20rocsparse_direction_NS_24const_host_device_scalarIT1_EES1_PKS1_PKT2_SA_S7_PKT4_PKT5_S5_PT6_21rocsparse_index_base_b.numbered_sgpr, 14
	.set _ZN9rocsparseL18bsrxmvn_3x3_kernelILj256ELj8EdiifddEEvT3_20rocsparse_direction_NS_24const_host_device_scalarIT1_EES1_PKS1_PKT2_SA_S7_PKT4_PKT5_S5_PT6_21rocsparse_index_base_b.num_named_barrier, 0
	.set _ZN9rocsparseL18bsrxmvn_3x3_kernelILj256ELj8EdiifddEEvT3_20rocsparse_direction_NS_24const_host_device_scalarIT1_EES1_PKS1_PKT2_SA_S7_PKT4_PKT5_S5_PT6_21rocsparse_index_base_b.private_seg_size, 0
	.set _ZN9rocsparseL18bsrxmvn_3x3_kernelILj256ELj8EdiifddEEvT3_20rocsparse_direction_NS_24const_host_device_scalarIT1_EES1_PKS1_PKT2_SA_S7_PKT4_PKT5_S5_PT6_21rocsparse_index_base_b.uses_vcc, 1
	.set _ZN9rocsparseL18bsrxmvn_3x3_kernelILj256ELj8EdiifddEEvT3_20rocsparse_direction_NS_24const_host_device_scalarIT1_EES1_PKS1_PKT2_SA_S7_PKT4_PKT5_S5_PT6_21rocsparse_index_base_b.uses_flat_scratch, 0
	.set _ZN9rocsparseL18bsrxmvn_3x3_kernelILj256ELj8EdiifddEEvT3_20rocsparse_direction_NS_24const_host_device_scalarIT1_EES1_PKS1_PKT2_SA_S7_PKT4_PKT5_S5_PT6_21rocsparse_index_base_b.has_dyn_sized_stack, 0
	.set _ZN9rocsparseL18bsrxmvn_3x3_kernelILj256ELj8EdiifddEEvT3_20rocsparse_direction_NS_24const_host_device_scalarIT1_EES1_PKS1_PKT2_SA_S7_PKT4_PKT5_S5_PT6_21rocsparse_index_base_b.has_recursion, 0
	.set _ZN9rocsparseL18bsrxmvn_3x3_kernelILj256ELj8EdiifddEEvT3_20rocsparse_direction_NS_24const_host_device_scalarIT1_EES1_PKS1_PKT2_SA_S7_PKT4_PKT5_S5_PT6_21rocsparse_index_base_b.has_indirect_call, 0
	.section	.AMDGPU.csdata,"",@progbits
; Kernel info:
; codeLenInByte = 2008
; TotalNumSgprs: 16
; NumVgprs: 41
; ScratchSize: 0
; MemoryBound: 0
; FloatMode: 240
; IeeeMode: 1
; LDSByteSize: 0 bytes/workgroup (compile time only)
; SGPRBlocks: 0
; VGPRBlocks: 5
; NumSGPRsForWavesPerEU: 16
; NumVGPRsForWavesPerEU: 41
; Occupancy: 16
; WaveLimiterHint : 1
; COMPUTE_PGM_RSRC2:SCRATCH_EN: 0
; COMPUTE_PGM_RSRC2:USER_SGPR: 2
; COMPUTE_PGM_RSRC2:TRAP_HANDLER: 0
; COMPUTE_PGM_RSRC2:TGID_X_EN: 1
; COMPUTE_PGM_RSRC2:TGID_Y_EN: 0
; COMPUTE_PGM_RSRC2:TGID_Z_EN: 0
; COMPUTE_PGM_RSRC2:TIDIG_COMP_CNT: 0
	.section	.text._ZN9rocsparseL18bsrxmvn_3x3_kernelILj256ELj16EdiifddEEvT3_20rocsparse_direction_NS_24const_host_device_scalarIT1_EES1_PKS1_PKT2_SA_S7_PKT4_PKT5_S5_PT6_21rocsparse_index_base_b,"axG",@progbits,_ZN9rocsparseL18bsrxmvn_3x3_kernelILj256ELj16EdiifddEEvT3_20rocsparse_direction_NS_24const_host_device_scalarIT1_EES1_PKS1_PKT2_SA_S7_PKT4_PKT5_S5_PT6_21rocsparse_index_base_b,comdat
	.globl	_ZN9rocsparseL18bsrxmvn_3x3_kernelILj256ELj16EdiifddEEvT3_20rocsparse_direction_NS_24const_host_device_scalarIT1_EES1_PKS1_PKT2_SA_S7_PKT4_PKT5_S5_PT6_21rocsparse_index_base_b ; -- Begin function _ZN9rocsparseL18bsrxmvn_3x3_kernelILj256ELj16EdiifddEEvT3_20rocsparse_direction_NS_24const_host_device_scalarIT1_EES1_PKS1_PKT2_SA_S7_PKT4_PKT5_S5_PT6_21rocsparse_index_base_b
	.p2align	8
	.type	_ZN9rocsparseL18bsrxmvn_3x3_kernelILj256ELj16EdiifddEEvT3_20rocsparse_direction_NS_24const_host_device_scalarIT1_EES1_PKS1_PKT2_SA_S7_PKT4_PKT5_S5_PT6_21rocsparse_index_base_b,@function
_ZN9rocsparseL18bsrxmvn_3x3_kernelILj256ELj16EdiifddEEvT3_20rocsparse_direction_NS_24const_host_device_scalarIT1_EES1_PKS1_PKT2_SA_S7_PKT4_PKT5_S5_PT6_21rocsparse_index_base_b: ; @_ZN9rocsparseL18bsrxmvn_3x3_kernelILj256ELj16EdiifddEEvT3_20rocsparse_direction_NS_24const_host_device_scalarIT1_EES1_PKS1_PKT2_SA_S7_PKT4_PKT5_S5_PT6_21rocsparse_index_base_b
; %bb.0:
	s_clause 0x2
	s_load_b64 s[12:13], s[0:1], 0x58
	s_load_b64 s[4:5], s[0:1], 0x8
	;; [unrolled: 1-line block ×3, first 2 shown]
	s_wait_kmcnt 0x0
	s_bitcmp1_b32 s13, 0
	v_dual_mov_b32 v7, s5 :: v_dual_mov_b32 v6, s4
	s_cselect_b32 s6, -1, 0
	s_delay_alu instid0(SALU_CYCLE_1)
	s_and_b32 vcc_lo, exec_lo, s6
	s_xor_b32 s6, s6, -1
	s_cbranch_vccnz .LBB152_2
; %bb.1:
	v_dual_mov_b32 v1, s4 :: v_dual_mov_b32 v2, s5
	flat_load_b64 v[6:7], v[1:2]
.LBB152_2:
	v_dual_mov_b32 v5, s3 :: v_dual_mov_b32 v4, s2
	s_and_not1_b32 vcc_lo, exec_lo, s6
	s_cbranch_vccnz .LBB152_4
; %bb.3:
	v_dual_mov_b32 v1, s2 :: v_dual_mov_b32 v2, s3
	flat_load_b64 v[4:5], v[1:2]
.LBB152_4:
	s_wait_loadcnt_dscnt 0x0
	v_cmp_neq_f64_e32 vcc_lo, 0, v[6:7]
	v_cmp_neq_f64_e64 s2, 1.0, v[4:5]
	s_or_b32 s2, vcc_lo, s2
	s_wait_alu 0xfffe
	s_and_saveexec_b32 s3, s2
	s_cbranch_execz .LBB152_10
; %bb.5:
	s_clause 0x1
	s_load_b64 s[4:5], s[0:1], 0x18
	s_load_b64 s[2:3], s[0:1], 0x0
	v_lshrrev_b32_e32 v1, 4, v0
	s_delay_alu instid0(VALU_DEP_1)
	v_lshl_or_b32 v8, ttmp9, 4, v1
	s_wait_kmcnt 0x0
	s_cmp_lg_u64 s[4:5], 0
	s_cbranch_scc0 .LBB152_11
; %bb.6:
	s_load_b32 s6, s[0:1], 0x10
	s_mov_b32 s7, 0
                                        ; implicit-def: $vgpr1
	s_wait_kmcnt 0x0
	v_cmp_gt_i32_e32 vcc_lo, s6, v8
	s_mov_b32 s6, 0
	s_and_saveexec_b32 s8, vcc_lo
	s_delay_alu instid0(SALU_CYCLE_1)
	s_xor_b32 s8, exec_lo, s8
	s_cbranch_execz .LBB152_8
; %bb.7:
	v_ashrrev_i32_e32 v9, 31, v8
	s_mov_b32 s6, exec_lo
	s_delay_alu instid0(VALU_DEP_1) | instskip(NEXT) | instid1(VALU_DEP_1)
	v_lshlrev_b64_e32 v[1:2], 2, v[8:9]
	v_add_co_u32 v1, vcc_lo, s4, v1
	s_delay_alu instid0(VALU_DEP_1)
	v_add_co_ci_u32_e64 v2, null, s5, v2, vcc_lo
	global_load_b32 v1, v[1:2], off
	s_wait_loadcnt 0x0
	v_subrev_nc_u32_e32 v1, s12, v1
.LBB152_8:
	s_or_b32 exec_lo, exec_lo, s8
	s_delay_alu instid0(SALU_CYCLE_1)
	s_and_b32 vcc_lo, exec_lo, s7
	s_wait_alu 0xfffe
	s_cbranch_vccz .LBB152_12
.LBB152_9:
	v_cmp_gt_i32_e32 vcc_lo, s2, v8
	s_and_not1_b32 s2, s6, exec_lo
	s_and_b32 s4, vcc_lo, exec_lo
	s_wait_alu 0xfffe
	s_or_b32 s6, s2, s4
	s_wait_alu 0xfffe
	s_and_b32 exec_lo, exec_lo, s6
	s_cbranch_execnz .LBB152_13
.LBB152_10:
	s_endpgm
.LBB152_11:
	s_mov_b32 s6, 0
                                        ; implicit-def: $vgpr1
	s_cbranch_execnz .LBB152_9
.LBB152_12:
	v_mov_b32_e32 v8, v1
	s_and_b32 exec_lo, exec_lo, s6
	s_cbranch_execz .LBB152_10
.LBB152_13:
	s_load_b256 s[4:11], s[0:1], 0x20
	s_delay_alu instid0(VALU_DEP_1) | instskip(SKIP_1) | instid1(VALU_DEP_2)
	v_ashrrev_i32_e32 v9, 31, v8
	v_and_b32_e32 v19, 15, v0
	v_lshlrev_b64_e32 v[1:2], 2, v[8:9]
	s_wait_kmcnt 0x0
	s_delay_alu instid0(VALU_DEP_1) | instskip(SKIP_1) | instid1(VALU_DEP_2)
	v_add_co_u32 v9, vcc_lo, s4, v1
	s_wait_alu 0xfffd
	v_add_co_ci_u32_e64 v10, null, s5, v2, vcc_lo
	v_add_co_u32 v1, vcc_lo, s6, v1
	s_wait_alu 0xfffd
	v_add_co_ci_u32_e64 v2, null, s7, v2, vcc_lo
	;; [unrolled: 3-line block ×3, first 2 shown]
	s_cmp_eq_u64 s[6:7], 0
	global_load_b32 v9, v[9:10], off
	s_cselect_b32 vcc_lo, -1, 0
	s_load_b64 s[4:5], s[0:1], 0x40
	v_cndmask_b32_e32 v2, v2, v11, vcc_lo
	v_cndmask_b32_e32 v1, v1, v3, vcc_lo
	s_cmp_eq_u32 s3, 1
	global_load_b32 v1, v[1:2], off
	s_wait_loadcnt 0x1
	v_subrev_nc_u32_e32 v0, s12, v9
	s_delay_alu instid0(VALU_DEP_1) | instskip(SKIP_2) | instid1(VALU_DEP_2)
	v_add_nc_u32_e32 v11, v0, v19
	s_wait_loadcnt 0x0
	v_subrev_nc_u32_e32 v20, s12, v1
	v_mad_co_i64_i32 v[13:14], null, v11, 36, s[10:11]
	s_delay_alu instid0(VALU_DEP_2)
	v_cmp_lt_i32_e64 s2, v11, v20
	s_cbranch_scc1 .LBB152_19
; %bb.14:
	v_mov_b32_e32 v0, 0
	v_dual_mov_b32 v1, 0 :: v_dual_mov_b32 v2, 0
	v_mov_b32_e32 v9, 0
	v_dual_mov_b32 v3, 0 :: v_dual_mov_b32 v10, 0
	s_and_saveexec_b32 s6, s2
	s_cbranch_execz .LBB152_18
; %bb.15:
	v_mov_b32_e32 v0, 0
	v_dual_mov_b32 v1, 0 :: v_dual_mov_b32 v16, v14
	v_dual_mov_b32 v2, 0 :: v_dual_mov_b32 v9, 0
	v_mov_b32_e32 v15, v13
	v_dual_mov_b32 v3, 0 :: v_dual_mov_b32 v10, 0
	v_mov_b32_e32 v17, v11
	s_mov_b32 s7, 0
.LBB152_16:                             ; =>This Inner Loop Header: Depth=1
	s_delay_alu instid0(VALU_DEP_1) | instskip(NEXT) | instid1(VALU_DEP_1)
	v_ashrrev_i32_e32 v18, 31, v17
	v_lshlrev_b64_e32 v[21:22], 2, v[17:18]
	v_add_nc_u32_e32 v17, 16, v17
	s_delay_alu instid0(VALU_DEP_2) | instskip(SKIP_1) | instid1(VALU_DEP_3)
	v_add_co_u32 v21, vcc_lo, s8, v21
	s_wait_alu 0xfffd
	v_add_co_ci_u32_e64 v22, null, s9, v22, vcc_lo
	global_load_b32 v12, v[21:22], off
	s_clause 0x1
	global_load_b128 v[21:24], v[15:16], off
	global_load_b128 v[25:28], v[15:16], off offset:16
	s_wait_loadcnt 0x2
	v_subrev_nc_u32_e32 v12, s12, v12
	s_wait_loadcnt 0x1
	v_cvt_f64_f32_e32 v[35:36], v21
	v_cvt_f64_f32_e32 v[37:38], v24
	s_wait_loadcnt 0x0
	v_cvt_f64_f32_e32 v[39:40], v27
	v_cvt_f64_f32_e32 v[21:22], v22
	v_lshl_add_u32 v29, v12, 1, v12
	v_cvt_f64_f32_e32 v[24:25], v25
	v_cvt_f64_f32_e32 v[27:28], v28
	s_delay_alu instid0(VALU_DEP_3) | instskip(NEXT) | instid1(VALU_DEP_1)
	v_ashrrev_i32_e32 v30, 31, v29
	v_lshlrev_b64_e32 v[29:30], 3, v[29:30]
	s_wait_kmcnt 0x0
	s_delay_alu instid0(VALU_DEP_1) | instskip(SKIP_1) | instid1(VALU_DEP_2)
	v_add_co_u32 v33, vcc_lo, s4, v29
	s_wait_alu 0xfffd
	v_add_co_ci_u32_e64 v34, null, s5, v30, vcc_lo
	v_cmp_ge_i32_e32 vcc_lo, v17, v20
	s_clause 0x1
	global_load_b128 v[29:32], v[33:34], off
	global_load_b64 v[33:34], v[33:34], off offset:16
	global_load_b32 v12, v[15:16], off offset:32
	v_add_co_u32 v15, s3, 0x240, v15
	s_wait_alu 0xf1ff
	v_add_co_ci_u32_e64 v16, null, 0, v16, s3
	s_wait_alu 0xfffe
	s_or_b32 s7, vcc_lo, s7
	s_wait_loadcnt 0x2
	v_fma_f64 v[9:10], v[35:36], v[29:30], v[9:10]
	v_fma_f64 v[2:3], v[37:38], v[29:30], v[2:3]
	;; [unrolled: 1-line block ×3, first 2 shown]
	v_cvt_f64_f32_e32 v[29:30], v23
	v_cvt_f64_f32_e32 v[35:36], v26
	s_wait_loadcnt 0x0
	v_cvt_f64_f32_e32 v[37:38], v12
	v_fma_f64 v[9:10], v[21:22], v[31:32], v[9:10]
	v_fma_f64 v[2:3], v[24:25], v[31:32], v[2:3]
	;; [unrolled: 1-line block ×3, first 2 shown]
	s_delay_alu instid0(VALU_DEP_3) | instskip(NEXT) | instid1(VALU_DEP_3)
	v_fma_f64 v[9:10], v[29:30], v[33:34], v[9:10]
	v_fma_f64 v[2:3], v[35:36], v[33:34], v[2:3]
	s_delay_alu instid0(VALU_DEP_3)
	v_fma_f64 v[0:1], v[37:38], v[33:34], v[0:1]
	s_wait_alu 0xfffe
	s_and_not1_b32 exec_lo, exec_lo, s7
	s_cbranch_execnz .LBB152_16
; %bb.17:
	s_or_b32 exec_lo, exec_lo, s7
.LBB152_18:
	s_wait_alu 0xfffe
	s_or_b32 exec_lo, exec_lo, s6
	s_cbranch_execz .LBB152_20
	s_branch .LBB152_25
.LBB152_19:
                                        ; implicit-def: $vgpr0_vgpr1
                                        ; implicit-def: $vgpr2_vgpr3
                                        ; implicit-def: $vgpr9_vgpr10
.LBB152_20:
	v_mov_b32_e32 v0, 0
	v_dual_mov_b32 v1, 0 :: v_dual_mov_b32 v2, 0
	v_mov_b32_e32 v9, 0
	v_dual_mov_b32 v3, 0 :: v_dual_mov_b32 v10, 0
	s_and_saveexec_b32 s3, s2
	s_cbranch_execz .LBB152_24
; %bb.21:
	v_mov_b32_e32 v0, 0
	v_dual_mov_b32 v1, 0 :: v_dual_mov_b32 v2, 0
	v_mov_b32_e32 v9, 0
	v_dual_mov_b32 v3, 0 :: v_dual_mov_b32 v10, 0
	s_mov_b32 s6, 0
.LBB152_22:                             ; =>This Inner Loop Header: Depth=1
	v_ashrrev_i32_e32 v12, 31, v11
	s_delay_alu instid0(VALU_DEP_1) | instskip(SKIP_1) | instid1(VALU_DEP_2)
	v_lshlrev_b64_e32 v[15:16], 2, v[11:12]
	v_add_nc_u32_e32 v11, 16, v11
	v_add_co_u32 v15, vcc_lo, s8, v15
	s_wait_alu 0xfffd
	s_delay_alu instid0(VALU_DEP_3)
	v_add_co_ci_u32_e64 v16, null, s9, v16, vcc_lo
	global_load_b32 v12, v[15:16], off
	s_clause 0x1
	global_load_b128 v[15:18], v[13:14], off
	global_load_b128 v[21:24], v[13:14], off offset:16
	s_wait_loadcnt 0x2
	v_subrev_nc_u32_e32 v12, s12, v12
	s_wait_loadcnt 0x1
	v_cvt_f64_f32_e32 v[31:32], v15
	v_cvt_f64_f32_e32 v[15:16], v16
	;; [unrolled: 1-line block ×4, first 2 shown]
	v_lshl_add_u32 v25, v12, 1, v12
	s_wait_loadcnt 0x0
	v_cvt_f64_f32_e32 v[35:36], v21
	v_cvt_f64_f32_e32 v[21:22], v22
	s_delay_alu instid0(VALU_DEP_3) | instskip(NEXT) | instid1(VALU_DEP_1)
	v_ashrrev_i32_e32 v26, 31, v25
	v_lshlrev_b64_e32 v[25:26], 3, v[25:26]
	s_wait_kmcnt 0x0
	s_delay_alu instid0(VALU_DEP_1) | instskip(SKIP_1) | instid1(VALU_DEP_2)
	v_add_co_u32 v29, vcc_lo, s4, v25
	s_wait_alu 0xfffd
	v_add_co_ci_u32_e64 v30, null, s5, v26, vcc_lo
	v_cmp_ge_i32_e32 vcc_lo, v11, v20
	s_clause 0x1
	global_load_b128 v[25:28], v[29:30], off
	global_load_b64 v[29:30], v[29:30], off offset:16
	global_load_b32 v12, v[13:14], off offset:32
	v_add_co_u32 v13, s2, 0x240, v13
	s_wait_alu 0xf1ff
	v_add_co_ci_u32_e64 v14, null, 0, v14, s2
	s_wait_alu 0xfffe
	s_or_b32 s6, vcc_lo, s6
	s_wait_loadcnt 0x2
	v_fma_f64 v[9:10], v[31:32], v[25:26], v[9:10]
	v_fma_f64 v[2:3], v[15:16], v[25:26], v[2:3]
	;; [unrolled: 1-line block ×3, first 2 shown]
	v_cvt_f64_f32_e32 v[15:16], v23
	v_cvt_f64_f32_e32 v[23:24], v24
	s_wait_loadcnt 0x0
	v_cvt_f64_f32_e32 v[25:26], v12
	v_fma_f64 v[9:10], v[17:18], v[27:28], v[9:10]
	v_fma_f64 v[2:3], v[35:36], v[27:28], v[2:3]
	;; [unrolled: 1-line block ×3, first 2 shown]
	s_delay_alu instid0(VALU_DEP_3) | instskip(NEXT) | instid1(VALU_DEP_3)
	v_fma_f64 v[9:10], v[15:16], v[29:30], v[9:10]
	v_fma_f64 v[2:3], v[23:24], v[29:30], v[2:3]
	s_delay_alu instid0(VALU_DEP_3)
	v_fma_f64 v[0:1], v[25:26], v[29:30], v[0:1]
	s_wait_alu 0xfffe
	s_and_not1_b32 exec_lo, exec_lo, s6
	s_cbranch_execnz .LBB152_22
; %bb.23:
	s_or_b32 exec_lo, exec_lo, s6
.LBB152_24:
	s_wait_alu 0xfffe
	s_or_b32 exec_lo, exec_lo, s3
.LBB152_25:
	v_mbcnt_lo_u32_b32 v17, -1, 0
	s_delay_alu instid0(VALU_DEP_1) | instskip(NEXT) | instid1(VALU_DEP_1)
	v_xor_b32_e32 v11, 8, v17
	v_cmp_gt_i32_e32 vcc_lo, 32, v11
	s_wait_alu 0xfffd
	v_cndmask_b32_e32 v11, v17, v11, vcc_lo
	s_delay_alu instid0(VALU_DEP_1)
	v_lshlrev_b32_e32 v16, 2, v11
	ds_bpermute_b32 v11, v16, v9
	ds_bpermute_b32 v12, v16, v10
	;; [unrolled: 1-line block ×6, first 2 shown]
	s_wait_dscnt 0x4
	v_add_f64_e32 v[9:10], v[9:10], v[11:12]
	v_xor_b32_e32 v11, 4, v17
	s_wait_dscnt 0x2
	v_add_f64_e32 v[2:3], v[2:3], v[13:14]
	s_wait_dscnt 0x0
	v_add_f64_e32 v[0:1], v[0:1], v[15:16]
	v_cmp_gt_i32_e32 vcc_lo, 32, v11
	s_wait_alu 0xfffd
	v_cndmask_b32_e32 v11, v17, v11, vcc_lo
	s_delay_alu instid0(VALU_DEP_1)
	v_lshlrev_b32_e32 v16, 2, v11
	ds_bpermute_b32 v11, v16, v9
	ds_bpermute_b32 v12, v16, v10
	;; [unrolled: 1-line block ×6, first 2 shown]
	s_wait_dscnt 0x4
	v_add_f64_e32 v[9:10], v[9:10], v[11:12]
	s_wait_dscnt 0x2
	v_add_f64_e32 v[2:3], v[2:3], v[13:14]
	;; [unrolled: 2-line block ×3, first 2 shown]
	v_xor_b32_e32 v0, 2, v17
	s_delay_alu instid0(VALU_DEP_1) | instskip(SKIP_2) | instid1(VALU_DEP_1)
	v_cmp_gt_i32_e32 vcc_lo, 32, v0
	s_wait_alu 0xfffd
	v_cndmask_b32_e32 v0, v17, v0, vcc_lo
	v_lshlrev_b32_e32 v16, 2, v0
	ds_bpermute_b32 v0, v16, v9
	ds_bpermute_b32 v1, v16, v10
	;; [unrolled: 1-line block ×6, first 2 shown]
	s_wait_dscnt 0x4
	v_add_f64_e32 v[9:10], v[9:10], v[0:1]
	s_wait_dscnt 0x2
	v_add_f64_e32 v[0:1], v[2:3], v[13:14]
	;; [unrolled: 2-line block ×3, first 2 shown]
	v_xor_b32_e32 v11, 1, v17
	s_delay_alu instid0(VALU_DEP_1) | instskip(SKIP_3) | instid1(VALU_DEP_2)
	v_cmp_gt_i32_e32 vcc_lo, 32, v11
	s_wait_alu 0xfffd
	v_cndmask_b32_e32 v11, v17, v11, vcc_lo
	v_cmp_eq_u32_e32 vcc_lo, 15, v19
	v_lshlrev_b32_e32 v12, 2, v11
	ds_bpermute_b32 v15, v12, v9
	ds_bpermute_b32 v16, v12, v10
	;; [unrolled: 1-line block ×6, first 2 shown]
	s_and_b32 exec_lo, exec_lo, vcc_lo
	s_cbranch_execz .LBB152_10
; %bb.26:
	s_wait_dscnt 0x4
	v_add_f64_e32 v[9:10], v[9:10], v[15:16]
	s_wait_dscnt 0x2
	v_add_f64_e32 v[13:14], v[0:1], v[13:14]
	;; [unrolled: 2-line block ×3, first 2 shown]
	s_load_b64 s[0:1], s[0:1], 0x50
	v_lshl_add_u32 v8, v8, 1, v8
	s_mov_b32 s2, exec_lo
	s_delay_alu instid0(VALU_DEP_4) | instskip(NEXT) | instid1(VALU_DEP_4)
	v_mul_f64_e32 v[0:1], v[6:7], v[9:10]
	v_mul_f64_e32 v[2:3], v[6:7], v[13:14]
	s_delay_alu instid0(VALU_DEP_4)
	v_mul_f64_e32 v[6:7], v[6:7], v[11:12]
	v_ashrrev_i32_e32 v9, 31, v8
	v_cmpx_eq_f64_e32 0, v[4:5]
	s_wait_alu 0xfffe
	s_xor_b32 s2, exec_lo, s2
	s_cbranch_execz .LBB152_28
; %bb.27:
	v_lshlrev_b64_e32 v[4:5], 3, v[8:9]
                                        ; implicit-def: $vgpr8
	s_wait_kmcnt 0x0
	s_delay_alu instid0(VALU_DEP_1) | instskip(SKIP_1) | instid1(VALU_DEP_2)
	v_add_co_u32 v4, vcc_lo, s0, v4
	s_wait_alu 0xfffd
	v_add_co_ci_u32_e64 v5, null, s1, v5, vcc_lo
	s_clause 0x1
	global_store_b128 v[4:5], v[0:3], off
	global_store_b64 v[4:5], v[6:7], off offset:16
                                        ; implicit-def: $vgpr4_vgpr5
                                        ; implicit-def: $vgpr0_vgpr1
                                        ; implicit-def: $vgpr6_vgpr7
.LBB152_28:
	s_wait_alu 0xfffe
	s_and_not1_saveexec_b32 s2, s2
	s_cbranch_execz .LBB152_10
; %bb.29:
	v_lshlrev_b64_e32 v[8:9], 3, v[8:9]
	s_wait_kmcnt 0x0
	s_delay_alu instid0(VALU_DEP_1) | instskip(SKIP_1) | instid1(VALU_DEP_2)
	v_add_co_u32 v12, vcc_lo, s0, v8
	s_wait_alu 0xfffd
	v_add_co_ci_u32_e64 v13, null, s1, v9, vcc_lo
	s_clause 0x1
	global_load_b128 v[8:11], v[12:13], off
	global_load_b64 v[14:15], v[12:13], off offset:16
	s_wait_loadcnt 0x1
	v_fma_f64 v[0:1], v[4:5], v[8:9], v[0:1]
	v_fma_f64 v[2:3], v[4:5], v[10:11], v[2:3]
	s_wait_loadcnt 0x0
	v_fma_f64 v[4:5], v[4:5], v[14:15], v[6:7]
	s_clause 0x1
	global_store_b128 v[12:13], v[0:3], off
	global_store_b64 v[12:13], v[4:5], off offset:16
	s_endpgm
	.section	.rodata,"a",@progbits
	.p2align	6, 0x0
	.amdhsa_kernel _ZN9rocsparseL18bsrxmvn_3x3_kernelILj256ELj16EdiifddEEvT3_20rocsparse_direction_NS_24const_host_device_scalarIT1_EES1_PKS1_PKT2_SA_S7_PKT4_PKT5_S5_PT6_21rocsparse_index_base_b
		.amdhsa_group_segment_fixed_size 0
		.amdhsa_private_segment_fixed_size 0
		.amdhsa_kernarg_size 96
		.amdhsa_user_sgpr_count 2
		.amdhsa_user_sgpr_dispatch_ptr 0
		.amdhsa_user_sgpr_queue_ptr 0
		.amdhsa_user_sgpr_kernarg_segment_ptr 1
		.amdhsa_user_sgpr_dispatch_id 0
		.amdhsa_user_sgpr_private_segment_size 0
		.amdhsa_wavefront_size32 1
		.amdhsa_uses_dynamic_stack 0
		.amdhsa_enable_private_segment 0
		.amdhsa_system_sgpr_workgroup_id_x 1
		.amdhsa_system_sgpr_workgroup_id_y 0
		.amdhsa_system_sgpr_workgroup_id_z 0
		.amdhsa_system_sgpr_workgroup_info 0
		.amdhsa_system_vgpr_workitem_id 0
		.amdhsa_next_free_vgpr 41
		.amdhsa_next_free_sgpr 14
		.amdhsa_reserve_vcc 1
		.amdhsa_float_round_mode_32 0
		.amdhsa_float_round_mode_16_64 0
		.amdhsa_float_denorm_mode_32 3
		.amdhsa_float_denorm_mode_16_64 3
		.amdhsa_fp16_overflow 0
		.amdhsa_workgroup_processor_mode 1
		.amdhsa_memory_ordered 1
		.amdhsa_forward_progress 1
		.amdhsa_inst_pref_size 17
		.amdhsa_round_robin_scheduling 0
		.amdhsa_exception_fp_ieee_invalid_op 0
		.amdhsa_exception_fp_denorm_src 0
		.amdhsa_exception_fp_ieee_div_zero 0
		.amdhsa_exception_fp_ieee_overflow 0
		.amdhsa_exception_fp_ieee_underflow 0
		.amdhsa_exception_fp_ieee_inexact 0
		.amdhsa_exception_int_div_zero 0
	.end_amdhsa_kernel
	.section	.text._ZN9rocsparseL18bsrxmvn_3x3_kernelILj256ELj16EdiifddEEvT3_20rocsparse_direction_NS_24const_host_device_scalarIT1_EES1_PKS1_PKT2_SA_S7_PKT4_PKT5_S5_PT6_21rocsparse_index_base_b,"axG",@progbits,_ZN9rocsparseL18bsrxmvn_3x3_kernelILj256ELj16EdiifddEEvT3_20rocsparse_direction_NS_24const_host_device_scalarIT1_EES1_PKS1_PKT2_SA_S7_PKT4_PKT5_S5_PT6_21rocsparse_index_base_b,comdat
.Lfunc_end152:
	.size	_ZN9rocsparseL18bsrxmvn_3x3_kernelILj256ELj16EdiifddEEvT3_20rocsparse_direction_NS_24const_host_device_scalarIT1_EES1_PKS1_PKT2_SA_S7_PKT4_PKT5_S5_PT6_21rocsparse_index_base_b, .Lfunc_end152-_ZN9rocsparseL18bsrxmvn_3x3_kernelILj256ELj16EdiifddEEvT3_20rocsparse_direction_NS_24const_host_device_scalarIT1_EES1_PKS1_PKT2_SA_S7_PKT4_PKT5_S5_PT6_21rocsparse_index_base_b
                                        ; -- End function
	.set _ZN9rocsparseL18bsrxmvn_3x3_kernelILj256ELj16EdiifddEEvT3_20rocsparse_direction_NS_24const_host_device_scalarIT1_EES1_PKS1_PKT2_SA_S7_PKT4_PKT5_S5_PT6_21rocsparse_index_base_b.num_vgpr, 41
	.set _ZN9rocsparseL18bsrxmvn_3x3_kernelILj256ELj16EdiifddEEvT3_20rocsparse_direction_NS_24const_host_device_scalarIT1_EES1_PKS1_PKT2_SA_S7_PKT4_PKT5_S5_PT6_21rocsparse_index_base_b.num_agpr, 0
	.set _ZN9rocsparseL18bsrxmvn_3x3_kernelILj256ELj16EdiifddEEvT3_20rocsparse_direction_NS_24const_host_device_scalarIT1_EES1_PKS1_PKT2_SA_S7_PKT4_PKT5_S5_PT6_21rocsparse_index_base_b.numbered_sgpr, 14
	.set _ZN9rocsparseL18bsrxmvn_3x3_kernelILj256ELj16EdiifddEEvT3_20rocsparse_direction_NS_24const_host_device_scalarIT1_EES1_PKS1_PKT2_SA_S7_PKT4_PKT5_S5_PT6_21rocsparse_index_base_b.num_named_barrier, 0
	.set _ZN9rocsparseL18bsrxmvn_3x3_kernelILj256ELj16EdiifddEEvT3_20rocsparse_direction_NS_24const_host_device_scalarIT1_EES1_PKS1_PKT2_SA_S7_PKT4_PKT5_S5_PT6_21rocsparse_index_base_b.private_seg_size, 0
	.set _ZN9rocsparseL18bsrxmvn_3x3_kernelILj256ELj16EdiifddEEvT3_20rocsparse_direction_NS_24const_host_device_scalarIT1_EES1_PKS1_PKT2_SA_S7_PKT4_PKT5_S5_PT6_21rocsparse_index_base_b.uses_vcc, 1
	.set _ZN9rocsparseL18bsrxmvn_3x3_kernelILj256ELj16EdiifddEEvT3_20rocsparse_direction_NS_24const_host_device_scalarIT1_EES1_PKS1_PKT2_SA_S7_PKT4_PKT5_S5_PT6_21rocsparse_index_base_b.uses_flat_scratch, 0
	.set _ZN9rocsparseL18bsrxmvn_3x3_kernelILj256ELj16EdiifddEEvT3_20rocsparse_direction_NS_24const_host_device_scalarIT1_EES1_PKS1_PKT2_SA_S7_PKT4_PKT5_S5_PT6_21rocsparse_index_base_b.has_dyn_sized_stack, 0
	.set _ZN9rocsparseL18bsrxmvn_3x3_kernelILj256ELj16EdiifddEEvT3_20rocsparse_direction_NS_24const_host_device_scalarIT1_EES1_PKS1_PKT2_SA_S7_PKT4_PKT5_S5_PT6_21rocsparse_index_base_b.has_recursion, 0
	.set _ZN9rocsparseL18bsrxmvn_3x3_kernelILj256ELj16EdiifddEEvT3_20rocsparse_direction_NS_24const_host_device_scalarIT1_EES1_PKS1_PKT2_SA_S7_PKT4_PKT5_S5_PT6_21rocsparse_index_base_b.has_indirect_call, 0
	.section	.AMDGPU.csdata,"",@progbits
; Kernel info:
; codeLenInByte = 2104
; TotalNumSgprs: 16
; NumVgprs: 41
; ScratchSize: 0
; MemoryBound: 0
; FloatMode: 240
; IeeeMode: 1
; LDSByteSize: 0 bytes/workgroup (compile time only)
; SGPRBlocks: 0
; VGPRBlocks: 5
; NumSGPRsForWavesPerEU: 16
; NumVGPRsForWavesPerEU: 41
; Occupancy: 16
; WaveLimiterHint : 1
; COMPUTE_PGM_RSRC2:SCRATCH_EN: 0
; COMPUTE_PGM_RSRC2:USER_SGPR: 2
; COMPUTE_PGM_RSRC2:TRAP_HANDLER: 0
; COMPUTE_PGM_RSRC2:TGID_X_EN: 1
; COMPUTE_PGM_RSRC2:TGID_Y_EN: 0
; COMPUTE_PGM_RSRC2:TGID_Z_EN: 0
; COMPUTE_PGM_RSRC2:TIDIG_COMP_CNT: 0
	.section	.text._ZN9rocsparseL18bsrxmvn_3x3_kernelILj256ELj32EdiifddEEvT3_20rocsparse_direction_NS_24const_host_device_scalarIT1_EES1_PKS1_PKT2_SA_S7_PKT4_PKT5_S5_PT6_21rocsparse_index_base_b,"axG",@progbits,_ZN9rocsparseL18bsrxmvn_3x3_kernelILj256ELj32EdiifddEEvT3_20rocsparse_direction_NS_24const_host_device_scalarIT1_EES1_PKS1_PKT2_SA_S7_PKT4_PKT5_S5_PT6_21rocsparse_index_base_b,comdat
	.globl	_ZN9rocsparseL18bsrxmvn_3x3_kernelILj256ELj32EdiifddEEvT3_20rocsparse_direction_NS_24const_host_device_scalarIT1_EES1_PKS1_PKT2_SA_S7_PKT4_PKT5_S5_PT6_21rocsparse_index_base_b ; -- Begin function _ZN9rocsparseL18bsrxmvn_3x3_kernelILj256ELj32EdiifddEEvT3_20rocsparse_direction_NS_24const_host_device_scalarIT1_EES1_PKS1_PKT2_SA_S7_PKT4_PKT5_S5_PT6_21rocsparse_index_base_b
	.p2align	8
	.type	_ZN9rocsparseL18bsrxmvn_3x3_kernelILj256ELj32EdiifddEEvT3_20rocsparse_direction_NS_24const_host_device_scalarIT1_EES1_PKS1_PKT2_SA_S7_PKT4_PKT5_S5_PT6_21rocsparse_index_base_b,@function
_ZN9rocsparseL18bsrxmvn_3x3_kernelILj256ELj32EdiifddEEvT3_20rocsparse_direction_NS_24const_host_device_scalarIT1_EES1_PKS1_PKT2_SA_S7_PKT4_PKT5_S5_PT6_21rocsparse_index_base_b: ; @_ZN9rocsparseL18bsrxmvn_3x3_kernelILj256ELj32EdiifddEEvT3_20rocsparse_direction_NS_24const_host_device_scalarIT1_EES1_PKS1_PKT2_SA_S7_PKT4_PKT5_S5_PT6_21rocsparse_index_base_b
; %bb.0:
	s_clause 0x2
	s_load_b64 s[12:13], s[0:1], 0x58
	s_load_b64 s[4:5], s[0:1], 0x8
	;; [unrolled: 1-line block ×3, first 2 shown]
	s_wait_kmcnt 0x0
	s_bitcmp1_b32 s13, 0
	v_dual_mov_b32 v7, s5 :: v_dual_mov_b32 v6, s4
	s_cselect_b32 s6, -1, 0
	s_delay_alu instid0(SALU_CYCLE_1)
	s_and_b32 vcc_lo, exec_lo, s6
	s_xor_b32 s6, s6, -1
	s_cbranch_vccnz .LBB153_2
; %bb.1:
	v_dual_mov_b32 v1, s4 :: v_dual_mov_b32 v2, s5
	flat_load_b64 v[6:7], v[1:2]
.LBB153_2:
	v_dual_mov_b32 v5, s3 :: v_dual_mov_b32 v4, s2
	s_and_not1_b32 vcc_lo, exec_lo, s6
	s_cbranch_vccnz .LBB153_4
; %bb.3:
	v_dual_mov_b32 v1, s2 :: v_dual_mov_b32 v2, s3
	flat_load_b64 v[4:5], v[1:2]
.LBB153_4:
	s_wait_loadcnt_dscnt 0x0
	v_cmp_neq_f64_e32 vcc_lo, 0, v[6:7]
	v_cmp_neq_f64_e64 s2, 1.0, v[4:5]
	s_or_b32 s2, vcc_lo, s2
	s_wait_alu 0xfffe
	s_and_saveexec_b32 s3, s2
	s_cbranch_execz .LBB153_10
; %bb.5:
	s_clause 0x1
	s_load_b64 s[4:5], s[0:1], 0x18
	s_load_b64 s[2:3], s[0:1], 0x0
	v_lshrrev_b32_e32 v1, 5, v0
	s_delay_alu instid0(VALU_DEP_1)
	v_lshl_or_b32 v8, ttmp9, 3, v1
	s_wait_kmcnt 0x0
	s_cmp_lg_u64 s[4:5], 0
	s_cbranch_scc0 .LBB153_11
; %bb.6:
	s_load_b32 s6, s[0:1], 0x10
	s_mov_b32 s7, 0
                                        ; implicit-def: $vgpr1
	s_wait_kmcnt 0x0
	v_cmp_gt_i32_e32 vcc_lo, s6, v8
	s_mov_b32 s6, 0
	s_and_saveexec_b32 s8, vcc_lo
	s_delay_alu instid0(SALU_CYCLE_1)
	s_xor_b32 s8, exec_lo, s8
	s_cbranch_execz .LBB153_8
; %bb.7:
	v_ashrrev_i32_e32 v9, 31, v8
	s_mov_b32 s6, exec_lo
	s_delay_alu instid0(VALU_DEP_1) | instskip(NEXT) | instid1(VALU_DEP_1)
	v_lshlrev_b64_e32 v[1:2], 2, v[8:9]
	v_add_co_u32 v1, vcc_lo, s4, v1
	s_delay_alu instid0(VALU_DEP_1)
	v_add_co_ci_u32_e64 v2, null, s5, v2, vcc_lo
	global_load_b32 v1, v[1:2], off
	s_wait_loadcnt 0x0
	v_subrev_nc_u32_e32 v1, s12, v1
.LBB153_8:
	s_or_b32 exec_lo, exec_lo, s8
	s_delay_alu instid0(SALU_CYCLE_1)
	s_and_b32 vcc_lo, exec_lo, s7
	s_wait_alu 0xfffe
	s_cbranch_vccz .LBB153_12
.LBB153_9:
	v_cmp_gt_i32_e32 vcc_lo, s2, v8
	s_and_not1_b32 s2, s6, exec_lo
	s_and_b32 s4, vcc_lo, exec_lo
	s_wait_alu 0xfffe
	s_or_b32 s6, s2, s4
	s_wait_alu 0xfffe
	s_and_b32 exec_lo, exec_lo, s6
	s_cbranch_execnz .LBB153_13
.LBB153_10:
	s_endpgm
.LBB153_11:
	s_mov_b32 s6, 0
                                        ; implicit-def: $vgpr1
	s_cbranch_execnz .LBB153_9
.LBB153_12:
	v_mov_b32_e32 v8, v1
	s_and_b32 exec_lo, exec_lo, s6
	s_cbranch_execz .LBB153_10
.LBB153_13:
	s_load_b256 s[4:11], s[0:1], 0x20
	s_delay_alu instid0(VALU_DEP_1) | instskip(SKIP_1) | instid1(VALU_DEP_2)
	v_ashrrev_i32_e32 v9, 31, v8
	v_and_b32_e32 v19, 31, v0
	v_lshlrev_b64_e32 v[1:2], 2, v[8:9]
	s_wait_kmcnt 0x0
	s_delay_alu instid0(VALU_DEP_1) | instskip(SKIP_1) | instid1(VALU_DEP_2)
	v_add_co_u32 v9, vcc_lo, s4, v1
	s_wait_alu 0xfffd
	v_add_co_ci_u32_e64 v10, null, s5, v2, vcc_lo
	v_add_co_u32 v1, vcc_lo, s6, v1
	s_wait_alu 0xfffd
	v_add_co_ci_u32_e64 v2, null, s7, v2, vcc_lo
	;; [unrolled: 3-line block ×3, first 2 shown]
	s_cmp_eq_u64 s[6:7], 0
	global_load_b32 v9, v[9:10], off
	s_cselect_b32 vcc_lo, -1, 0
	s_load_b64 s[4:5], s[0:1], 0x40
	v_cndmask_b32_e32 v2, v2, v11, vcc_lo
	v_cndmask_b32_e32 v1, v1, v3, vcc_lo
	s_cmp_eq_u32 s3, 1
	global_load_b32 v1, v[1:2], off
	s_wait_loadcnt 0x1
	v_subrev_nc_u32_e32 v0, s12, v9
	s_delay_alu instid0(VALU_DEP_1) | instskip(SKIP_2) | instid1(VALU_DEP_2)
	v_add_nc_u32_e32 v11, v0, v19
	s_wait_loadcnt 0x0
	v_subrev_nc_u32_e32 v20, s12, v1
	v_mad_co_i64_i32 v[13:14], null, v11, 36, s[10:11]
	s_delay_alu instid0(VALU_DEP_2)
	v_cmp_lt_i32_e64 s2, v11, v20
	s_cbranch_scc1 .LBB153_19
; %bb.14:
	v_mov_b32_e32 v0, 0
	v_dual_mov_b32 v1, 0 :: v_dual_mov_b32 v2, 0
	v_mov_b32_e32 v9, 0
	v_dual_mov_b32 v3, 0 :: v_dual_mov_b32 v10, 0
	s_and_saveexec_b32 s6, s2
	s_cbranch_execz .LBB153_18
; %bb.15:
	v_mov_b32_e32 v0, 0
	v_dual_mov_b32 v1, 0 :: v_dual_mov_b32 v16, v14
	v_dual_mov_b32 v2, 0 :: v_dual_mov_b32 v9, 0
	v_mov_b32_e32 v15, v13
	v_dual_mov_b32 v3, 0 :: v_dual_mov_b32 v10, 0
	v_mov_b32_e32 v17, v11
	s_mov_b32 s7, 0
.LBB153_16:                             ; =>This Inner Loop Header: Depth=1
	s_delay_alu instid0(VALU_DEP_1) | instskip(NEXT) | instid1(VALU_DEP_1)
	v_ashrrev_i32_e32 v18, 31, v17
	v_lshlrev_b64_e32 v[21:22], 2, v[17:18]
	v_add_nc_u32_e32 v17, 32, v17
	s_delay_alu instid0(VALU_DEP_2) | instskip(SKIP_1) | instid1(VALU_DEP_3)
	v_add_co_u32 v21, vcc_lo, s8, v21
	s_wait_alu 0xfffd
	v_add_co_ci_u32_e64 v22, null, s9, v22, vcc_lo
	global_load_b32 v12, v[21:22], off
	s_clause 0x1
	global_load_b128 v[21:24], v[15:16], off
	global_load_b128 v[25:28], v[15:16], off offset:16
	s_wait_loadcnt 0x2
	v_subrev_nc_u32_e32 v12, s12, v12
	s_wait_loadcnt 0x1
	v_cvt_f64_f32_e32 v[35:36], v21
	v_cvt_f64_f32_e32 v[37:38], v24
	s_wait_loadcnt 0x0
	v_cvt_f64_f32_e32 v[39:40], v27
	v_cvt_f64_f32_e32 v[21:22], v22
	v_lshl_add_u32 v29, v12, 1, v12
	v_cvt_f64_f32_e32 v[24:25], v25
	v_cvt_f64_f32_e32 v[27:28], v28
	s_delay_alu instid0(VALU_DEP_3) | instskip(NEXT) | instid1(VALU_DEP_1)
	v_ashrrev_i32_e32 v30, 31, v29
	v_lshlrev_b64_e32 v[29:30], 3, v[29:30]
	s_wait_kmcnt 0x0
	s_delay_alu instid0(VALU_DEP_1) | instskip(SKIP_1) | instid1(VALU_DEP_2)
	v_add_co_u32 v33, vcc_lo, s4, v29
	s_wait_alu 0xfffd
	v_add_co_ci_u32_e64 v34, null, s5, v30, vcc_lo
	v_cmp_ge_i32_e32 vcc_lo, v17, v20
	s_clause 0x1
	global_load_b128 v[29:32], v[33:34], off
	global_load_b64 v[33:34], v[33:34], off offset:16
	global_load_b32 v12, v[15:16], off offset:32
	v_add_co_u32 v15, s3, 0x480, v15
	s_wait_alu 0xf1ff
	v_add_co_ci_u32_e64 v16, null, 0, v16, s3
	s_wait_alu 0xfffe
	s_or_b32 s7, vcc_lo, s7
	s_wait_loadcnt 0x2
	v_fma_f64 v[9:10], v[35:36], v[29:30], v[9:10]
	v_fma_f64 v[2:3], v[37:38], v[29:30], v[2:3]
	;; [unrolled: 1-line block ×3, first 2 shown]
	v_cvt_f64_f32_e32 v[29:30], v23
	v_cvt_f64_f32_e32 v[35:36], v26
	s_wait_loadcnt 0x0
	v_cvt_f64_f32_e32 v[37:38], v12
	v_fma_f64 v[9:10], v[21:22], v[31:32], v[9:10]
	v_fma_f64 v[2:3], v[24:25], v[31:32], v[2:3]
	;; [unrolled: 1-line block ×3, first 2 shown]
	s_delay_alu instid0(VALU_DEP_3) | instskip(NEXT) | instid1(VALU_DEP_3)
	v_fma_f64 v[9:10], v[29:30], v[33:34], v[9:10]
	v_fma_f64 v[2:3], v[35:36], v[33:34], v[2:3]
	s_delay_alu instid0(VALU_DEP_3)
	v_fma_f64 v[0:1], v[37:38], v[33:34], v[0:1]
	s_wait_alu 0xfffe
	s_and_not1_b32 exec_lo, exec_lo, s7
	s_cbranch_execnz .LBB153_16
; %bb.17:
	s_or_b32 exec_lo, exec_lo, s7
.LBB153_18:
	s_wait_alu 0xfffe
	s_or_b32 exec_lo, exec_lo, s6
	s_cbranch_execz .LBB153_20
	s_branch .LBB153_25
.LBB153_19:
                                        ; implicit-def: $vgpr0_vgpr1
                                        ; implicit-def: $vgpr2_vgpr3
                                        ; implicit-def: $vgpr9_vgpr10
.LBB153_20:
	v_mov_b32_e32 v0, 0
	v_dual_mov_b32 v1, 0 :: v_dual_mov_b32 v2, 0
	v_mov_b32_e32 v9, 0
	v_dual_mov_b32 v3, 0 :: v_dual_mov_b32 v10, 0
	s_and_saveexec_b32 s3, s2
	s_cbranch_execz .LBB153_24
; %bb.21:
	v_mov_b32_e32 v0, 0
	v_dual_mov_b32 v1, 0 :: v_dual_mov_b32 v2, 0
	v_mov_b32_e32 v9, 0
	v_dual_mov_b32 v3, 0 :: v_dual_mov_b32 v10, 0
	s_mov_b32 s6, 0
.LBB153_22:                             ; =>This Inner Loop Header: Depth=1
	v_ashrrev_i32_e32 v12, 31, v11
	s_delay_alu instid0(VALU_DEP_1) | instskip(SKIP_1) | instid1(VALU_DEP_2)
	v_lshlrev_b64_e32 v[15:16], 2, v[11:12]
	v_add_nc_u32_e32 v11, 32, v11
	v_add_co_u32 v15, vcc_lo, s8, v15
	s_wait_alu 0xfffd
	s_delay_alu instid0(VALU_DEP_3)
	v_add_co_ci_u32_e64 v16, null, s9, v16, vcc_lo
	global_load_b32 v12, v[15:16], off
	s_clause 0x1
	global_load_b128 v[15:18], v[13:14], off
	global_load_b128 v[21:24], v[13:14], off offset:16
	s_wait_loadcnt 0x2
	v_subrev_nc_u32_e32 v12, s12, v12
	s_wait_loadcnt 0x1
	v_cvt_f64_f32_e32 v[31:32], v15
	v_cvt_f64_f32_e32 v[15:16], v16
	;; [unrolled: 1-line block ×4, first 2 shown]
	v_lshl_add_u32 v25, v12, 1, v12
	s_wait_loadcnt 0x0
	v_cvt_f64_f32_e32 v[35:36], v21
	v_cvt_f64_f32_e32 v[21:22], v22
	s_delay_alu instid0(VALU_DEP_3) | instskip(NEXT) | instid1(VALU_DEP_1)
	v_ashrrev_i32_e32 v26, 31, v25
	v_lshlrev_b64_e32 v[25:26], 3, v[25:26]
	s_wait_kmcnt 0x0
	s_delay_alu instid0(VALU_DEP_1) | instskip(SKIP_1) | instid1(VALU_DEP_2)
	v_add_co_u32 v29, vcc_lo, s4, v25
	s_wait_alu 0xfffd
	v_add_co_ci_u32_e64 v30, null, s5, v26, vcc_lo
	v_cmp_ge_i32_e32 vcc_lo, v11, v20
	s_clause 0x1
	global_load_b128 v[25:28], v[29:30], off
	global_load_b64 v[29:30], v[29:30], off offset:16
	global_load_b32 v12, v[13:14], off offset:32
	v_add_co_u32 v13, s2, 0x480, v13
	s_wait_alu 0xf1ff
	v_add_co_ci_u32_e64 v14, null, 0, v14, s2
	s_wait_alu 0xfffe
	s_or_b32 s6, vcc_lo, s6
	s_wait_loadcnt 0x2
	v_fma_f64 v[9:10], v[31:32], v[25:26], v[9:10]
	v_fma_f64 v[2:3], v[15:16], v[25:26], v[2:3]
	;; [unrolled: 1-line block ×3, first 2 shown]
	v_cvt_f64_f32_e32 v[15:16], v23
	v_cvt_f64_f32_e32 v[23:24], v24
	s_wait_loadcnt 0x0
	v_cvt_f64_f32_e32 v[25:26], v12
	v_fma_f64 v[9:10], v[17:18], v[27:28], v[9:10]
	v_fma_f64 v[2:3], v[35:36], v[27:28], v[2:3]
	;; [unrolled: 1-line block ×3, first 2 shown]
	s_delay_alu instid0(VALU_DEP_3) | instskip(NEXT) | instid1(VALU_DEP_3)
	v_fma_f64 v[9:10], v[15:16], v[29:30], v[9:10]
	v_fma_f64 v[2:3], v[23:24], v[29:30], v[2:3]
	s_delay_alu instid0(VALU_DEP_3)
	v_fma_f64 v[0:1], v[25:26], v[29:30], v[0:1]
	s_wait_alu 0xfffe
	s_and_not1_b32 exec_lo, exec_lo, s6
	s_cbranch_execnz .LBB153_22
; %bb.23:
	s_or_b32 exec_lo, exec_lo, s6
.LBB153_24:
	s_wait_alu 0xfffe
	s_or_b32 exec_lo, exec_lo, s3
.LBB153_25:
	v_mbcnt_lo_u32_b32 v17, -1, 0
	s_delay_alu instid0(VALU_DEP_1) | instskip(NEXT) | instid1(VALU_DEP_1)
	v_xor_b32_e32 v11, 16, v17
	v_cmp_gt_i32_e32 vcc_lo, 32, v11
	s_wait_alu 0xfffd
	v_cndmask_b32_e32 v11, v17, v11, vcc_lo
	s_delay_alu instid0(VALU_DEP_1)
	v_lshlrev_b32_e32 v16, 2, v11
	ds_bpermute_b32 v11, v16, v9
	ds_bpermute_b32 v12, v16, v10
	;; [unrolled: 1-line block ×6, first 2 shown]
	s_wait_dscnt 0x4
	v_add_f64_e32 v[9:10], v[9:10], v[11:12]
	v_xor_b32_e32 v11, 8, v17
	s_wait_dscnt 0x2
	v_add_f64_e32 v[2:3], v[2:3], v[13:14]
	s_wait_dscnt 0x0
	v_add_f64_e32 v[0:1], v[0:1], v[15:16]
	v_cmp_gt_i32_e32 vcc_lo, 32, v11
	s_wait_alu 0xfffd
	v_cndmask_b32_e32 v11, v17, v11, vcc_lo
	s_delay_alu instid0(VALU_DEP_1)
	v_lshlrev_b32_e32 v16, 2, v11
	ds_bpermute_b32 v11, v16, v9
	ds_bpermute_b32 v12, v16, v10
	;; [unrolled: 1-line block ×6, first 2 shown]
	s_wait_dscnt 0x4
	v_add_f64_e32 v[9:10], v[9:10], v[11:12]
	v_xor_b32_e32 v11, 4, v17
	s_wait_dscnt 0x2
	v_add_f64_e32 v[2:3], v[2:3], v[13:14]
	s_wait_dscnt 0x0
	v_add_f64_e32 v[0:1], v[0:1], v[15:16]
	v_cmp_gt_i32_e32 vcc_lo, 32, v11
	s_wait_alu 0xfffd
	v_cndmask_b32_e32 v11, v17, v11, vcc_lo
	s_delay_alu instid0(VALU_DEP_1)
	v_lshlrev_b32_e32 v16, 2, v11
	ds_bpermute_b32 v11, v16, v9
	ds_bpermute_b32 v12, v16, v10
	;; [unrolled: 1-line block ×6, first 2 shown]
	s_wait_dscnt 0x4
	v_add_f64_e32 v[9:10], v[9:10], v[11:12]
	s_wait_dscnt 0x2
	v_add_f64_e32 v[2:3], v[2:3], v[13:14]
	;; [unrolled: 2-line block ×3, first 2 shown]
	v_xor_b32_e32 v0, 2, v17
	s_delay_alu instid0(VALU_DEP_1) | instskip(SKIP_2) | instid1(VALU_DEP_1)
	v_cmp_gt_i32_e32 vcc_lo, 32, v0
	s_wait_alu 0xfffd
	v_cndmask_b32_e32 v0, v17, v0, vcc_lo
	v_lshlrev_b32_e32 v16, 2, v0
	ds_bpermute_b32 v0, v16, v9
	ds_bpermute_b32 v1, v16, v10
	;; [unrolled: 1-line block ×6, first 2 shown]
	s_wait_dscnt 0x4
	v_add_f64_e32 v[9:10], v[9:10], v[0:1]
	s_wait_dscnt 0x2
	v_add_f64_e32 v[0:1], v[2:3], v[13:14]
	s_wait_dscnt 0x0
	v_add_f64_e32 v[2:3], v[11:12], v[15:16]
	v_xor_b32_e32 v11, 1, v17
	s_delay_alu instid0(VALU_DEP_1) | instskip(SKIP_3) | instid1(VALU_DEP_2)
	v_cmp_gt_i32_e32 vcc_lo, 32, v11
	s_wait_alu 0xfffd
	v_cndmask_b32_e32 v11, v17, v11, vcc_lo
	v_cmp_eq_u32_e32 vcc_lo, 31, v19
	v_lshlrev_b32_e32 v12, 2, v11
	ds_bpermute_b32 v15, v12, v9
	ds_bpermute_b32 v16, v12, v10
	;; [unrolled: 1-line block ×6, first 2 shown]
	s_and_b32 exec_lo, exec_lo, vcc_lo
	s_cbranch_execz .LBB153_10
; %bb.26:
	s_wait_dscnt 0x4
	v_add_f64_e32 v[9:10], v[9:10], v[15:16]
	s_wait_dscnt 0x2
	v_add_f64_e32 v[13:14], v[0:1], v[13:14]
	;; [unrolled: 2-line block ×3, first 2 shown]
	s_load_b64 s[0:1], s[0:1], 0x50
	v_lshl_add_u32 v8, v8, 1, v8
	s_mov_b32 s2, exec_lo
	s_delay_alu instid0(VALU_DEP_4) | instskip(NEXT) | instid1(VALU_DEP_4)
	v_mul_f64_e32 v[0:1], v[6:7], v[9:10]
	v_mul_f64_e32 v[2:3], v[6:7], v[13:14]
	s_delay_alu instid0(VALU_DEP_4)
	v_mul_f64_e32 v[6:7], v[6:7], v[11:12]
	v_ashrrev_i32_e32 v9, 31, v8
	v_cmpx_eq_f64_e32 0, v[4:5]
	s_wait_alu 0xfffe
	s_xor_b32 s2, exec_lo, s2
	s_cbranch_execz .LBB153_28
; %bb.27:
	v_lshlrev_b64_e32 v[4:5], 3, v[8:9]
                                        ; implicit-def: $vgpr8
	s_wait_kmcnt 0x0
	s_delay_alu instid0(VALU_DEP_1) | instskip(SKIP_1) | instid1(VALU_DEP_2)
	v_add_co_u32 v4, vcc_lo, s0, v4
	s_wait_alu 0xfffd
	v_add_co_ci_u32_e64 v5, null, s1, v5, vcc_lo
	s_clause 0x1
	global_store_b128 v[4:5], v[0:3], off
	global_store_b64 v[4:5], v[6:7], off offset:16
                                        ; implicit-def: $vgpr4_vgpr5
                                        ; implicit-def: $vgpr0_vgpr1
                                        ; implicit-def: $vgpr6_vgpr7
.LBB153_28:
	s_wait_alu 0xfffe
	s_and_not1_saveexec_b32 s2, s2
	s_cbranch_execz .LBB153_10
; %bb.29:
	v_lshlrev_b64_e32 v[8:9], 3, v[8:9]
	s_wait_kmcnt 0x0
	s_delay_alu instid0(VALU_DEP_1) | instskip(SKIP_1) | instid1(VALU_DEP_2)
	v_add_co_u32 v12, vcc_lo, s0, v8
	s_wait_alu 0xfffd
	v_add_co_ci_u32_e64 v13, null, s1, v9, vcc_lo
	s_clause 0x1
	global_load_b128 v[8:11], v[12:13], off
	global_load_b64 v[14:15], v[12:13], off offset:16
	s_wait_loadcnt 0x1
	v_fma_f64 v[0:1], v[4:5], v[8:9], v[0:1]
	v_fma_f64 v[2:3], v[4:5], v[10:11], v[2:3]
	s_wait_loadcnt 0x0
	v_fma_f64 v[4:5], v[4:5], v[14:15], v[6:7]
	s_clause 0x1
	global_store_b128 v[12:13], v[0:3], off
	global_store_b64 v[12:13], v[4:5], off offset:16
	s_endpgm
	.section	.rodata,"a",@progbits
	.p2align	6, 0x0
	.amdhsa_kernel _ZN9rocsparseL18bsrxmvn_3x3_kernelILj256ELj32EdiifddEEvT3_20rocsparse_direction_NS_24const_host_device_scalarIT1_EES1_PKS1_PKT2_SA_S7_PKT4_PKT5_S5_PT6_21rocsparse_index_base_b
		.amdhsa_group_segment_fixed_size 0
		.amdhsa_private_segment_fixed_size 0
		.amdhsa_kernarg_size 96
		.amdhsa_user_sgpr_count 2
		.amdhsa_user_sgpr_dispatch_ptr 0
		.amdhsa_user_sgpr_queue_ptr 0
		.amdhsa_user_sgpr_kernarg_segment_ptr 1
		.amdhsa_user_sgpr_dispatch_id 0
		.amdhsa_user_sgpr_private_segment_size 0
		.amdhsa_wavefront_size32 1
		.amdhsa_uses_dynamic_stack 0
		.amdhsa_enable_private_segment 0
		.amdhsa_system_sgpr_workgroup_id_x 1
		.amdhsa_system_sgpr_workgroup_id_y 0
		.amdhsa_system_sgpr_workgroup_id_z 0
		.amdhsa_system_sgpr_workgroup_info 0
		.amdhsa_system_vgpr_workitem_id 0
		.amdhsa_next_free_vgpr 41
		.amdhsa_next_free_sgpr 14
		.amdhsa_reserve_vcc 1
		.amdhsa_float_round_mode_32 0
		.amdhsa_float_round_mode_16_64 0
		.amdhsa_float_denorm_mode_32 3
		.amdhsa_float_denorm_mode_16_64 3
		.amdhsa_fp16_overflow 0
		.amdhsa_workgroup_processor_mode 1
		.amdhsa_memory_ordered 1
		.amdhsa_forward_progress 1
		.amdhsa_inst_pref_size 18
		.amdhsa_round_robin_scheduling 0
		.amdhsa_exception_fp_ieee_invalid_op 0
		.amdhsa_exception_fp_denorm_src 0
		.amdhsa_exception_fp_ieee_div_zero 0
		.amdhsa_exception_fp_ieee_overflow 0
		.amdhsa_exception_fp_ieee_underflow 0
		.amdhsa_exception_fp_ieee_inexact 0
		.amdhsa_exception_int_div_zero 0
	.end_amdhsa_kernel
	.section	.text._ZN9rocsparseL18bsrxmvn_3x3_kernelILj256ELj32EdiifddEEvT3_20rocsparse_direction_NS_24const_host_device_scalarIT1_EES1_PKS1_PKT2_SA_S7_PKT4_PKT5_S5_PT6_21rocsparse_index_base_b,"axG",@progbits,_ZN9rocsparseL18bsrxmvn_3x3_kernelILj256ELj32EdiifddEEvT3_20rocsparse_direction_NS_24const_host_device_scalarIT1_EES1_PKS1_PKT2_SA_S7_PKT4_PKT5_S5_PT6_21rocsparse_index_base_b,comdat
.Lfunc_end153:
	.size	_ZN9rocsparseL18bsrxmvn_3x3_kernelILj256ELj32EdiifddEEvT3_20rocsparse_direction_NS_24const_host_device_scalarIT1_EES1_PKS1_PKT2_SA_S7_PKT4_PKT5_S5_PT6_21rocsparse_index_base_b, .Lfunc_end153-_ZN9rocsparseL18bsrxmvn_3x3_kernelILj256ELj32EdiifddEEvT3_20rocsparse_direction_NS_24const_host_device_scalarIT1_EES1_PKS1_PKT2_SA_S7_PKT4_PKT5_S5_PT6_21rocsparse_index_base_b
                                        ; -- End function
	.set _ZN9rocsparseL18bsrxmvn_3x3_kernelILj256ELj32EdiifddEEvT3_20rocsparse_direction_NS_24const_host_device_scalarIT1_EES1_PKS1_PKT2_SA_S7_PKT4_PKT5_S5_PT6_21rocsparse_index_base_b.num_vgpr, 41
	.set _ZN9rocsparseL18bsrxmvn_3x3_kernelILj256ELj32EdiifddEEvT3_20rocsparse_direction_NS_24const_host_device_scalarIT1_EES1_PKS1_PKT2_SA_S7_PKT4_PKT5_S5_PT6_21rocsparse_index_base_b.num_agpr, 0
	.set _ZN9rocsparseL18bsrxmvn_3x3_kernelILj256ELj32EdiifddEEvT3_20rocsparse_direction_NS_24const_host_device_scalarIT1_EES1_PKS1_PKT2_SA_S7_PKT4_PKT5_S5_PT6_21rocsparse_index_base_b.numbered_sgpr, 14
	.set _ZN9rocsparseL18bsrxmvn_3x3_kernelILj256ELj32EdiifddEEvT3_20rocsparse_direction_NS_24const_host_device_scalarIT1_EES1_PKS1_PKT2_SA_S7_PKT4_PKT5_S5_PT6_21rocsparse_index_base_b.num_named_barrier, 0
	.set _ZN9rocsparseL18bsrxmvn_3x3_kernelILj256ELj32EdiifddEEvT3_20rocsparse_direction_NS_24const_host_device_scalarIT1_EES1_PKS1_PKT2_SA_S7_PKT4_PKT5_S5_PT6_21rocsparse_index_base_b.private_seg_size, 0
	.set _ZN9rocsparseL18bsrxmvn_3x3_kernelILj256ELj32EdiifddEEvT3_20rocsparse_direction_NS_24const_host_device_scalarIT1_EES1_PKS1_PKT2_SA_S7_PKT4_PKT5_S5_PT6_21rocsparse_index_base_b.uses_vcc, 1
	.set _ZN9rocsparseL18bsrxmvn_3x3_kernelILj256ELj32EdiifddEEvT3_20rocsparse_direction_NS_24const_host_device_scalarIT1_EES1_PKS1_PKT2_SA_S7_PKT4_PKT5_S5_PT6_21rocsparse_index_base_b.uses_flat_scratch, 0
	.set _ZN9rocsparseL18bsrxmvn_3x3_kernelILj256ELj32EdiifddEEvT3_20rocsparse_direction_NS_24const_host_device_scalarIT1_EES1_PKS1_PKT2_SA_S7_PKT4_PKT5_S5_PT6_21rocsparse_index_base_b.has_dyn_sized_stack, 0
	.set _ZN9rocsparseL18bsrxmvn_3x3_kernelILj256ELj32EdiifddEEvT3_20rocsparse_direction_NS_24const_host_device_scalarIT1_EES1_PKS1_PKT2_SA_S7_PKT4_PKT5_S5_PT6_21rocsparse_index_base_b.has_recursion, 0
	.set _ZN9rocsparseL18bsrxmvn_3x3_kernelILj256ELj32EdiifddEEvT3_20rocsparse_direction_NS_24const_host_device_scalarIT1_EES1_PKS1_PKT2_SA_S7_PKT4_PKT5_S5_PT6_21rocsparse_index_base_b.has_indirect_call, 0
	.section	.AMDGPU.csdata,"",@progbits
; Kernel info:
; codeLenInByte = 2200
; TotalNumSgprs: 16
; NumVgprs: 41
; ScratchSize: 0
; MemoryBound: 0
; FloatMode: 240
; IeeeMode: 1
; LDSByteSize: 0 bytes/workgroup (compile time only)
; SGPRBlocks: 0
; VGPRBlocks: 5
; NumSGPRsForWavesPerEU: 16
; NumVGPRsForWavesPerEU: 41
; Occupancy: 16
; WaveLimiterHint : 1
; COMPUTE_PGM_RSRC2:SCRATCH_EN: 0
; COMPUTE_PGM_RSRC2:USER_SGPR: 2
; COMPUTE_PGM_RSRC2:TRAP_HANDLER: 0
; COMPUTE_PGM_RSRC2:TGID_X_EN: 1
; COMPUTE_PGM_RSRC2:TGID_Y_EN: 0
; COMPUTE_PGM_RSRC2:TGID_Z_EN: 0
; COMPUTE_PGM_RSRC2:TIDIG_COMP_CNT: 0
	.section	.text._ZN9rocsparseL18bsrxmvn_3x3_kernelILj256ELj64EdiifddEEvT3_20rocsparse_direction_NS_24const_host_device_scalarIT1_EES1_PKS1_PKT2_SA_S7_PKT4_PKT5_S5_PT6_21rocsparse_index_base_b,"axG",@progbits,_ZN9rocsparseL18bsrxmvn_3x3_kernelILj256ELj64EdiifddEEvT3_20rocsparse_direction_NS_24const_host_device_scalarIT1_EES1_PKS1_PKT2_SA_S7_PKT4_PKT5_S5_PT6_21rocsparse_index_base_b,comdat
	.globl	_ZN9rocsparseL18bsrxmvn_3x3_kernelILj256ELj64EdiifddEEvT3_20rocsparse_direction_NS_24const_host_device_scalarIT1_EES1_PKS1_PKT2_SA_S7_PKT4_PKT5_S5_PT6_21rocsparse_index_base_b ; -- Begin function _ZN9rocsparseL18bsrxmvn_3x3_kernelILj256ELj64EdiifddEEvT3_20rocsparse_direction_NS_24const_host_device_scalarIT1_EES1_PKS1_PKT2_SA_S7_PKT4_PKT5_S5_PT6_21rocsparse_index_base_b
	.p2align	8
	.type	_ZN9rocsparseL18bsrxmvn_3x3_kernelILj256ELj64EdiifddEEvT3_20rocsparse_direction_NS_24const_host_device_scalarIT1_EES1_PKS1_PKT2_SA_S7_PKT4_PKT5_S5_PT6_21rocsparse_index_base_b,@function
_ZN9rocsparseL18bsrxmvn_3x3_kernelILj256ELj64EdiifddEEvT3_20rocsparse_direction_NS_24const_host_device_scalarIT1_EES1_PKS1_PKT2_SA_S7_PKT4_PKT5_S5_PT6_21rocsparse_index_base_b: ; @_ZN9rocsparseL18bsrxmvn_3x3_kernelILj256ELj64EdiifddEEvT3_20rocsparse_direction_NS_24const_host_device_scalarIT1_EES1_PKS1_PKT2_SA_S7_PKT4_PKT5_S5_PT6_21rocsparse_index_base_b
; %bb.0:
	s_clause 0x2
	s_load_b64 s[12:13], s[0:1], 0x58
	s_load_b64 s[4:5], s[0:1], 0x8
	;; [unrolled: 1-line block ×3, first 2 shown]
	s_wait_kmcnt 0x0
	s_bitcmp1_b32 s13, 0
	v_dual_mov_b32 v7, s5 :: v_dual_mov_b32 v6, s4
	s_cselect_b32 s6, -1, 0
	s_delay_alu instid0(SALU_CYCLE_1)
	s_and_b32 vcc_lo, exec_lo, s6
	s_xor_b32 s6, s6, -1
	s_cbranch_vccnz .LBB154_2
; %bb.1:
	v_dual_mov_b32 v1, s4 :: v_dual_mov_b32 v2, s5
	flat_load_b64 v[6:7], v[1:2]
.LBB154_2:
	v_dual_mov_b32 v5, s3 :: v_dual_mov_b32 v4, s2
	s_and_not1_b32 vcc_lo, exec_lo, s6
	s_cbranch_vccnz .LBB154_4
; %bb.3:
	v_dual_mov_b32 v1, s2 :: v_dual_mov_b32 v2, s3
	flat_load_b64 v[4:5], v[1:2]
.LBB154_4:
	s_wait_loadcnt_dscnt 0x0
	v_cmp_neq_f64_e32 vcc_lo, 0, v[6:7]
	v_cmp_neq_f64_e64 s2, 1.0, v[4:5]
	s_or_b32 s2, vcc_lo, s2
	s_wait_alu 0xfffe
	s_and_saveexec_b32 s3, s2
	s_cbranch_execz .LBB154_10
; %bb.5:
	s_clause 0x1
	s_load_b64 s[4:5], s[0:1], 0x18
	s_load_b64 s[2:3], s[0:1], 0x0
	v_lshrrev_b32_e32 v1, 6, v0
	s_delay_alu instid0(VALU_DEP_1)
	v_lshl_or_b32 v8, ttmp9, 2, v1
	s_wait_kmcnt 0x0
	s_cmp_lg_u64 s[4:5], 0
	s_cbranch_scc0 .LBB154_11
; %bb.6:
	s_load_b32 s6, s[0:1], 0x10
	s_mov_b32 s7, 0
                                        ; implicit-def: $vgpr1
	s_wait_kmcnt 0x0
	v_cmp_gt_i32_e32 vcc_lo, s6, v8
	s_mov_b32 s6, 0
	s_and_saveexec_b32 s8, vcc_lo
	s_delay_alu instid0(SALU_CYCLE_1)
	s_xor_b32 s8, exec_lo, s8
	s_cbranch_execz .LBB154_8
; %bb.7:
	v_ashrrev_i32_e32 v9, 31, v8
	s_mov_b32 s6, exec_lo
	s_delay_alu instid0(VALU_DEP_1) | instskip(NEXT) | instid1(VALU_DEP_1)
	v_lshlrev_b64_e32 v[1:2], 2, v[8:9]
	v_add_co_u32 v1, vcc_lo, s4, v1
	s_delay_alu instid0(VALU_DEP_1)
	v_add_co_ci_u32_e64 v2, null, s5, v2, vcc_lo
	global_load_b32 v1, v[1:2], off
	s_wait_loadcnt 0x0
	v_subrev_nc_u32_e32 v1, s12, v1
.LBB154_8:
	s_or_b32 exec_lo, exec_lo, s8
	s_delay_alu instid0(SALU_CYCLE_1)
	s_and_b32 vcc_lo, exec_lo, s7
	s_wait_alu 0xfffe
	s_cbranch_vccz .LBB154_12
.LBB154_9:
	v_cmp_gt_i32_e32 vcc_lo, s2, v8
	s_and_not1_b32 s2, s6, exec_lo
	s_and_b32 s4, vcc_lo, exec_lo
	s_wait_alu 0xfffe
	s_or_b32 s6, s2, s4
	s_wait_alu 0xfffe
	s_and_b32 exec_lo, exec_lo, s6
	s_cbranch_execnz .LBB154_13
.LBB154_10:
	s_endpgm
.LBB154_11:
	s_mov_b32 s6, 0
                                        ; implicit-def: $vgpr1
	s_cbranch_execnz .LBB154_9
.LBB154_12:
	v_mov_b32_e32 v8, v1
	s_and_b32 exec_lo, exec_lo, s6
	s_cbranch_execz .LBB154_10
.LBB154_13:
	s_load_b256 s[4:11], s[0:1], 0x20
	s_delay_alu instid0(VALU_DEP_1) | instskip(SKIP_1) | instid1(VALU_DEP_2)
	v_ashrrev_i32_e32 v9, 31, v8
	v_and_b32_e32 v19, 63, v0
	v_lshlrev_b64_e32 v[1:2], 2, v[8:9]
	s_wait_kmcnt 0x0
	s_delay_alu instid0(VALU_DEP_1) | instskip(SKIP_1) | instid1(VALU_DEP_2)
	v_add_co_u32 v9, vcc_lo, s4, v1
	s_wait_alu 0xfffd
	v_add_co_ci_u32_e64 v10, null, s5, v2, vcc_lo
	v_add_co_u32 v1, vcc_lo, s6, v1
	s_wait_alu 0xfffd
	v_add_co_ci_u32_e64 v2, null, s7, v2, vcc_lo
	;; [unrolled: 3-line block ×3, first 2 shown]
	s_cmp_eq_u64 s[6:7], 0
	global_load_b32 v9, v[9:10], off
	s_cselect_b32 vcc_lo, -1, 0
	s_load_b64 s[4:5], s[0:1], 0x40
	v_cndmask_b32_e32 v2, v2, v11, vcc_lo
	v_cndmask_b32_e32 v1, v1, v3, vcc_lo
	s_cmp_eq_u32 s3, 1
	global_load_b32 v1, v[1:2], off
	s_wait_loadcnt 0x1
	v_subrev_nc_u32_e32 v0, s12, v9
	s_delay_alu instid0(VALU_DEP_1) | instskip(SKIP_2) | instid1(VALU_DEP_2)
	v_add_nc_u32_e32 v11, v0, v19
	s_wait_loadcnt 0x0
	v_subrev_nc_u32_e32 v20, s12, v1
	v_mad_co_i64_i32 v[13:14], null, v11, 36, s[10:11]
	s_delay_alu instid0(VALU_DEP_2)
	v_cmp_lt_i32_e64 s2, v11, v20
	s_cbranch_scc1 .LBB154_19
; %bb.14:
	v_mov_b32_e32 v0, 0
	v_dual_mov_b32 v1, 0 :: v_dual_mov_b32 v2, 0
	v_mov_b32_e32 v9, 0
	v_dual_mov_b32 v3, 0 :: v_dual_mov_b32 v10, 0
	s_and_saveexec_b32 s6, s2
	s_cbranch_execz .LBB154_18
; %bb.15:
	v_mov_b32_e32 v0, 0
	v_dual_mov_b32 v1, 0 :: v_dual_mov_b32 v16, v14
	v_dual_mov_b32 v2, 0 :: v_dual_mov_b32 v9, 0
	v_mov_b32_e32 v15, v13
	v_dual_mov_b32 v3, 0 :: v_dual_mov_b32 v10, 0
	v_mov_b32_e32 v17, v11
	s_mov_b32 s7, 0
.LBB154_16:                             ; =>This Inner Loop Header: Depth=1
	s_delay_alu instid0(VALU_DEP_1) | instskip(NEXT) | instid1(VALU_DEP_1)
	v_ashrrev_i32_e32 v18, 31, v17
	v_lshlrev_b64_e32 v[21:22], 2, v[17:18]
	v_add_nc_u32_e32 v17, 64, v17
	s_delay_alu instid0(VALU_DEP_2) | instskip(SKIP_1) | instid1(VALU_DEP_3)
	v_add_co_u32 v21, vcc_lo, s8, v21
	s_wait_alu 0xfffd
	v_add_co_ci_u32_e64 v22, null, s9, v22, vcc_lo
	global_load_b32 v12, v[21:22], off
	s_clause 0x1
	global_load_b128 v[21:24], v[15:16], off
	global_load_b128 v[25:28], v[15:16], off offset:16
	s_wait_loadcnt 0x2
	v_subrev_nc_u32_e32 v12, s12, v12
	s_wait_loadcnt 0x1
	v_cvt_f64_f32_e32 v[35:36], v21
	v_cvt_f64_f32_e32 v[37:38], v24
	s_wait_loadcnt 0x0
	v_cvt_f64_f32_e32 v[39:40], v27
	v_cvt_f64_f32_e32 v[21:22], v22
	v_lshl_add_u32 v29, v12, 1, v12
	v_cvt_f64_f32_e32 v[24:25], v25
	v_cvt_f64_f32_e32 v[27:28], v28
	s_delay_alu instid0(VALU_DEP_3) | instskip(NEXT) | instid1(VALU_DEP_1)
	v_ashrrev_i32_e32 v30, 31, v29
	v_lshlrev_b64_e32 v[29:30], 3, v[29:30]
	s_wait_kmcnt 0x0
	s_delay_alu instid0(VALU_DEP_1) | instskip(SKIP_1) | instid1(VALU_DEP_2)
	v_add_co_u32 v33, vcc_lo, s4, v29
	s_wait_alu 0xfffd
	v_add_co_ci_u32_e64 v34, null, s5, v30, vcc_lo
	v_cmp_ge_i32_e32 vcc_lo, v17, v20
	s_clause 0x1
	global_load_b128 v[29:32], v[33:34], off
	global_load_b64 v[33:34], v[33:34], off offset:16
	global_load_b32 v12, v[15:16], off offset:32
	v_add_co_u32 v15, s3, 0x900, v15
	s_wait_alu 0xf1ff
	v_add_co_ci_u32_e64 v16, null, 0, v16, s3
	s_wait_alu 0xfffe
	s_or_b32 s7, vcc_lo, s7
	s_wait_loadcnt 0x2
	v_fma_f64 v[9:10], v[35:36], v[29:30], v[9:10]
	v_fma_f64 v[2:3], v[37:38], v[29:30], v[2:3]
	v_fma_f64 v[0:1], v[39:40], v[29:30], v[0:1]
	v_cvt_f64_f32_e32 v[29:30], v23
	v_cvt_f64_f32_e32 v[35:36], v26
	s_wait_loadcnt 0x0
	v_cvt_f64_f32_e32 v[37:38], v12
	v_fma_f64 v[9:10], v[21:22], v[31:32], v[9:10]
	v_fma_f64 v[2:3], v[24:25], v[31:32], v[2:3]
	;; [unrolled: 1-line block ×3, first 2 shown]
	s_delay_alu instid0(VALU_DEP_3) | instskip(NEXT) | instid1(VALU_DEP_3)
	v_fma_f64 v[9:10], v[29:30], v[33:34], v[9:10]
	v_fma_f64 v[2:3], v[35:36], v[33:34], v[2:3]
	s_delay_alu instid0(VALU_DEP_3)
	v_fma_f64 v[0:1], v[37:38], v[33:34], v[0:1]
	s_wait_alu 0xfffe
	s_and_not1_b32 exec_lo, exec_lo, s7
	s_cbranch_execnz .LBB154_16
; %bb.17:
	s_or_b32 exec_lo, exec_lo, s7
.LBB154_18:
	s_wait_alu 0xfffe
	s_or_b32 exec_lo, exec_lo, s6
	s_cbranch_execz .LBB154_20
	s_branch .LBB154_25
.LBB154_19:
                                        ; implicit-def: $vgpr0_vgpr1
                                        ; implicit-def: $vgpr2_vgpr3
                                        ; implicit-def: $vgpr9_vgpr10
.LBB154_20:
	v_mov_b32_e32 v0, 0
	v_dual_mov_b32 v1, 0 :: v_dual_mov_b32 v2, 0
	v_mov_b32_e32 v9, 0
	v_dual_mov_b32 v3, 0 :: v_dual_mov_b32 v10, 0
	s_and_saveexec_b32 s3, s2
	s_cbranch_execz .LBB154_24
; %bb.21:
	v_mov_b32_e32 v0, 0
	v_dual_mov_b32 v1, 0 :: v_dual_mov_b32 v2, 0
	v_mov_b32_e32 v9, 0
	v_dual_mov_b32 v3, 0 :: v_dual_mov_b32 v10, 0
	s_mov_b32 s6, 0
.LBB154_22:                             ; =>This Inner Loop Header: Depth=1
	v_ashrrev_i32_e32 v12, 31, v11
	s_delay_alu instid0(VALU_DEP_1) | instskip(SKIP_1) | instid1(VALU_DEP_2)
	v_lshlrev_b64_e32 v[15:16], 2, v[11:12]
	v_add_nc_u32_e32 v11, 64, v11
	v_add_co_u32 v15, vcc_lo, s8, v15
	s_wait_alu 0xfffd
	s_delay_alu instid0(VALU_DEP_3)
	v_add_co_ci_u32_e64 v16, null, s9, v16, vcc_lo
	global_load_b32 v12, v[15:16], off
	s_clause 0x1
	global_load_b128 v[15:18], v[13:14], off
	global_load_b128 v[21:24], v[13:14], off offset:16
	s_wait_loadcnt 0x2
	v_subrev_nc_u32_e32 v12, s12, v12
	s_wait_loadcnt 0x1
	v_cvt_f64_f32_e32 v[31:32], v15
	v_cvt_f64_f32_e32 v[15:16], v16
	;; [unrolled: 1-line block ×4, first 2 shown]
	v_lshl_add_u32 v25, v12, 1, v12
	s_wait_loadcnt 0x0
	v_cvt_f64_f32_e32 v[35:36], v21
	v_cvt_f64_f32_e32 v[21:22], v22
	s_delay_alu instid0(VALU_DEP_3) | instskip(NEXT) | instid1(VALU_DEP_1)
	v_ashrrev_i32_e32 v26, 31, v25
	v_lshlrev_b64_e32 v[25:26], 3, v[25:26]
	s_wait_kmcnt 0x0
	s_delay_alu instid0(VALU_DEP_1) | instskip(SKIP_1) | instid1(VALU_DEP_2)
	v_add_co_u32 v29, vcc_lo, s4, v25
	s_wait_alu 0xfffd
	v_add_co_ci_u32_e64 v30, null, s5, v26, vcc_lo
	v_cmp_ge_i32_e32 vcc_lo, v11, v20
	s_clause 0x1
	global_load_b128 v[25:28], v[29:30], off
	global_load_b64 v[29:30], v[29:30], off offset:16
	global_load_b32 v12, v[13:14], off offset:32
	v_add_co_u32 v13, s2, 0x900, v13
	s_wait_alu 0xf1ff
	v_add_co_ci_u32_e64 v14, null, 0, v14, s2
	s_wait_alu 0xfffe
	s_or_b32 s6, vcc_lo, s6
	s_wait_loadcnt 0x2
	v_fma_f64 v[9:10], v[31:32], v[25:26], v[9:10]
	v_fma_f64 v[2:3], v[15:16], v[25:26], v[2:3]
	;; [unrolled: 1-line block ×3, first 2 shown]
	v_cvt_f64_f32_e32 v[15:16], v23
	v_cvt_f64_f32_e32 v[23:24], v24
	s_wait_loadcnt 0x0
	v_cvt_f64_f32_e32 v[25:26], v12
	v_fma_f64 v[9:10], v[17:18], v[27:28], v[9:10]
	v_fma_f64 v[2:3], v[35:36], v[27:28], v[2:3]
	;; [unrolled: 1-line block ×3, first 2 shown]
	s_delay_alu instid0(VALU_DEP_3) | instskip(NEXT) | instid1(VALU_DEP_3)
	v_fma_f64 v[9:10], v[15:16], v[29:30], v[9:10]
	v_fma_f64 v[2:3], v[23:24], v[29:30], v[2:3]
	s_delay_alu instid0(VALU_DEP_3)
	v_fma_f64 v[0:1], v[25:26], v[29:30], v[0:1]
	s_wait_alu 0xfffe
	s_and_not1_b32 exec_lo, exec_lo, s6
	s_cbranch_execnz .LBB154_22
; %bb.23:
	s_or_b32 exec_lo, exec_lo, s6
.LBB154_24:
	s_wait_alu 0xfffe
	s_or_b32 exec_lo, exec_lo, s3
.LBB154_25:
	v_mbcnt_lo_u32_b32 v17, -1, 0
	s_delay_alu instid0(VALU_DEP_1) | instskip(NEXT) | instid1(VALU_DEP_1)
	v_or_b32_e32 v11, 32, v17
	v_cmp_gt_i32_e32 vcc_lo, 32, v11
	s_wait_alu 0xfffd
	v_cndmask_b32_e32 v11, v17, v11, vcc_lo
	s_delay_alu instid0(VALU_DEP_1)
	v_lshlrev_b32_e32 v16, 2, v11
	ds_bpermute_b32 v11, v16, v9
	ds_bpermute_b32 v12, v16, v10
	ds_bpermute_b32 v13, v16, v2
	ds_bpermute_b32 v14, v16, v3
	ds_bpermute_b32 v15, v16, v0
	ds_bpermute_b32 v16, v16, v1
	s_wait_dscnt 0x4
	v_add_f64_e32 v[9:10], v[9:10], v[11:12]
	v_xor_b32_e32 v11, 16, v17
	s_wait_dscnt 0x2
	v_add_f64_e32 v[2:3], v[2:3], v[13:14]
	s_wait_dscnt 0x0
	v_add_f64_e32 v[0:1], v[0:1], v[15:16]
	v_cmp_gt_i32_e32 vcc_lo, 32, v11
	s_wait_alu 0xfffd
	v_cndmask_b32_e32 v11, v17, v11, vcc_lo
	s_delay_alu instid0(VALU_DEP_1)
	v_lshlrev_b32_e32 v16, 2, v11
	ds_bpermute_b32 v11, v16, v9
	ds_bpermute_b32 v12, v16, v10
	ds_bpermute_b32 v13, v16, v2
	ds_bpermute_b32 v14, v16, v3
	ds_bpermute_b32 v15, v16, v0
	ds_bpermute_b32 v16, v16, v1
	s_wait_dscnt 0x4
	v_add_f64_e32 v[9:10], v[9:10], v[11:12]
	v_xor_b32_e32 v11, 8, v17
	s_wait_dscnt 0x2
	v_add_f64_e32 v[2:3], v[2:3], v[13:14]
	s_wait_dscnt 0x0
	v_add_f64_e32 v[0:1], v[0:1], v[15:16]
	;; [unrolled: 18-line block ×3, first 2 shown]
	v_cmp_gt_i32_e32 vcc_lo, 32, v11
	s_wait_alu 0xfffd
	v_cndmask_b32_e32 v11, v17, v11, vcc_lo
	s_delay_alu instid0(VALU_DEP_1)
	v_lshlrev_b32_e32 v16, 2, v11
	ds_bpermute_b32 v11, v16, v9
	ds_bpermute_b32 v12, v16, v10
	;; [unrolled: 1-line block ×6, first 2 shown]
	s_wait_dscnt 0x4
	v_add_f64_e32 v[9:10], v[9:10], v[11:12]
	s_wait_dscnt 0x2
	v_add_f64_e32 v[2:3], v[2:3], v[13:14]
	;; [unrolled: 2-line block ×3, first 2 shown]
	v_xor_b32_e32 v0, 2, v17
	s_delay_alu instid0(VALU_DEP_1) | instskip(SKIP_2) | instid1(VALU_DEP_1)
	v_cmp_gt_i32_e32 vcc_lo, 32, v0
	s_wait_alu 0xfffd
	v_cndmask_b32_e32 v0, v17, v0, vcc_lo
	v_lshlrev_b32_e32 v16, 2, v0
	ds_bpermute_b32 v0, v16, v9
	ds_bpermute_b32 v1, v16, v10
	;; [unrolled: 1-line block ×6, first 2 shown]
	s_wait_dscnt 0x4
	v_add_f64_e32 v[9:10], v[9:10], v[0:1]
	s_wait_dscnt 0x2
	v_add_f64_e32 v[0:1], v[2:3], v[13:14]
	;; [unrolled: 2-line block ×3, first 2 shown]
	v_xor_b32_e32 v11, 1, v17
	s_delay_alu instid0(VALU_DEP_1) | instskip(SKIP_3) | instid1(VALU_DEP_2)
	v_cmp_gt_i32_e32 vcc_lo, 32, v11
	s_wait_alu 0xfffd
	v_cndmask_b32_e32 v11, v17, v11, vcc_lo
	v_cmp_eq_u32_e32 vcc_lo, 63, v19
	v_lshlrev_b32_e32 v12, 2, v11
	ds_bpermute_b32 v15, v12, v9
	ds_bpermute_b32 v16, v12, v10
	ds_bpermute_b32 v13, v12, v0
	ds_bpermute_b32 v14, v12, v1
	ds_bpermute_b32 v11, v12, v2
	ds_bpermute_b32 v12, v12, v3
	s_and_b32 exec_lo, exec_lo, vcc_lo
	s_cbranch_execz .LBB154_10
; %bb.26:
	s_wait_dscnt 0x4
	v_add_f64_e32 v[9:10], v[9:10], v[15:16]
	s_wait_dscnt 0x2
	v_add_f64_e32 v[13:14], v[0:1], v[13:14]
	;; [unrolled: 2-line block ×3, first 2 shown]
	s_load_b64 s[0:1], s[0:1], 0x50
	v_lshl_add_u32 v8, v8, 1, v8
	s_mov_b32 s2, exec_lo
	s_delay_alu instid0(VALU_DEP_4) | instskip(NEXT) | instid1(VALU_DEP_4)
	v_mul_f64_e32 v[0:1], v[6:7], v[9:10]
	v_mul_f64_e32 v[2:3], v[6:7], v[13:14]
	s_delay_alu instid0(VALU_DEP_4)
	v_mul_f64_e32 v[6:7], v[6:7], v[11:12]
	v_ashrrev_i32_e32 v9, 31, v8
	v_cmpx_eq_f64_e32 0, v[4:5]
	s_wait_alu 0xfffe
	s_xor_b32 s2, exec_lo, s2
	s_cbranch_execz .LBB154_28
; %bb.27:
	v_lshlrev_b64_e32 v[4:5], 3, v[8:9]
                                        ; implicit-def: $vgpr8
	s_wait_kmcnt 0x0
	s_delay_alu instid0(VALU_DEP_1) | instskip(SKIP_1) | instid1(VALU_DEP_2)
	v_add_co_u32 v4, vcc_lo, s0, v4
	s_wait_alu 0xfffd
	v_add_co_ci_u32_e64 v5, null, s1, v5, vcc_lo
	s_clause 0x1
	global_store_b128 v[4:5], v[0:3], off
	global_store_b64 v[4:5], v[6:7], off offset:16
                                        ; implicit-def: $vgpr4_vgpr5
                                        ; implicit-def: $vgpr0_vgpr1
                                        ; implicit-def: $vgpr6_vgpr7
.LBB154_28:
	s_wait_alu 0xfffe
	s_and_not1_saveexec_b32 s2, s2
	s_cbranch_execz .LBB154_10
; %bb.29:
	v_lshlrev_b64_e32 v[8:9], 3, v[8:9]
	s_wait_kmcnt 0x0
	s_delay_alu instid0(VALU_DEP_1) | instskip(SKIP_1) | instid1(VALU_DEP_2)
	v_add_co_u32 v12, vcc_lo, s0, v8
	s_wait_alu 0xfffd
	v_add_co_ci_u32_e64 v13, null, s1, v9, vcc_lo
	s_clause 0x1
	global_load_b128 v[8:11], v[12:13], off
	global_load_b64 v[14:15], v[12:13], off offset:16
	s_wait_loadcnt 0x1
	v_fma_f64 v[0:1], v[4:5], v[8:9], v[0:1]
	v_fma_f64 v[2:3], v[4:5], v[10:11], v[2:3]
	s_wait_loadcnt 0x0
	v_fma_f64 v[4:5], v[4:5], v[14:15], v[6:7]
	s_clause 0x1
	global_store_b128 v[12:13], v[0:3], off
	global_store_b64 v[12:13], v[4:5], off offset:16
	s_endpgm
	.section	.rodata,"a",@progbits
	.p2align	6, 0x0
	.amdhsa_kernel _ZN9rocsparseL18bsrxmvn_3x3_kernelILj256ELj64EdiifddEEvT3_20rocsparse_direction_NS_24const_host_device_scalarIT1_EES1_PKS1_PKT2_SA_S7_PKT4_PKT5_S5_PT6_21rocsparse_index_base_b
		.amdhsa_group_segment_fixed_size 0
		.amdhsa_private_segment_fixed_size 0
		.amdhsa_kernarg_size 96
		.amdhsa_user_sgpr_count 2
		.amdhsa_user_sgpr_dispatch_ptr 0
		.amdhsa_user_sgpr_queue_ptr 0
		.amdhsa_user_sgpr_kernarg_segment_ptr 1
		.amdhsa_user_sgpr_dispatch_id 0
		.amdhsa_user_sgpr_private_segment_size 0
		.amdhsa_wavefront_size32 1
		.amdhsa_uses_dynamic_stack 0
		.amdhsa_enable_private_segment 0
		.amdhsa_system_sgpr_workgroup_id_x 1
		.amdhsa_system_sgpr_workgroup_id_y 0
		.amdhsa_system_sgpr_workgroup_id_z 0
		.amdhsa_system_sgpr_workgroup_info 0
		.amdhsa_system_vgpr_workitem_id 0
		.amdhsa_next_free_vgpr 41
		.amdhsa_next_free_sgpr 14
		.amdhsa_reserve_vcc 1
		.amdhsa_float_round_mode_32 0
		.amdhsa_float_round_mode_16_64 0
		.amdhsa_float_denorm_mode_32 3
		.amdhsa_float_denorm_mode_16_64 3
		.amdhsa_fp16_overflow 0
		.amdhsa_workgroup_processor_mode 1
		.amdhsa_memory_ordered 1
		.amdhsa_forward_progress 1
		.amdhsa_inst_pref_size 18
		.amdhsa_round_robin_scheduling 0
		.amdhsa_exception_fp_ieee_invalid_op 0
		.amdhsa_exception_fp_denorm_src 0
		.amdhsa_exception_fp_ieee_div_zero 0
		.amdhsa_exception_fp_ieee_overflow 0
		.amdhsa_exception_fp_ieee_underflow 0
		.amdhsa_exception_fp_ieee_inexact 0
		.amdhsa_exception_int_div_zero 0
	.end_amdhsa_kernel
	.section	.text._ZN9rocsparseL18bsrxmvn_3x3_kernelILj256ELj64EdiifddEEvT3_20rocsparse_direction_NS_24const_host_device_scalarIT1_EES1_PKS1_PKT2_SA_S7_PKT4_PKT5_S5_PT6_21rocsparse_index_base_b,"axG",@progbits,_ZN9rocsparseL18bsrxmvn_3x3_kernelILj256ELj64EdiifddEEvT3_20rocsparse_direction_NS_24const_host_device_scalarIT1_EES1_PKS1_PKT2_SA_S7_PKT4_PKT5_S5_PT6_21rocsparse_index_base_b,comdat
.Lfunc_end154:
	.size	_ZN9rocsparseL18bsrxmvn_3x3_kernelILj256ELj64EdiifddEEvT3_20rocsparse_direction_NS_24const_host_device_scalarIT1_EES1_PKS1_PKT2_SA_S7_PKT4_PKT5_S5_PT6_21rocsparse_index_base_b, .Lfunc_end154-_ZN9rocsparseL18bsrxmvn_3x3_kernelILj256ELj64EdiifddEEvT3_20rocsparse_direction_NS_24const_host_device_scalarIT1_EES1_PKS1_PKT2_SA_S7_PKT4_PKT5_S5_PT6_21rocsparse_index_base_b
                                        ; -- End function
	.set _ZN9rocsparseL18bsrxmvn_3x3_kernelILj256ELj64EdiifddEEvT3_20rocsparse_direction_NS_24const_host_device_scalarIT1_EES1_PKS1_PKT2_SA_S7_PKT4_PKT5_S5_PT6_21rocsparse_index_base_b.num_vgpr, 41
	.set _ZN9rocsparseL18bsrxmvn_3x3_kernelILj256ELj64EdiifddEEvT3_20rocsparse_direction_NS_24const_host_device_scalarIT1_EES1_PKS1_PKT2_SA_S7_PKT4_PKT5_S5_PT6_21rocsparse_index_base_b.num_agpr, 0
	.set _ZN9rocsparseL18bsrxmvn_3x3_kernelILj256ELj64EdiifddEEvT3_20rocsparse_direction_NS_24const_host_device_scalarIT1_EES1_PKS1_PKT2_SA_S7_PKT4_PKT5_S5_PT6_21rocsparse_index_base_b.numbered_sgpr, 14
	.set _ZN9rocsparseL18bsrxmvn_3x3_kernelILj256ELj64EdiifddEEvT3_20rocsparse_direction_NS_24const_host_device_scalarIT1_EES1_PKS1_PKT2_SA_S7_PKT4_PKT5_S5_PT6_21rocsparse_index_base_b.num_named_barrier, 0
	.set _ZN9rocsparseL18bsrxmvn_3x3_kernelILj256ELj64EdiifddEEvT3_20rocsparse_direction_NS_24const_host_device_scalarIT1_EES1_PKS1_PKT2_SA_S7_PKT4_PKT5_S5_PT6_21rocsparse_index_base_b.private_seg_size, 0
	.set _ZN9rocsparseL18bsrxmvn_3x3_kernelILj256ELj64EdiifddEEvT3_20rocsparse_direction_NS_24const_host_device_scalarIT1_EES1_PKS1_PKT2_SA_S7_PKT4_PKT5_S5_PT6_21rocsparse_index_base_b.uses_vcc, 1
	.set _ZN9rocsparseL18bsrxmvn_3x3_kernelILj256ELj64EdiifddEEvT3_20rocsparse_direction_NS_24const_host_device_scalarIT1_EES1_PKS1_PKT2_SA_S7_PKT4_PKT5_S5_PT6_21rocsparse_index_base_b.uses_flat_scratch, 0
	.set _ZN9rocsparseL18bsrxmvn_3x3_kernelILj256ELj64EdiifddEEvT3_20rocsparse_direction_NS_24const_host_device_scalarIT1_EES1_PKS1_PKT2_SA_S7_PKT4_PKT5_S5_PT6_21rocsparse_index_base_b.has_dyn_sized_stack, 0
	.set _ZN9rocsparseL18bsrxmvn_3x3_kernelILj256ELj64EdiifddEEvT3_20rocsparse_direction_NS_24const_host_device_scalarIT1_EES1_PKS1_PKT2_SA_S7_PKT4_PKT5_S5_PT6_21rocsparse_index_base_b.has_recursion, 0
	.set _ZN9rocsparseL18bsrxmvn_3x3_kernelILj256ELj64EdiifddEEvT3_20rocsparse_direction_NS_24const_host_device_scalarIT1_EES1_PKS1_PKT2_SA_S7_PKT4_PKT5_S5_PT6_21rocsparse_index_base_b.has_indirect_call, 0
	.section	.AMDGPU.csdata,"",@progbits
; Kernel info:
; codeLenInByte = 2296
; TotalNumSgprs: 16
; NumVgprs: 41
; ScratchSize: 0
; MemoryBound: 0
; FloatMode: 240
; IeeeMode: 1
; LDSByteSize: 0 bytes/workgroup (compile time only)
; SGPRBlocks: 0
; VGPRBlocks: 5
; NumSGPRsForWavesPerEU: 16
; NumVGPRsForWavesPerEU: 41
; Occupancy: 16
; WaveLimiterHint : 1
; COMPUTE_PGM_RSRC2:SCRATCH_EN: 0
; COMPUTE_PGM_RSRC2:USER_SGPR: 2
; COMPUTE_PGM_RSRC2:TRAP_HANDLER: 0
; COMPUTE_PGM_RSRC2:TGID_X_EN: 1
; COMPUTE_PGM_RSRC2:TGID_Y_EN: 0
; COMPUTE_PGM_RSRC2:TGID_Z_EN: 0
; COMPUTE_PGM_RSRC2:TIDIG_COMP_CNT: 0
	.section	.text._ZN9rocsparseL18bsrxmvn_3x3_kernelILj256ELj4EdlifddEEvT3_20rocsparse_direction_NS_24const_host_device_scalarIT1_EES1_PKS1_PKT2_SA_S7_PKT4_PKT5_S5_PT6_21rocsparse_index_base_b,"axG",@progbits,_ZN9rocsparseL18bsrxmvn_3x3_kernelILj256ELj4EdlifddEEvT3_20rocsparse_direction_NS_24const_host_device_scalarIT1_EES1_PKS1_PKT2_SA_S7_PKT4_PKT5_S5_PT6_21rocsparse_index_base_b,comdat
	.globl	_ZN9rocsparseL18bsrxmvn_3x3_kernelILj256ELj4EdlifddEEvT3_20rocsparse_direction_NS_24const_host_device_scalarIT1_EES1_PKS1_PKT2_SA_S7_PKT4_PKT5_S5_PT6_21rocsparse_index_base_b ; -- Begin function _ZN9rocsparseL18bsrxmvn_3x3_kernelILj256ELj4EdlifddEEvT3_20rocsparse_direction_NS_24const_host_device_scalarIT1_EES1_PKS1_PKT2_SA_S7_PKT4_PKT5_S5_PT6_21rocsparse_index_base_b
	.p2align	8
	.type	_ZN9rocsparseL18bsrxmvn_3x3_kernelILj256ELj4EdlifddEEvT3_20rocsparse_direction_NS_24const_host_device_scalarIT1_EES1_PKS1_PKT2_SA_S7_PKT4_PKT5_S5_PT6_21rocsparse_index_base_b,@function
_ZN9rocsparseL18bsrxmvn_3x3_kernelILj256ELj4EdlifddEEvT3_20rocsparse_direction_NS_24const_host_device_scalarIT1_EES1_PKS1_PKT2_SA_S7_PKT4_PKT5_S5_PT6_21rocsparse_index_base_b: ; @_ZN9rocsparseL18bsrxmvn_3x3_kernelILj256ELj4EdlifddEEvT3_20rocsparse_direction_NS_24const_host_device_scalarIT1_EES1_PKS1_PKT2_SA_S7_PKT4_PKT5_S5_PT6_21rocsparse_index_base_b
; %bb.0:
	s_clause 0x2
	s_load_b64 s[12:13], s[0:1], 0x58
	s_load_b64 s[4:5], s[0:1], 0x8
	;; [unrolled: 1-line block ×3, first 2 shown]
	s_wait_kmcnt 0x0
	s_bitcmp1_b32 s13, 0
	v_dual_mov_b32 v7, s5 :: v_dual_mov_b32 v6, s4
	s_cselect_b32 s6, -1, 0
	s_delay_alu instid0(SALU_CYCLE_1)
	s_and_b32 vcc_lo, exec_lo, s6
	s_xor_b32 s6, s6, -1
	s_cbranch_vccnz .LBB155_2
; %bb.1:
	v_dual_mov_b32 v1, s4 :: v_dual_mov_b32 v2, s5
	flat_load_b64 v[6:7], v[1:2]
.LBB155_2:
	v_dual_mov_b32 v5, s3 :: v_dual_mov_b32 v4, s2
	s_and_not1_b32 vcc_lo, exec_lo, s6
	s_cbranch_vccnz .LBB155_4
; %bb.3:
	v_dual_mov_b32 v1, s2 :: v_dual_mov_b32 v2, s3
	flat_load_b64 v[4:5], v[1:2]
.LBB155_4:
	s_wait_loadcnt_dscnt 0x0
	v_cmp_neq_f64_e32 vcc_lo, 0, v[6:7]
	v_cmp_neq_f64_e64 s2, 1.0, v[4:5]
	s_or_b32 s2, vcc_lo, s2
	s_wait_alu 0xfffe
	s_and_saveexec_b32 s3, s2
	s_cbranch_execz .LBB155_10
; %bb.5:
	s_clause 0x1
	s_load_b64 s[4:5], s[0:1], 0x18
	s_load_b64 s[2:3], s[0:1], 0x0
	v_lshrrev_b32_e32 v1, 2, v0
	s_delay_alu instid0(VALU_DEP_1)
	v_lshl_or_b32 v8, ttmp9, 6, v1
	s_wait_kmcnt 0x0
	s_cmp_lg_u64 s[4:5], 0
	s_cbranch_scc0 .LBB155_11
; %bb.6:
	s_load_b32 s6, s[0:1], 0x10
	s_mov_b32 s7, 0
                                        ; implicit-def: $vgpr1
	s_wait_kmcnt 0x0
	v_cmp_gt_i32_e32 vcc_lo, s6, v8
	s_mov_b32 s6, 0
	s_and_saveexec_b32 s8, vcc_lo
	s_delay_alu instid0(SALU_CYCLE_1)
	s_xor_b32 s8, exec_lo, s8
	s_cbranch_execz .LBB155_8
; %bb.7:
	v_ashrrev_i32_e32 v9, 31, v8
	s_mov_b32 s6, exec_lo
	s_delay_alu instid0(VALU_DEP_1) | instskip(NEXT) | instid1(VALU_DEP_1)
	v_lshlrev_b64_e32 v[1:2], 2, v[8:9]
	v_add_co_u32 v1, vcc_lo, s4, v1
	s_delay_alu instid0(VALU_DEP_1)
	v_add_co_ci_u32_e64 v2, null, s5, v2, vcc_lo
	global_load_b32 v1, v[1:2], off
	s_wait_loadcnt 0x0
	v_subrev_nc_u32_e32 v1, s12, v1
.LBB155_8:
	s_or_b32 exec_lo, exec_lo, s8
	s_delay_alu instid0(SALU_CYCLE_1)
	s_and_b32 vcc_lo, exec_lo, s7
	s_wait_alu 0xfffe
	s_cbranch_vccz .LBB155_12
.LBB155_9:
	v_cmp_gt_i32_e32 vcc_lo, s2, v8
	s_and_not1_b32 s2, s6, exec_lo
	s_and_b32 s4, vcc_lo, exec_lo
	s_wait_alu 0xfffe
	s_or_b32 s6, s2, s4
	s_wait_alu 0xfffe
	s_and_b32 exec_lo, exec_lo, s6
	s_cbranch_execnz .LBB155_13
.LBB155_10:
	s_endpgm
.LBB155_11:
	s_mov_b32 s6, 0
                                        ; implicit-def: $vgpr1
	s_cbranch_execnz .LBB155_9
.LBB155_12:
	v_mov_b32_e32 v8, v1
	s_and_b32 exec_lo, exec_lo, s6
	s_cbranch_execz .LBB155_10
.LBB155_13:
	s_load_b256 s[4:11], s[0:1], 0x20
	s_delay_alu instid0(VALU_DEP_1) | instskip(SKIP_1) | instid1(VALU_DEP_2)
	v_ashrrev_i32_e32 v9, 31, v8
	v_and_b32_e32 v23, 3, v0
	v_lshlrev_b64_e32 v[1:2], 3, v[8:9]
	s_wait_kmcnt 0x0
	s_delay_alu instid0(VALU_DEP_1) | instskip(SKIP_1) | instid1(VALU_DEP_2)
	v_add_co_u32 v9, vcc_lo, s4, v1
	s_wait_alu 0xfffd
	v_add_co_ci_u32_e64 v10, null, s5, v2, vcc_lo
	v_add_co_u32 v1, vcc_lo, s6, v1
	s_wait_alu 0xfffd
	v_add_co_ci_u32_e64 v2, null, s7, v2, vcc_lo
	global_load_b64 v[11:12], v[9:10], off
	v_add_co_u32 v3, vcc_lo, v9, 8
	s_wait_alu 0xfffd
	v_add_co_ci_u32_e64 v9, null, 0, v10, vcc_lo
	s_cmp_eq_u64 s[6:7], 0
	s_load_b64 s[4:5], s[0:1], 0x40
	s_cselect_b32 vcc_lo, -1, 0
	s_cmp_eq_u32 s3, 1
	s_wait_alu 0xfffe
	v_dual_cndmask_b32 v2, v2, v9 :: v_dual_cndmask_b32 v1, v1, v3
	global_load_b64 v[9:10], v[1:2], off
	s_wait_loadcnt 0x1
	v_sub_co_u32 v0, vcc_lo, v11, s12
	s_wait_alu 0xfffd
	v_subrev_co_ci_u32_e64 v1, null, 0, v12, vcc_lo
	s_delay_alu instid0(VALU_DEP_2) | instskip(SKIP_1) | instid1(VALU_DEP_2)
	v_add_co_u32 v0, vcc_lo, v0, v23
	s_wait_alu 0xfffd
	v_add_co_ci_u32_e64 v1, null, 0, v1, vcc_lo
	s_delay_alu instid0(VALU_DEP_2) | instskip(SKIP_4) | instid1(VALU_DEP_3)
	v_mad_co_u64_u32 v[2:3], null, v0, 36, s[10:11]
	s_wait_loadcnt 0x0
	v_sub_co_u32 v11, vcc_lo, v9, s12
	s_wait_alu 0xfffd
	v_subrev_co_ci_u32_e64 v12, null, 0, v10, vcc_lo
	v_mad_co_u64_u32 v[13:14], null, v1, 36, v[3:4]
	s_delay_alu instid0(VALU_DEP_2) | instskip(NEXT) | instid1(VALU_DEP_2)
	v_cmp_lt_i64_e64 s2, v[0:1], v[11:12]
	v_mov_b32_e32 v3, v13
	s_cbranch_scc1 .LBB155_19
; %bb.14:
	v_mov_b32_e32 v9, 0
	v_dual_mov_b32 v10, 0 :: v_dual_mov_b32 v13, 0
	v_dual_mov_b32 v15, 0 :: v_dual_mov_b32 v14, 0
	v_mov_b32_e32 v16, 0
	s_and_saveexec_b32 s6, s2
	s_cbranch_execz .LBB155_18
; %bb.15:
	v_lshlrev_b64_e32 v[13:14], 2, v[0:1]
	v_dual_mov_b32 v9, 0 :: v_dual_mov_b32 v18, v3
	v_dual_mov_b32 v10, 0 :: v_dual_mov_b32 v17, v2
	;; [unrolled: 1-line block ×3, first 2 shown]
	s_delay_alu instid0(VALU_DEP_4)
	v_add_co_u32 v19, vcc_lo, s8, v13
	s_wait_alu 0xfffd
	v_add_co_ci_u32_e64 v20, null, s9, v14, vcc_lo
	v_mov_b32_e32 v13, 0
	v_dual_mov_b32 v14, 0 :: v_dual_mov_b32 v15, 0
	v_mov_b32_e32 v16, 0
	s_mov_b32 s7, 0
.LBB155_16:                             ; =>This Inner Loop Header: Depth=1
	global_load_b32 v32, v[19:20], off
	s_clause 0x1
	global_load_b128 v[24:27], v[17:18], off
	global_load_b128 v[28:31], v[17:18], off offset:16
	v_add_co_u32 v19, s3, v19, 16
	s_wait_alu 0xf1ff
	v_add_co_ci_u32_e64 v20, null, 0, v20, s3
	s_wait_loadcnt 0x2
	v_subrev_nc_u32_e32 v32, s12, v32
	s_wait_loadcnt 0x1
	v_cvt_f64_f32_e32 v[38:39], v24
	v_cvt_f64_f32_e32 v[40:41], v27
	s_wait_loadcnt 0x0
	v_cvt_f64_f32_e32 v[42:43], v30
	v_cvt_f64_f32_e32 v[24:25], v25
	v_lshl_add_u32 v32, v32, 1, v32
	v_cvt_f64_f32_e32 v[27:28], v28
	v_cvt_f64_f32_e32 v[30:31], v31
	s_delay_alu instid0(VALU_DEP_3) | instskip(NEXT) | instid1(VALU_DEP_1)
	v_ashrrev_i32_e32 v33, 31, v32
	v_lshlrev_b64_e32 v[32:33], 3, v[32:33]
	s_wait_kmcnt 0x0
	s_delay_alu instid0(VALU_DEP_1) | instskip(SKIP_1) | instid1(VALU_DEP_2)
	v_add_co_u32 v36, vcc_lo, s4, v32
	s_wait_alu 0xfffd
	v_add_co_ci_u32_e64 v37, null, s5, v33, vcc_lo
	v_add_co_u32 v21, vcc_lo, v21, 4
	s_wait_alu 0xfffd
	v_add_co_ci_u32_e64 v22, null, 0, v22, vcc_lo
	s_clause 0x1
	global_load_b128 v[32:35], v[36:37], off
	global_load_b64 v[36:37], v[36:37], off offset:16
	global_load_b32 v44, v[17:18], off offset:32
	v_add_co_u32 v17, vcc_lo, 0x90, v17
	s_wait_alu 0xfffd
	v_add_co_ci_u32_e64 v18, null, 0, v18, vcc_lo
	v_cmp_ge_i64_e32 vcc_lo, v[21:22], v[11:12]
	s_wait_alu 0xfffe
	s_or_b32 s7, vcc_lo, s7
	s_wait_loadcnt 0x2
	v_fma_f64 v[15:16], v[38:39], v[32:33], v[15:16]
	v_fma_f64 v[13:14], v[40:41], v[32:33], v[13:14]
	;; [unrolled: 1-line block ×3, first 2 shown]
	v_cvt_f64_f32_e32 v[32:33], v26
	v_cvt_f64_f32_e32 v[38:39], v29
	s_wait_loadcnt 0x0
	v_cvt_f64_f32_e32 v[40:41], v44
	v_fma_f64 v[15:16], v[24:25], v[34:35], v[15:16]
	v_fma_f64 v[13:14], v[27:28], v[34:35], v[13:14]
	v_fma_f64 v[9:10], v[30:31], v[34:35], v[9:10]
	s_delay_alu instid0(VALU_DEP_3) | instskip(NEXT) | instid1(VALU_DEP_3)
	v_fma_f64 v[15:16], v[32:33], v[36:37], v[15:16]
	v_fma_f64 v[13:14], v[38:39], v[36:37], v[13:14]
	s_delay_alu instid0(VALU_DEP_3)
	v_fma_f64 v[9:10], v[40:41], v[36:37], v[9:10]
	s_wait_alu 0xfffe
	s_and_not1_b32 exec_lo, exec_lo, s7
	s_cbranch_execnz .LBB155_16
; %bb.17:
	s_or_b32 exec_lo, exec_lo, s7
.LBB155_18:
	s_wait_alu 0xfffe
	s_or_b32 exec_lo, exec_lo, s6
	s_cbranch_execz .LBB155_20
	s_branch .LBB155_25
.LBB155_19:
                                        ; implicit-def: $vgpr9_vgpr10
                                        ; implicit-def: $vgpr13_vgpr14
                                        ; implicit-def: $vgpr15_vgpr16
.LBB155_20:
	v_mov_b32_e32 v9, 0
	v_dual_mov_b32 v10, 0 :: v_dual_mov_b32 v13, 0
	v_dual_mov_b32 v15, 0 :: v_dual_mov_b32 v14, 0
	v_mov_b32_e32 v16, 0
	s_and_saveexec_b32 s3, s2
	s_cbranch_execz .LBB155_24
; %bb.21:
	v_lshlrev_b64_e32 v[17:18], 2, v[0:1]
	v_mov_b32_e32 v9, 0
	v_dual_mov_b32 v10, 0 :: v_dual_mov_b32 v13, 0
	v_dual_mov_b32 v15, 0 :: v_dual_mov_b32 v14, 0
	s_delay_alu instid0(VALU_DEP_4)
	v_add_co_u32 v17, vcc_lo, s8, v17
	v_mov_b32_e32 v16, 0
	s_wait_alu 0xfffd
	v_add_co_ci_u32_e64 v18, null, s9, v18, vcc_lo
	s_mov_b32 s6, 0
.LBB155_22:                             ; =>This Inner Loop Header: Depth=1
	global_load_b32 v28, v[17:18], off
	s_clause 0x1
	global_load_b128 v[19:22], v[2:3], off
	global_load_b128 v[24:27], v[2:3], off offset:16
	v_add_co_u32 v17, s2, v17, 16
	s_wait_alu 0xf1ff
	v_add_co_ci_u32_e64 v18, null, 0, v18, s2
	s_wait_loadcnt 0x2
	v_subrev_nc_u32_e32 v28, s12, v28
	s_wait_loadcnt 0x1
	v_cvt_f64_f32_e32 v[34:35], v19
	v_cvt_f64_f32_e32 v[19:20], v20
	;; [unrolled: 1-line block ×4, first 2 shown]
	v_lshl_add_u32 v28, v28, 1, v28
	s_wait_loadcnt 0x0
	v_cvt_f64_f32_e32 v[38:39], v24
	v_cvt_f64_f32_e32 v[24:25], v25
	s_delay_alu instid0(VALU_DEP_3) | instskip(NEXT) | instid1(VALU_DEP_1)
	v_ashrrev_i32_e32 v29, 31, v28
	v_lshlrev_b64_e32 v[28:29], 3, v[28:29]
	s_wait_kmcnt 0x0
	s_delay_alu instid0(VALU_DEP_1) | instskip(SKIP_1) | instid1(VALU_DEP_2)
	v_add_co_u32 v32, vcc_lo, s4, v28
	s_wait_alu 0xfffd
	v_add_co_ci_u32_e64 v33, null, s5, v29, vcc_lo
	v_add_co_u32 v0, vcc_lo, v0, 4
	s_wait_alu 0xfffd
	v_add_co_ci_u32_e64 v1, null, 0, v1, vcc_lo
	s_clause 0x1
	global_load_b128 v[28:31], v[32:33], off
	global_load_b64 v[32:33], v[32:33], off offset:16
	global_load_b32 v40, v[2:3], off offset:32
	v_add_co_u32 v2, vcc_lo, 0x90, v2
	s_wait_alu 0xfffd
	v_add_co_ci_u32_e64 v3, null, 0, v3, vcc_lo
	v_cmp_ge_i64_e32 vcc_lo, v[0:1], v[11:12]
	s_wait_alu 0xfffe
	s_or_b32 s6, vcc_lo, s6
	s_wait_loadcnt 0x2
	v_fma_f64 v[15:16], v[34:35], v[28:29], v[15:16]
	v_fma_f64 v[13:14], v[19:20], v[28:29], v[13:14]
	;; [unrolled: 1-line block ×3, first 2 shown]
	v_cvt_f64_f32_e32 v[19:20], v26
	v_cvt_f64_f32_e32 v[26:27], v27
	s_wait_loadcnt 0x0
	v_cvt_f64_f32_e32 v[28:29], v40
	v_fma_f64 v[15:16], v[21:22], v[30:31], v[15:16]
	v_fma_f64 v[13:14], v[38:39], v[30:31], v[13:14]
	;; [unrolled: 1-line block ×3, first 2 shown]
	s_delay_alu instid0(VALU_DEP_3) | instskip(NEXT) | instid1(VALU_DEP_3)
	v_fma_f64 v[15:16], v[19:20], v[32:33], v[15:16]
	v_fma_f64 v[13:14], v[26:27], v[32:33], v[13:14]
	s_delay_alu instid0(VALU_DEP_3)
	v_fma_f64 v[9:10], v[28:29], v[32:33], v[9:10]
	s_wait_alu 0xfffe
	s_and_not1_b32 exec_lo, exec_lo, s6
	s_cbranch_execnz .LBB155_22
; %bb.23:
	s_or_b32 exec_lo, exec_lo, s6
.LBB155_24:
	s_wait_alu 0xfffe
	s_or_b32 exec_lo, exec_lo, s3
.LBB155_25:
	v_mbcnt_lo_u32_b32 v19, -1, 0
	s_delay_alu instid0(VALU_DEP_1) | instskip(NEXT) | instid1(VALU_DEP_1)
	v_xor_b32_e32 v0, 2, v19
	v_cmp_gt_i32_e32 vcc_lo, 32, v0
	s_wait_alu 0xfffd
	v_cndmask_b32_e32 v0, v19, v0, vcc_lo
	s_delay_alu instid0(VALU_DEP_1)
	v_lshlrev_b32_e32 v11, 2, v0
	ds_bpermute_b32 v0, v11, v15
	ds_bpermute_b32 v1, v11, v16
	;; [unrolled: 1-line block ×6, first 2 shown]
	s_wait_dscnt 0x4
	v_add_f64_e32 v[11:12], v[15:16], v[0:1]
	s_wait_dscnt 0x2
	v_add_f64_e32 v[0:1], v[13:14], v[2:3]
	;; [unrolled: 2-line block ×3, first 2 shown]
	v_xor_b32_e32 v9, 1, v19
	s_delay_alu instid0(VALU_DEP_1) | instskip(SKIP_3) | instid1(VALU_DEP_2)
	v_cmp_gt_i32_e32 vcc_lo, 32, v9
	s_wait_alu 0xfffd
	v_cndmask_b32_e32 v9, v19, v9, vcc_lo
	v_cmp_eq_u32_e32 vcc_lo, 3, v23
	v_lshlrev_b32_e32 v10, 2, v9
	ds_bpermute_b32 v15, v10, v11
	ds_bpermute_b32 v16, v10, v12
	;; [unrolled: 1-line block ×6, first 2 shown]
	s_and_b32 exec_lo, exec_lo, vcc_lo
	s_cbranch_execz .LBB155_10
; %bb.26:
	s_wait_dscnt 0x4
	v_add_f64_e32 v[11:12], v[11:12], v[15:16]
	s_wait_dscnt 0x2
	v_add_f64_e32 v[13:14], v[0:1], v[13:14]
	;; [unrolled: 2-line block ×3, first 2 shown]
	s_load_b64 s[0:1], s[0:1], 0x50
	v_lshl_add_u32 v8, v8, 1, v8
	s_mov_b32 s2, exec_lo
	s_delay_alu instid0(VALU_DEP_4) | instskip(NEXT) | instid1(VALU_DEP_4)
	v_mul_f64_e32 v[0:1], v[6:7], v[11:12]
	v_mul_f64_e32 v[2:3], v[6:7], v[13:14]
	s_delay_alu instid0(VALU_DEP_4)
	v_mul_f64_e32 v[6:7], v[6:7], v[9:10]
	v_ashrrev_i32_e32 v9, 31, v8
	v_cmpx_eq_f64_e32 0, v[4:5]
	s_wait_alu 0xfffe
	s_xor_b32 s2, exec_lo, s2
	s_cbranch_execz .LBB155_28
; %bb.27:
	v_lshlrev_b64_e32 v[4:5], 3, v[8:9]
                                        ; implicit-def: $vgpr8
	s_wait_kmcnt 0x0
	s_delay_alu instid0(VALU_DEP_1) | instskip(SKIP_1) | instid1(VALU_DEP_2)
	v_add_co_u32 v4, vcc_lo, s0, v4
	s_wait_alu 0xfffd
	v_add_co_ci_u32_e64 v5, null, s1, v5, vcc_lo
	s_clause 0x1
	global_store_b128 v[4:5], v[0:3], off
	global_store_b64 v[4:5], v[6:7], off offset:16
                                        ; implicit-def: $vgpr4_vgpr5
                                        ; implicit-def: $vgpr0_vgpr1
                                        ; implicit-def: $vgpr6_vgpr7
.LBB155_28:
	s_wait_alu 0xfffe
	s_and_not1_saveexec_b32 s2, s2
	s_cbranch_execz .LBB155_10
; %bb.29:
	v_lshlrev_b64_e32 v[8:9], 3, v[8:9]
	s_wait_kmcnt 0x0
	s_delay_alu instid0(VALU_DEP_1) | instskip(SKIP_1) | instid1(VALU_DEP_2)
	v_add_co_u32 v12, vcc_lo, s0, v8
	s_wait_alu 0xfffd
	v_add_co_ci_u32_e64 v13, null, s1, v9, vcc_lo
	s_clause 0x1
	global_load_b128 v[8:11], v[12:13], off
	global_load_b64 v[14:15], v[12:13], off offset:16
	s_wait_loadcnt 0x1
	v_fma_f64 v[0:1], v[4:5], v[8:9], v[0:1]
	v_fma_f64 v[2:3], v[4:5], v[10:11], v[2:3]
	s_wait_loadcnt 0x0
	v_fma_f64 v[4:5], v[4:5], v[14:15], v[6:7]
	s_clause 0x1
	global_store_b128 v[12:13], v[0:3], off
	global_store_b64 v[12:13], v[4:5], off offset:16
	s_endpgm
	.section	.rodata,"a",@progbits
	.p2align	6, 0x0
	.amdhsa_kernel _ZN9rocsparseL18bsrxmvn_3x3_kernelILj256ELj4EdlifddEEvT3_20rocsparse_direction_NS_24const_host_device_scalarIT1_EES1_PKS1_PKT2_SA_S7_PKT4_PKT5_S5_PT6_21rocsparse_index_base_b
		.amdhsa_group_segment_fixed_size 0
		.amdhsa_private_segment_fixed_size 0
		.amdhsa_kernarg_size 96
		.amdhsa_user_sgpr_count 2
		.amdhsa_user_sgpr_dispatch_ptr 0
		.amdhsa_user_sgpr_queue_ptr 0
		.amdhsa_user_sgpr_kernarg_segment_ptr 1
		.amdhsa_user_sgpr_dispatch_id 0
		.amdhsa_user_sgpr_private_segment_size 0
		.amdhsa_wavefront_size32 1
		.amdhsa_uses_dynamic_stack 0
		.amdhsa_enable_private_segment 0
		.amdhsa_system_sgpr_workgroup_id_x 1
		.amdhsa_system_sgpr_workgroup_id_y 0
		.amdhsa_system_sgpr_workgroup_id_z 0
		.amdhsa_system_sgpr_workgroup_info 0
		.amdhsa_system_vgpr_workitem_id 0
		.amdhsa_next_free_vgpr 45
		.amdhsa_next_free_sgpr 14
		.amdhsa_reserve_vcc 1
		.amdhsa_float_round_mode_32 0
		.amdhsa_float_round_mode_16_64 0
		.amdhsa_float_denorm_mode_32 3
		.amdhsa_float_denorm_mode_16_64 3
		.amdhsa_fp16_overflow 0
		.amdhsa_workgroup_processor_mode 1
		.amdhsa_memory_ordered 1
		.amdhsa_forward_progress 1
		.amdhsa_inst_pref_size 16
		.amdhsa_round_robin_scheduling 0
		.amdhsa_exception_fp_ieee_invalid_op 0
		.amdhsa_exception_fp_denorm_src 0
		.amdhsa_exception_fp_ieee_div_zero 0
		.amdhsa_exception_fp_ieee_overflow 0
		.amdhsa_exception_fp_ieee_underflow 0
		.amdhsa_exception_fp_ieee_inexact 0
		.amdhsa_exception_int_div_zero 0
	.end_amdhsa_kernel
	.section	.text._ZN9rocsparseL18bsrxmvn_3x3_kernelILj256ELj4EdlifddEEvT3_20rocsparse_direction_NS_24const_host_device_scalarIT1_EES1_PKS1_PKT2_SA_S7_PKT4_PKT5_S5_PT6_21rocsparse_index_base_b,"axG",@progbits,_ZN9rocsparseL18bsrxmvn_3x3_kernelILj256ELj4EdlifddEEvT3_20rocsparse_direction_NS_24const_host_device_scalarIT1_EES1_PKS1_PKT2_SA_S7_PKT4_PKT5_S5_PT6_21rocsparse_index_base_b,comdat
.Lfunc_end155:
	.size	_ZN9rocsparseL18bsrxmvn_3x3_kernelILj256ELj4EdlifddEEvT3_20rocsparse_direction_NS_24const_host_device_scalarIT1_EES1_PKS1_PKT2_SA_S7_PKT4_PKT5_S5_PT6_21rocsparse_index_base_b, .Lfunc_end155-_ZN9rocsparseL18bsrxmvn_3x3_kernelILj256ELj4EdlifddEEvT3_20rocsparse_direction_NS_24const_host_device_scalarIT1_EES1_PKS1_PKT2_SA_S7_PKT4_PKT5_S5_PT6_21rocsparse_index_base_b
                                        ; -- End function
	.set _ZN9rocsparseL18bsrxmvn_3x3_kernelILj256ELj4EdlifddEEvT3_20rocsparse_direction_NS_24const_host_device_scalarIT1_EES1_PKS1_PKT2_SA_S7_PKT4_PKT5_S5_PT6_21rocsparse_index_base_b.num_vgpr, 45
	.set _ZN9rocsparseL18bsrxmvn_3x3_kernelILj256ELj4EdlifddEEvT3_20rocsparse_direction_NS_24const_host_device_scalarIT1_EES1_PKS1_PKT2_SA_S7_PKT4_PKT5_S5_PT6_21rocsparse_index_base_b.num_agpr, 0
	.set _ZN9rocsparseL18bsrxmvn_3x3_kernelILj256ELj4EdlifddEEvT3_20rocsparse_direction_NS_24const_host_device_scalarIT1_EES1_PKS1_PKT2_SA_S7_PKT4_PKT5_S5_PT6_21rocsparse_index_base_b.numbered_sgpr, 14
	.set _ZN9rocsparseL18bsrxmvn_3x3_kernelILj256ELj4EdlifddEEvT3_20rocsparse_direction_NS_24const_host_device_scalarIT1_EES1_PKS1_PKT2_SA_S7_PKT4_PKT5_S5_PT6_21rocsparse_index_base_b.num_named_barrier, 0
	.set _ZN9rocsparseL18bsrxmvn_3x3_kernelILj256ELj4EdlifddEEvT3_20rocsparse_direction_NS_24const_host_device_scalarIT1_EES1_PKS1_PKT2_SA_S7_PKT4_PKT5_S5_PT6_21rocsparse_index_base_b.private_seg_size, 0
	.set _ZN9rocsparseL18bsrxmvn_3x3_kernelILj256ELj4EdlifddEEvT3_20rocsparse_direction_NS_24const_host_device_scalarIT1_EES1_PKS1_PKT2_SA_S7_PKT4_PKT5_S5_PT6_21rocsparse_index_base_b.uses_vcc, 1
	.set _ZN9rocsparseL18bsrxmvn_3x3_kernelILj256ELj4EdlifddEEvT3_20rocsparse_direction_NS_24const_host_device_scalarIT1_EES1_PKS1_PKT2_SA_S7_PKT4_PKT5_S5_PT6_21rocsparse_index_base_b.uses_flat_scratch, 0
	.set _ZN9rocsparseL18bsrxmvn_3x3_kernelILj256ELj4EdlifddEEvT3_20rocsparse_direction_NS_24const_host_device_scalarIT1_EES1_PKS1_PKT2_SA_S7_PKT4_PKT5_S5_PT6_21rocsparse_index_base_b.has_dyn_sized_stack, 0
	.set _ZN9rocsparseL18bsrxmvn_3x3_kernelILj256ELj4EdlifddEEvT3_20rocsparse_direction_NS_24const_host_device_scalarIT1_EES1_PKS1_PKT2_SA_S7_PKT4_PKT5_S5_PT6_21rocsparse_index_base_b.has_recursion, 0
	.set _ZN9rocsparseL18bsrxmvn_3x3_kernelILj256ELj4EdlifddEEvT3_20rocsparse_direction_NS_24const_host_device_scalarIT1_EES1_PKS1_PKT2_SA_S7_PKT4_PKT5_S5_PT6_21rocsparse_index_base_b.has_indirect_call, 0
	.section	.AMDGPU.csdata,"",@progbits
; Kernel info:
; codeLenInByte = 2040
; TotalNumSgprs: 16
; NumVgprs: 45
; ScratchSize: 0
; MemoryBound: 0
; FloatMode: 240
; IeeeMode: 1
; LDSByteSize: 0 bytes/workgroup (compile time only)
; SGPRBlocks: 0
; VGPRBlocks: 5
; NumSGPRsForWavesPerEU: 16
; NumVGPRsForWavesPerEU: 45
; Occupancy: 16
; WaveLimiterHint : 1
; COMPUTE_PGM_RSRC2:SCRATCH_EN: 0
; COMPUTE_PGM_RSRC2:USER_SGPR: 2
; COMPUTE_PGM_RSRC2:TRAP_HANDLER: 0
; COMPUTE_PGM_RSRC2:TGID_X_EN: 1
; COMPUTE_PGM_RSRC2:TGID_Y_EN: 0
; COMPUTE_PGM_RSRC2:TGID_Z_EN: 0
; COMPUTE_PGM_RSRC2:TIDIG_COMP_CNT: 0
	.section	.text._ZN9rocsparseL18bsrxmvn_3x3_kernelILj256ELj8EdlifddEEvT3_20rocsparse_direction_NS_24const_host_device_scalarIT1_EES1_PKS1_PKT2_SA_S7_PKT4_PKT5_S5_PT6_21rocsparse_index_base_b,"axG",@progbits,_ZN9rocsparseL18bsrxmvn_3x3_kernelILj256ELj8EdlifddEEvT3_20rocsparse_direction_NS_24const_host_device_scalarIT1_EES1_PKS1_PKT2_SA_S7_PKT4_PKT5_S5_PT6_21rocsparse_index_base_b,comdat
	.globl	_ZN9rocsparseL18bsrxmvn_3x3_kernelILj256ELj8EdlifddEEvT3_20rocsparse_direction_NS_24const_host_device_scalarIT1_EES1_PKS1_PKT2_SA_S7_PKT4_PKT5_S5_PT6_21rocsparse_index_base_b ; -- Begin function _ZN9rocsparseL18bsrxmvn_3x3_kernelILj256ELj8EdlifddEEvT3_20rocsparse_direction_NS_24const_host_device_scalarIT1_EES1_PKS1_PKT2_SA_S7_PKT4_PKT5_S5_PT6_21rocsparse_index_base_b
	.p2align	8
	.type	_ZN9rocsparseL18bsrxmvn_3x3_kernelILj256ELj8EdlifddEEvT3_20rocsparse_direction_NS_24const_host_device_scalarIT1_EES1_PKS1_PKT2_SA_S7_PKT4_PKT5_S5_PT6_21rocsparse_index_base_b,@function
_ZN9rocsparseL18bsrxmvn_3x3_kernelILj256ELj8EdlifddEEvT3_20rocsparse_direction_NS_24const_host_device_scalarIT1_EES1_PKS1_PKT2_SA_S7_PKT4_PKT5_S5_PT6_21rocsparse_index_base_b: ; @_ZN9rocsparseL18bsrxmvn_3x3_kernelILj256ELj8EdlifddEEvT3_20rocsparse_direction_NS_24const_host_device_scalarIT1_EES1_PKS1_PKT2_SA_S7_PKT4_PKT5_S5_PT6_21rocsparse_index_base_b
; %bb.0:
	s_clause 0x2
	s_load_b64 s[12:13], s[0:1], 0x58
	s_load_b64 s[4:5], s[0:1], 0x8
	;; [unrolled: 1-line block ×3, first 2 shown]
	s_wait_kmcnt 0x0
	s_bitcmp1_b32 s13, 0
	v_dual_mov_b32 v7, s5 :: v_dual_mov_b32 v6, s4
	s_cselect_b32 s6, -1, 0
	s_delay_alu instid0(SALU_CYCLE_1)
	s_and_b32 vcc_lo, exec_lo, s6
	s_xor_b32 s6, s6, -1
	s_cbranch_vccnz .LBB156_2
; %bb.1:
	v_dual_mov_b32 v1, s4 :: v_dual_mov_b32 v2, s5
	flat_load_b64 v[6:7], v[1:2]
.LBB156_2:
	v_dual_mov_b32 v5, s3 :: v_dual_mov_b32 v4, s2
	s_and_not1_b32 vcc_lo, exec_lo, s6
	s_cbranch_vccnz .LBB156_4
; %bb.3:
	v_dual_mov_b32 v1, s2 :: v_dual_mov_b32 v2, s3
	flat_load_b64 v[4:5], v[1:2]
.LBB156_4:
	s_wait_loadcnt_dscnt 0x0
	v_cmp_neq_f64_e32 vcc_lo, 0, v[6:7]
	v_cmp_neq_f64_e64 s2, 1.0, v[4:5]
	s_or_b32 s2, vcc_lo, s2
	s_wait_alu 0xfffe
	s_and_saveexec_b32 s3, s2
	s_cbranch_execz .LBB156_10
; %bb.5:
	s_clause 0x1
	s_load_b64 s[4:5], s[0:1], 0x18
	s_load_b64 s[2:3], s[0:1], 0x0
	v_lshrrev_b32_e32 v1, 3, v0
	s_delay_alu instid0(VALU_DEP_1)
	v_lshl_or_b32 v8, ttmp9, 5, v1
	s_wait_kmcnt 0x0
	s_cmp_lg_u64 s[4:5], 0
	s_cbranch_scc0 .LBB156_11
; %bb.6:
	s_load_b32 s6, s[0:1], 0x10
	s_mov_b32 s7, 0
                                        ; implicit-def: $vgpr1
	s_wait_kmcnt 0x0
	v_cmp_gt_i32_e32 vcc_lo, s6, v8
	s_mov_b32 s6, 0
	s_and_saveexec_b32 s8, vcc_lo
	s_delay_alu instid0(SALU_CYCLE_1)
	s_xor_b32 s8, exec_lo, s8
	s_cbranch_execz .LBB156_8
; %bb.7:
	v_ashrrev_i32_e32 v9, 31, v8
	s_mov_b32 s6, exec_lo
	s_delay_alu instid0(VALU_DEP_1) | instskip(NEXT) | instid1(VALU_DEP_1)
	v_lshlrev_b64_e32 v[1:2], 2, v[8:9]
	v_add_co_u32 v1, vcc_lo, s4, v1
	s_delay_alu instid0(VALU_DEP_1)
	v_add_co_ci_u32_e64 v2, null, s5, v2, vcc_lo
	global_load_b32 v1, v[1:2], off
	s_wait_loadcnt 0x0
	v_subrev_nc_u32_e32 v1, s12, v1
.LBB156_8:
	s_or_b32 exec_lo, exec_lo, s8
	s_delay_alu instid0(SALU_CYCLE_1)
	s_and_b32 vcc_lo, exec_lo, s7
	s_wait_alu 0xfffe
	s_cbranch_vccz .LBB156_12
.LBB156_9:
	v_cmp_gt_i32_e32 vcc_lo, s2, v8
	s_and_not1_b32 s2, s6, exec_lo
	s_and_b32 s4, vcc_lo, exec_lo
	s_wait_alu 0xfffe
	s_or_b32 s6, s2, s4
	s_wait_alu 0xfffe
	s_and_b32 exec_lo, exec_lo, s6
	s_cbranch_execnz .LBB156_13
.LBB156_10:
	s_endpgm
.LBB156_11:
	s_mov_b32 s6, 0
                                        ; implicit-def: $vgpr1
	s_cbranch_execnz .LBB156_9
.LBB156_12:
	v_mov_b32_e32 v8, v1
	s_and_b32 exec_lo, exec_lo, s6
	s_cbranch_execz .LBB156_10
.LBB156_13:
	s_load_b256 s[4:11], s[0:1], 0x20
	s_delay_alu instid0(VALU_DEP_1) | instskip(SKIP_1) | instid1(VALU_DEP_2)
	v_ashrrev_i32_e32 v9, 31, v8
	v_and_b32_e32 v23, 7, v0
	v_lshlrev_b64_e32 v[1:2], 3, v[8:9]
	s_wait_kmcnt 0x0
	s_delay_alu instid0(VALU_DEP_1) | instskip(SKIP_1) | instid1(VALU_DEP_2)
	v_add_co_u32 v9, vcc_lo, s4, v1
	s_wait_alu 0xfffd
	v_add_co_ci_u32_e64 v10, null, s5, v2, vcc_lo
	v_add_co_u32 v1, vcc_lo, s6, v1
	s_wait_alu 0xfffd
	v_add_co_ci_u32_e64 v2, null, s7, v2, vcc_lo
	global_load_b64 v[11:12], v[9:10], off
	v_add_co_u32 v3, vcc_lo, v9, 8
	s_wait_alu 0xfffd
	v_add_co_ci_u32_e64 v9, null, 0, v10, vcc_lo
	s_cmp_eq_u64 s[6:7], 0
	s_load_b64 s[4:5], s[0:1], 0x40
	s_cselect_b32 vcc_lo, -1, 0
	s_cmp_eq_u32 s3, 1
	s_wait_alu 0xfffe
	v_dual_cndmask_b32 v2, v2, v9 :: v_dual_cndmask_b32 v1, v1, v3
	global_load_b64 v[13:14], v[1:2], off
	s_wait_loadcnt 0x1
	v_sub_co_u32 v0, vcc_lo, v11, s12
	s_wait_alu 0xfffd
	v_subrev_co_ci_u32_e64 v1, null, 0, v12, vcc_lo
	s_delay_alu instid0(VALU_DEP_2) | instskip(SKIP_1) | instid1(VALU_DEP_2)
	v_add_co_u32 v2, vcc_lo, v0, v23
	s_wait_alu 0xfffd
	v_add_co_ci_u32_e64 v3, null, 0, v1, vcc_lo
	s_delay_alu instid0(VALU_DEP_2) | instskip(SKIP_4) | instid1(VALU_DEP_3)
	v_mad_co_u64_u32 v[9:10], null, v2, 36, s[10:11]
	s_wait_loadcnt 0x0
	v_sub_co_u32 v11, vcc_lo, v13, s12
	s_wait_alu 0xfffd
	v_subrev_co_ci_u32_e64 v12, null, 0, v14, vcc_lo
	v_mov_b32_e32 v0, v10
	s_delay_alu instid0(VALU_DEP_2) | instskip(NEXT) | instid1(VALU_DEP_2)
	v_cmp_lt_i64_e64 s2, v[2:3], v[11:12]
	v_mad_co_u64_u32 v[0:1], null, v3, 36, v[0:1]
	s_delay_alu instid0(VALU_DEP_1)
	v_mov_b32_e32 v10, v0
	s_cbranch_scc1 .LBB156_19
; %bb.14:
	v_dual_mov_b32 v0, 0 :: v_dual_mov_b32 v13, 0
	v_mov_b32_e32 v15, 0
	v_dual_mov_b32 v1, 0 :: v_dual_mov_b32 v14, 0
	v_mov_b32_e32 v16, 0
	s_and_saveexec_b32 s6, s2
	s_cbranch_execz .LBB156_18
; %bb.15:
	v_lshlrev_b64_e32 v[13:14], 2, v[2:3]
	v_mov_b32_e32 v0, 0
	v_dual_mov_b32 v1, 0 :: v_dual_mov_b32 v18, v10
	v_dual_mov_b32 v17, v9 :: v_dual_mov_b32 v22, v3
	v_mov_b32_e32 v21, v2
	v_add_co_u32 v19, vcc_lo, s8, v13
	s_wait_alu 0xfffd
	v_add_co_ci_u32_e64 v20, null, s9, v14, vcc_lo
	v_mov_b32_e32 v13, 0
	v_dual_mov_b32 v14, 0 :: v_dual_mov_b32 v15, 0
	v_mov_b32_e32 v16, 0
	s_mov_b32 s7, 0
.LBB156_16:                             ; =>This Inner Loop Header: Depth=1
	global_load_b32 v32, v[19:20], off
	s_clause 0x1
	global_load_b128 v[24:27], v[17:18], off
	global_load_b128 v[28:31], v[17:18], off offset:16
	v_add_co_u32 v19, s3, v19, 32
	s_wait_alu 0xf1ff
	v_add_co_ci_u32_e64 v20, null, 0, v20, s3
	s_wait_loadcnt 0x2
	v_subrev_nc_u32_e32 v32, s12, v32
	s_wait_loadcnt 0x1
	v_cvt_f64_f32_e32 v[38:39], v24
	v_cvt_f64_f32_e32 v[40:41], v27
	s_wait_loadcnt 0x0
	v_cvt_f64_f32_e32 v[42:43], v30
	v_cvt_f64_f32_e32 v[24:25], v25
	v_lshl_add_u32 v32, v32, 1, v32
	v_cvt_f64_f32_e32 v[27:28], v28
	v_cvt_f64_f32_e32 v[30:31], v31
	s_delay_alu instid0(VALU_DEP_3) | instskip(NEXT) | instid1(VALU_DEP_1)
	v_ashrrev_i32_e32 v33, 31, v32
	v_lshlrev_b64_e32 v[32:33], 3, v[32:33]
	s_wait_kmcnt 0x0
	s_delay_alu instid0(VALU_DEP_1) | instskip(SKIP_1) | instid1(VALU_DEP_2)
	v_add_co_u32 v36, vcc_lo, s4, v32
	s_wait_alu 0xfffd
	v_add_co_ci_u32_e64 v37, null, s5, v33, vcc_lo
	v_add_co_u32 v21, vcc_lo, v21, 8
	s_wait_alu 0xfffd
	v_add_co_ci_u32_e64 v22, null, 0, v22, vcc_lo
	s_clause 0x1
	global_load_b128 v[32:35], v[36:37], off
	global_load_b64 v[36:37], v[36:37], off offset:16
	global_load_b32 v44, v[17:18], off offset:32
	v_add_co_u32 v17, vcc_lo, 0x120, v17
	s_wait_alu 0xfffd
	v_add_co_ci_u32_e64 v18, null, 0, v18, vcc_lo
	v_cmp_ge_i64_e32 vcc_lo, v[21:22], v[11:12]
	s_wait_alu 0xfffe
	s_or_b32 s7, vcc_lo, s7
	s_wait_loadcnt 0x2
	v_fma_f64 v[15:16], v[38:39], v[32:33], v[15:16]
	v_fma_f64 v[13:14], v[40:41], v[32:33], v[13:14]
	;; [unrolled: 1-line block ×3, first 2 shown]
	v_cvt_f64_f32_e32 v[32:33], v26
	v_cvt_f64_f32_e32 v[38:39], v29
	s_wait_loadcnt 0x0
	v_cvt_f64_f32_e32 v[40:41], v44
	v_fma_f64 v[15:16], v[24:25], v[34:35], v[15:16]
	v_fma_f64 v[13:14], v[27:28], v[34:35], v[13:14]
	;; [unrolled: 1-line block ×3, first 2 shown]
	s_delay_alu instid0(VALU_DEP_3) | instskip(NEXT) | instid1(VALU_DEP_3)
	v_fma_f64 v[15:16], v[32:33], v[36:37], v[15:16]
	v_fma_f64 v[13:14], v[38:39], v[36:37], v[13:14]
	s_delay_alu instid0(VALU_DEP_3)
	v_fma_f64 v[0:1], v[40:41], v[36:37], v[0:1]
	s_wait_alu 0xfffe
	s_and_not1_b32 exec_lo, exec_lo, s7
	s_cbranch_execnz .LBB156_16
; %bb.17:
	s_or_b32 exec_lo, exec_lo, s7
.LBB156_18:
	s_wait_alu 0xfffe
	s_or_b32 exec_lo, exec_lo, s6
	s_cbranch_execz .LBB156_20
	s_branch .LBB156_25
.LBB156_19:
                                        ; implicit-def: $vgpr0_vgpr1
                                        ; implicit-def: $vgpr13_vgpr14
                                        ; implicit-def: $vgpr15_vgpr16
.LBB156_20:
	v_dual_mov_b32 v0, 0 :: v_dual_mov_b32 v13, 0
	v_mov_b32_e32 v15, 0
	v_dual_mov_b32 v1, 0 :: v_dual_mov_b32 v14, 0
	v_mov_b32_e32 v16, 0
	s_and_saveexec_b32 s3, s2
	s_cbranch_execz .LBB156_24
; %bb.21:
	v_lshlrev_b64_e32 v[17:18], 2, v[2:3]
	v_dual_mov_b32 v0, 0 :: v_dual_mov_b32 v13, 0
	v_mov_b32_e32 v15, 0
	v_dual_mov_b32 v1, 0 :: v_dual_mov_b32 v14, 0
	s_delay_alu instid0(VALU_DEP_4)
	v_add_co_u32 v17, vcc_lo, s8, v17
	v_mov_b32_e32 v16, 0
	s_wait_alu 0xfffd
	v_add_co_ci_u32_e64 v18, null, s9, v18, vcc_lo
	s_mov_b32 s6, 0
.LBB156_22:                             ; =>This Inner Loop Header: Depth=1
	global_load_b32 v28, v[17:18], off
	s_clause 0x1
	global_load_b128 v[19:22], v[9:10], off
	global_load_b128 v[24:27], v[9:10], off offset:16
	v_add_co_u32 v17, s2, v17, 32
	s_wait_alu 0xf1ff
	v_add_co_ci_u32_e64 v18, null, 0, v18, s2
	s_wait_loadcnt 0x2
	v_subrev_nc_u32_e32 v28, s12, v28
	s_wait_loadcnt 0x1
	v_cvt_f64_f32_e32 v[34:35], v19
	v_cvt_f64_f32_e32 v[19:20], v20
	;; [unrolled: 1-line block ×4, first 2 shown]
	v_lshl_add_u32 v28, v28, 1, v28
	s_wait_loadcnt 0x0
	v_cvt_f64_f32_e32 v[38:39], v24
	v_cvt_f64_f32_e32 v[24:25], v25
	s_delay_alu instid0(VALU_DEP_3) | instskip(NEXT) | instid1(VALU_DEP_1)
	v_ashrrev_i32_e32 v29, 31, v28
	v_lshlrev_b64_e32 v[28:29], 3, v[28:29]
	s_wait_kmcnt 0x0
	s_delay_alu instid0(VALU_DEP_1) | instskip(SKIP_1) | instid1(VALU_DEP_2)
	v_add_co_u32 v32, vcc_lo, s4, v28
	s_wait_alu 0xfffd
	v_add_co_ci_u32_e64 v33, null, s5, v29, vcc_lo
	v_add_co_u32 v2, vcc_lo, v2, 8
	s_wait_alu 0xfffd
	v_add_co_ci_u32_e64 v3, null, 0, v3, vcc_lo
	s_clause 0x1
	global_load_b128 v[28:31], v[32:33], off
	global_load_b64 v[32:33], v[32:33], off offset:16
	global_load_b32 v40, v[9:10], off offset:32
	v_add_co_u32 v9, vcc_lo, 0x120, v9
	s_wait_alu 0xfffd
	v_add_co_ci_u32_e64 v10, null, 0, v10, vcc_lo
	v_cmp_ge_i64_e32 vcc_lo, v[2:3], v[11:12]
	s_wait_alu 0xfffe
	s_or_b32 s6, vcc_lo, s6
	s_wait_loadcnt 0x2
	v_fma_f64 v[15:16], v[34:35], v[28:29], v[15:16]
	v_fma_f64 v[13:14], v[19:20], v[28:29], v[13:14]
	;; [unrolled: 1-line block ×3, first 2 shown]
	v_cvt_f64_f32_e32 v[19:20], v26
	v_cvt_f64_f32_e32 v[26:27], v27
	s_wait_loadcnt 0x0
	v_cvt_f64_f32_e32 v[28:29], v40
	v_fma_f64 v[15:16], v[21:22], v[30:31], v[15:16]
	v_fma_f64 v[13:14], v[38:39], v[30:31], v[13:14]
	;; [unrolled: 1-line block ×3, first 2 shown]
	s_delay_alu instid0(VALU_DEP_3) | instskip(NEXT) | instid1(VALU_DEP_3)
	v_fma_f64 v[15:16], v[19:20], v[32:33], v[15:16]
	v_fma_f64 v[13:14], v[26:27], v[32:33], v[13:14]
	s_delay_alu instid0(VALU_DEP_3)
	v_fma_f64 v[0:1], v[28:29], v[32:33], v[0:1]
	s_wait_alu 0xfffe
	s_and_not1_b32 exec_lo, exec_lo, s6
	s_cbranch_execnz .LBB156_22
; %bb.23:
	s_or_b32 exec_lo, exec_lo, s6
.LBB156_24:
	s_wait_alu 0xfffe
	s_or_b32 exec_lo, exec_lo, s3
.LBB156_25:
	v_mbcnt_lo_u32_b32 v19, -1, 0
	s_delay_alu instid0(VALU_DEP_1) | instskip(NEXT) | instid1(VALU_DEP_1)
	v_xor_b32_e32 v2, 4, v19
	v_cmp_gt_i32_e32 vcc_lo, 32, v2
	s_wait_alu 0xfffd
	v_cndmask_b32_e32 v2, v19, v2, vcc_lo
	s_delay_alu instid0(VALU_DEP_1)
	v_lshlrev_b32_e32 v12, 2, v2
	ds_bpermute_b32 v2, v12, v15
	ds_bpermute_b32 v3, v12, v16
	;; [unrolled: 1-line block ×6, first 2 shown]
	s_wait_dscnt 0x4
	v_add_f64_e32 v[2:3], v[15:16], v[2:3]
	s_wait_dscnt 0x2
	v_add_f64_e32 v[13:14], v[13:14], v[9:10]
	;; [unrolled: 2-line block ×3, first 2 shown]
	v_xor_b32_e32 v0, 2, v19
	s_delay_alu instid0(VALU_DEP_1) | instskip(SKIP_2) | instid1(VALU_DEP_1)
	v_cmp_gt_i32_e32 vcc_lo, 32, v0
	s_wait_alu 0xfffd
	v_cndmask_b32_e32 v0, v19, v0, vcc_lo
	v_lshlrev_b32_e32 v9, 2, v0
	ds_bpermute_b32 v0, v9, v2
	ds_bpermute_b32 v1, v9, v3
	;; [unrolled: 1-line block ×6, first 2 shown]
	s_wait_dscnt 0x4
	v_add_f64_e32 v[9:10], v[2:3], v[0:1]
	s_wait_dscnt 0x2
	v_add_f64_e32 v[0:1], v[13:14], v[15:16]
	;; [unrolled: 2-line block ×3, first 2 shown]
	v_xor_b32_e32 v11, 1, v19
	s_delay_alu instid0(VALU_DEP_1) | instskip(SKIP_3) | instid1(VALU_DEP_2)
	v_cmp_gt_i32_e32 vcc_lo, 32, v11
	s_wait_alu 0xfffd
	v_cndmask_b32_e32 v11, v19, v11, vcc_lo
	v_cmp_eq_u32_e32 vcc_lo, 7, v23
	v_lshlrev_b32_e32 v12, 2, v11
	ds_bpermute_b32 v15, v12, v9
	ds_bpermute_b32 v16, v12, v10
	;; [unrolled: 1-line block ×6, first 2 shown]
	s_and_b32 exec_lo, exec_lo, vcc_lo
	s_cbranch_execz .LBB156_10
; %bb.26:
	s_wait_dscnt 0x4
	v_add_f64_e32 v[9:10], v[9:10], v[15:16]
	s_wait_dscnt 0x2
	v_add_f64_e32 v[13:14], v[0:1], v[13:14]
	;; [unrolled: 2-line block ×3, first 2 shown]
	s_load_b64 s[0:1], s[0:1], 0x50
	v_lshl_add_u32 v8, v8, 1, v8
	s_mov_b32 s2, exec_lo
	s_delay_alu instid0(VALU_DEP_4) | instskip(NEXT) | instid1(VALU_DEP_4)
	v_mul_f64_e32 v[0:1], v[6:7], v[9:10]
	v_mul_f64_e32 v[2:3], v[6:7], v[13:14]
	s_delay_alu instid0(VALU_DEP_4)
	v_mul_f64_e32 v[6:7], v[6:7], v[11:12]
	v_ashrrev_i32_e32 v9, 31, v8
	v_cmpx_eq_f64_e32 0, v[4:5]
	s_wait_alu 0xfffe
	s_xor_b32 s2, exec_lo, s2
	s_cbranch_execz .LBB156_28
; %bb.27:
	v_lshlrev_b64_e32 v[4:5], 3, v[8:9]
                                        ; implicit-def: $vgpr8
	s_wait_kmcnt 0x0
	s_delay_alu instid0(VALU_DEP_1) | instskip(SKIP_1) | instid1(VALU_DEP_2)
	v_add_co_u32 v4, vcc_lo, s0, v4
	s_wait_alu 0xfffd
	v_add_co_ci_u32_e64 v5, null, s1, v5, vcc_lo
	s_clause 0x1
	global_store_b128 v[4:5], v[0:3], off
	global_store_b64 v[4:5], v[6:7], off offset:16
                                        ; implicit-def: $vgpr4_vgpr5
                                        ; implicit-def: $vgpr0_vgpr1
                                        ; implicit-def: $vgpr6_vgpr7
.LBB156_28:
	s_wait_alu 0xfffe
	s_and_not1_saveexec_b32 s2, s2
	s_cbranch_execz .LBB156_10
; %bb.29:
	v_lshlrev_b64_e32 v[8:9], 3, v[8:9]
	s_wait_kmcnt 0x0
	s_delay_alu instid0(VALU_DEP_1) | instskip(SKIP_1) | instid1(VALU_DEP_2)
	v_add_co_u32 v12, vcc_lo, s0, v8
	s_wait_alu 0xfffd
	v_add_co_ci_u32_e64 v13, null, s1, v9, vcc_lo
	s_clause 0x1
	global_load_b128 v[8:11], v[12:13], off
	global_load_b64 v[14:15], v[12:13], off offset:16
	s_wait_loadcnt 0x1
	v_fma_f64 v[0:1], v[4:5], v[8:9], v[0:1]
	v_fma_f64 v[2:3], v[4:5], v[10:11], v[2:3]
	s_wait_loadcnt 0x0
	v_fma_f64 v[4:5], v[4:5], v[14:15], v[6:7]
	s_clause 0x1
	global_store_b128 v[12:13], v[0:3], off
	global_store_b64 v[12:13], v[4:5], off offset:16
	s_endpgm
	.section	.rodata,"a",@progbits
	.p2align	6, 0x0
	.amdhsa_kernel _ZN9rocsparseL18bsrxmvn_3x3_kernelILj256ELj8EdlifddEEvT3_20rocsparse_direction_NS_24const_host_device_scalarIT1_EES1_PKS1_PKT2_SA_S7_PKT4_PKT5_S5_PT6_21rocsparse_index_base_b
		.amdhsa_group_segment_fixed_size 0
		.amdhsa_private_segment_fixed_size 0
		.amdhsa_kernarg_size 96
		.amdhsa_user_sgpr_count 2
		.amdhsa_user_sgpr_dispatch_ptr 0
		.amdhsa_user_sgpr_queue_ptr 0
		.amdhsa_user_sgpr_kernarg_segment_ptr 1
		.amdhsa_user_sgpr_dispatch_id 0
		.amdhsa_user_sgpr_private_segment_size 0
		.amdhsa_wavefront_size32 1
		.amdhsa_uses_dynamic_stack 0
		.amdhsa_enable_private_segment 0
		.amdhsa_system_sgpr_workgroup_id_x 1
		.amdhsa_system_sgpr_workgroup_id_y 0
		.amdhsa_system_sgpr_workgroup_id_z 0
		.amdhsa_system_sgpr_workgroup_info 0
		.amdhsa_system_vgpr_workitem_id 0
		.amdhsa_next_free_vgpr 45
		.amdhsa_next_free_sgpr 14
		.amdhsa_reserve_vcc 1
		.amdhsa_float_round_mode_32 0
		.amdhsa_float_round_mode_16_64 0
		.amdhsa_float_denorm_mode_32 3
		.amdhsa_float_denorm_mode_16_64 3
		.amdhsa_fp16_overflow 0
		.amdhsa_workgroup_processor_mode 1
		.amdhsa_memory_ordered 1
		.amdhsa_forward_progress 1
		.amdhsa_inst_pref_size 17
		.amdhsa_round_robin_scheduling 0
		.amdhsa_exception_fp_ieee_invalid_op 0
		.amdhsa_exception_fp_denorm_src 0
		.amdhsa_exception_fp_ieee_div_zero 0
		.amdhsa_exception_fp_ieee_overflow 0
		.amdhsa_exception_fp_ieee_underflow 0
		.amdhsa_exception_fp_ieee_inexact 0
		.amdhsa_exception_int_div_zero 0
	.end_amdhsa_kernel
	.section	.text._ZN9rocsparseL18bsrxmvn_3x3_kernelILj256ELj8EdlifddEEvT3_20rocsparse_direction_NS_24const_host_device_scalarIT1_EES1_PKS1_PKT2_SA_S7_PKT4_PKT5_S5_PT6_21rocsparse_index_base_b,"axG",@progbits,_ZN9rocsparseL18bsrxmvn_3x3_kernelILj256ELj8EdlifddEEvT3_20rocsparse_direction_NS_24const_host_device_scalarIT1_EES1_PKS1_PKT2_SA_S7_PKT4_PKT5_S5_PT6_21rocsparse_index_base_b,comdat
.Lfunc_end156:
	.size	_ZN9rocsparseL18bsrxmvn_3x3_kernelILj256ELj8EdlifddEEvT3_20rocsparse_direction_NS_24const_host_device_scalarIT1_EES1_PKS1_PKT2_SA_S7_PKT4_PKT5_S5_PT6_21rocsparse_index_base_b, .Lfunc_end156-_ZN9rocsparseL18bsrxmvn_3x3_kernelILj256ELj8EdlifddEEvT3_20rocsparse_direction_NS_24const_host_device_scalarIT1_EES1_PKS1_PKT2_SA_S7_PKT4_PKT5_S5_PT6_21rocsparse_index_base_b
                                        ; -- End function
	.set _ZN9rocsparseL18bsrxmvn_3x3_kernelILj256ELj8EdlifddEEvT3_20rocsparse_direction_NS_24const_host_device_scalarIT1_EES1_PKS1_PKT2_SA_S7_PKT4_PKT5_S5_PT6_21rocsparse_index_base_b.num_vgpr, 45
	.set _ZN9rocsparseL18bsrxmvn_3x3_kernelILj256ELj8EdlifddEEvT3_20rocsparse_direction_NS_24const_host_device_scalarIT1_EES1_PKS1_PKT2_SA_S7_PKT4_PKT5_S5_PT6_21rocsparse_index_base_b.num_agpr, 0
	.set _ZN9rocsparseL18bsrxmvn_3x3_kernelILj256ELj8EdlifddEEvT3_20rocsparse_direction_NS_24const_host_device_scalarIT1_EES1_PKS1_PKT2_SA_S7_PKT4_PKT5_S5_PT6_21rocsparse_index_base_b.numbered_sgpr, 14
	.set _ZN9rocsparseL18bsrxmvn_3x3_kernelILj256ELj8EdlifddEEvT3_20rocsparse_direction_NS_24const_host_device_scalarIT1_EES1_PKS1_PKT2_SA_S7_PKT4_PKT5_S5_PT6_21rocsparse_index_base_b.num_named_barrier, 0
	.set _ZN9rocsparseL18bsrxmvn_3x3_kernelILj256ELj8EdlifddEEvT3_20rocsparse_direction_NS_24const_host_device_scalarIT1_EES1_PKS1_PKT2_SA_S7_PKT4_PKT5_S5_PT6_21rocsparse_index_base_b.private_seg_size, 0
	.set _ZN9rocsparseL18bsrxmvn_3x3_kernelILj256ELj8EdlifddEEvT3_20rocsparse_direction_NS_24const_host_device_scalarIT1_EES1_PKS1_PKT2_SA_S7_PKT4_PKT5_S5_PT6_21rocsparse_index_base_b.uses_vcc, 1
	.set _ZN9rocsparseL18bsrxmvn_3x3_kernelILj256ELj8EdlifddEEvT3_20rocsparse_direction_NS_24const_host_device_scalarIT1_EES1_PKS1_PKT2_SA_S7_PKT4_PKT5_S5_PT6_21rocsparse_index_base_b.uses_flat_scratch, 0
	.set _ZN9rocsparseL18bsrxmvn_3x3_kernelILj256ELj8EdlifddEEvT3_20rocsparse_direction_NS_24const_host_device_scalarIT1_EES1_PKS1_PKT2_SA_S7_PKT4_PKT5_S5_PT6_21rocsparse_index_base_b.has_dyn_sized_stack, 0
	.set _ZN9rocsparseL18bsrxmvn_3x3_kernelILj256ELj8EdlifddEEvT3_20rocsparse_direction_NS_24const_host_device_scalarIT1_EES1_PKS1_PKT2_SA_S7_PKT4_PKT5_S5_PT6_21rocsparse_index_base_b.has_recursion, 0
	.set _ZN9rocsparseL18bsrxmvn_3x3_kernelILj256ELj8EdlifddEEvT3_20rocsparse_direction_NS_24const_host_device_scalarIT1_EES1_PKS1_PKT2_SA_S7_PKT4_PKT5_S5_PT6_21rocsparse_index_base_b.has_indirect_call, 0
	.section	.AMDGPU.csdata,"",@progbits
; Kernel info:
; codeLenInByte = 2140
; TotalNumSgprs: 16
; NumVgprs: 45
; ScratchSize: 0
; MemoryBound: 0
; FloatMode: 240
; IeeeMode: 1
; LDSByteSize: 0 bytes/workgroup (compile time only)
; SGPRBlocks: 0
; VGPRBlocks: 5
; NumSGPRsForWavesPerEU: 16
; NumVGPRsForWavesPerEU: 45
; Occupancy: 16
; WaveLimiterHint : 1
; COMPUTE_PGM_RSRC2:SCRATCH_EN: 0
; COMPUTE_PGM_RSRC2:USER_SGPR: 2
; COMPUTE_PGM_RSRC2:TRAP_HANDLER: 0
; COMPUTE_PGM_RSRC2:TGID_X_EN: 1
; COMPUTE_PGM_RSRC2:TGID_Y_EN: 0
; COMPUTE_PGM_RSRC2:TGID_Z_EN: 0
; COMPUTE_PGM_RSRC2:TIDIG_COMP_CNT: 0
	.section	.text._ZN9rocsparseL18bsrxmvn_3x3_kernelILj256ELj16EdlifddEEvT3_20rocsparse_direction_NS_24const_host_device_scalarIT1_EES1_PKS1_PKT2_SA_S7_PKT4_PKT5_S5_PT6_21rocsparse_index_base_b,"axG",@progbits,_ZN9rocsparseL18bsrxmvn_3x3_kernelILj256ELj16EdlifddEEvT3_20rocsparse_direction_NS_24const_host_device_scalarIT1_EES1_PKS1_PKT2_SA_S7_PKT4_PKT5_S5_PT6_21rocsparse_index_base_b,comdat
	.globl	_ZN9rocsparseL18bsrxmvn_3x3_kernelILj256ELj16EdlifddEEvT3_20rocsparse_direction_NS_24const_host_device_scalarIT1_EES1_PKS1_PKT2_SA_S7_PKT4_PKT5_S5_PT6_21rocsparse_index_base_b ; -- Begin function _ZN9rocsparseL18bsrxmvn_3x3_kernelILj256ELj16EdlifddEEvT3_20rocsparse_direction_NS_24const_host_device_scalarIT1_EES1_PKS1_PKT2_SA_S7_PKT4_PKT5_S5_PT6_21rocsparse_index_base_b
	.p2align	8
	.type	_ZN9rocsparseL18bsrxmvn_3x3_kernelILj256ELj16EdlifddEEvT3_20rocsparse_direction_NS_24const_host_device_scalarIT1_EES1_PKS1_PKT2_SA_S7_PKT4_PKT5_S5_PT6_21rocsparse_index_base_b,@function
_ZN9rocsparseL18bsrxmvn_3x3_kernelILj256ELj16EdlifddEEvT3_20rocsparse_direction_NS_24const_host_device_scalarIT1_EES1_PKS1_PKT2_SA_S7_PKT4_PKT5_S5_PT6_21rocsparse_index_base_b: ; @_ZN9rocsparseL18bsrxmvn_3x3_kernelILj256ELj16EdlifddEEvT3_20rocsparse_direction_NS_24const_host_device_scalarIT1_EES1_PKS1_PKT2_SA_S7_PKT4_PKT5_S5_PT6_21rocsparse_index_base_b
; %bb.0:
	s_clause 0x2
	s_load_b64 s[12:13], s[0:1], 0x58
	s_load_b64 s[4:5], s[0:1], 0x8
	;; [unrolled: 1-line block ×3, first 2 shown]
	s_wait_kmcnt 0x0
	s_bitcmp1_b32 s13, 0
	v_dual_mov_b32 v7, s5 :: v_dual_mov_b32 v6, s4
	s_cselect_b32 s6, -1, 0
	s_delay_alu instid0(SALU_CYCLE_1)
	s_and_b32 vcc_lo, exec_lo, s6
	s_xor_b32 s6, s6, -1
	s_cbranch_vccnz .LBB157_2
; %bb.1:
	v_dual_mov_b32 v1, s4 :: v_dual_mov_b32 v2, s5
	flat_load_b64 v[6:7], v[1:2]
.LBB157_2:
	v_dual_mov_b32 v5, s3 :: v_dual_mov_b32 v4, s2
	s_and_not1_b32 vcc_lo, exec_lo, s6
	s_cbranch_vccnz .LBB157_4
; %bb.3:
	v_dual_mov_b32 v1, s2 :: v_dual_mov_b32 v2, s3
	flat_load_b64 v[4:5], v[1:2]
.LBB157_4:
	s_wait_loadcnt_dscnt 0x0
	v_cmp_neq_f64_e32 vcc_lo, 0, v[6:7]
	v_cmp_neq_f64_e64 s2, 1.0, v[4:5]
	s_or_b32 s2, vcc_lo, s2
	s_wait_alu 0xfffe
	s_and_saveexec_b32 s3, s2
	s_cbranch_execz .LBB157_10
; %bb.5:
	s_clause 0x1
	s_load_b64 s[4:5], s[0:1], 0x18
	s_load_b64 s[2:3], s[0:1], 0x0
	v_lshrrev_b32_e32 v1, 4, v0
	s_delay_alu instid0(VALU_DEP_1)
	v_lshl_or_b32 v8, ttmp9, 4, v1
	s_wait_kmcnt 0x0
	s_cmp_lg_u64 s[4:5], 0
	s_cbranch_scc0 .LBB157_11
; %bb.6:
	s_load_b32 s6, s[0:1], 0x10
	s_mov_b32 s7, 0
                                        ; implicit-def: $vgpr1
	s_wait_kmcnt 0x0
	v_cmp_gt_i32_e32 vcc_lo, s6, v8
	s_mov_b32 s6, 0
	s_and_saveexec_b32 s8, vcc_lo
	s_delay_alu instid0(SALU_CYCLE_1)
	s_xor_b32 s8, exec_lo, s8
	s_cbranch_execz .LBB157_8
; %bb.7:
	v_ashrrev_i32_e32 v9, 31, v8
	s_mov_b32 s6, exec_lo
	s_delay_alu instid0(VALU_DEP_1) | instskip(NEXT) | instid1(VALU_DEP_1)
	v_lshlrev_b64_e32 v[1:2], 2, v[8:9]
	v_add_co_u32 v1, vcc_lo, s4, v1
	s_delay_alu instid0(VALU_DEP_1)
	v_add_co_ci_u32_e64 v2, null, s5, v2, vcc_lo
	global_load_b32 v1, v[1:2], off
	s_wait_loadcnt 0x0
	v_subrev_nc_u32_e32 v1, s12, v1
.LBB157_8:
	s_or_b32 exec_lo, exec_lo, s8
	s_delay_alu instid0(SALU_CYCLE_1)
	s_and_b32 vcc_lo, exec_lo, s7
	s_wait_alu 0xfffe
	s_cbranch_vccz .LBB157_12
.LBB157_9:
	v_cmp_gt_i32_e32 vcc_lo, s2, v8
	s_and_not1_b32 s2, s6, exec_lo
	s_and_b32 s4, vcc_lo, exec_lo
	s_wait_alu 0xfffe
	s_or_b32 s6, s2, s4
	s_wait_alu 0xfffe
	s_and_b32 exec_lo, exec_lo, s6
	s_cbranch_execnz .LBB157_13
.LBB157_10:
	s_endpgm
.LBB157_11:
	s_mov_b32 s6, 0
                                        ; implicit-def: $vgpr1
	s_cbranch_execnz .LBB157_9
.LBB157_12:
	v_mov_b32_e32 v8, v1
	s_and_b32 exec_lo, exec_lo, s6
	s_cbranch_execz .LBB157_10
.LBB157_13:
	s_load_b256 s[4:11], s[0:1], 0x20
	s_delay_alu instid0(VALU_DEP_1) | instskip(SKIP_1) | instid1(VALU_DEP_2)
	v_ashrrev_i32_e32 v9, 31, v8
	v_and_b32_e32 v23, 15, v0
	v_lshlrev_b64_e32 v[1:2], 3, v[8:9]
	s_wait_kmcnt 0x0
	s_delay_alu instid0(VALU_DEP_1) | instskip(SKIP_1) | instid1(VALU_DEP_2)
	v_add_co_u32 v9, vcc_lo, s4, v1
	s_wait_alu 0xfffd
	v_add_co_ci_u32_e64 v10, null, s5, v2, vcc_lo
	v_add_co_u32 v1, vcc_lo, s6, v1
	s_wait_alu 0xfffd
	v_add_co_ci_u32_e64 v2, null, s7, v2, vcc_lo
	global_load_b64 v[11:12], v[9:10], off
	v_add_co_u32 v3, vcc_lo, v9, 8
	s_wait_alu 0xfffd
	v_add_co_ci_u32_e64 v9, null, 0, v10, vcc_lo
	s_cmp_eq_u64 s[6:7], 0
	s_load_b64 s[4:5], s[0:1], 0x40
	s_cselect_b32 vcc_lo, -1, 0
	s_cmp_eq_u32 s3, 1
	s_wait_alu 0xfffe
	v_dual_cndmask_b32 v2, v2, v9 :: v_dual_cndmask_b32 v1, v1, v3
	global_load_b64 v[9:10], v[1:2], off
	s_wait_loadcnt 0x1
	v_sub_co_u32 v0, vcc_lo, v11, s12
	s_wait_alu 0xfffd
	v_subrev_co_ci_u32_e64 v1, null, 0, v12, vcc_lo
	s_delay_alu instid0(VALU_DEP_2) | instskip(SKIP_1) | instid1(VALU_DEP_2)
	v_add_co_u32 v2, vcc_lo, v0, v23
	s_wait_alu 0xfffd
	v_add_co_ci_u32_e64 v3, null, 0, v1, vcc_lo
	s_delay_alu instid0(VALU_DEP_2) | instskip(SKIP_4) | instid1(VALU_DEP_3)
	v_mad_co_u64_u32 v[11:12], null, v2, 36, s[10:11]
	s_wait_loadcnt 0x0
	v_sub_co_u32 v13, vcc_lo, v9, s12
	s_wait_alu 0xfffd
	v_subrev_co_ci_u32_e64 v14, null, 0, v10, vcc_lo
	v_mov_b32_e32 v0, v12
	s_delay_alu instid0(VALU_DEP_2) | instskip(NEXT) | instid1(VALU_DEP_2)
	v_cmp_lt_i64_e64 s2, v[2:3], v[13:14]
	v_mad_co_u64_u32 v[0:1], null, v3, 36, v[0:1]
	s_delay_alu instid0(VALU_DEP_1)
	v_mov_b32_e32 v12, v0
	s_cbranch_scc1 .LBB157_19
; %bb.14:
	v_dual_mov_b32 v0, 0 :: v_dual_mov_b32 v9, 0
	v_mov_b32_e32 v15, 0
	v_dual_mov_b32 v1, 0 :: v_dual_mov_b32 v10, 0
	v_mov_b32_e32 v16, 0
	s_and_saveexec_b32 s6, s2
	s_cbranch_execz .LBB157_18
; %bb.15:
	v_lshlrev_b64_e32 v[9:10], 2, v[2:3]
	v_mov_b32_e32 v0, 0
	v_dual_mov_b32 v1, 0 :: v_dual_mov_b32 v18, v12
	v_dual_mov_b32 v17, v11 :: v_dual_mov_b32 v22, v3
	v_mov_b32_e32 v21, v2
	v_add_co_u32 v19, vcc_lo, s8, v9
	s_wait_alu 0xfffd
	v_add_co_ci_u32_e64 v20, null, s9, v10, vcc_lo
	v_mov_b32_e32 v9, 0
	v_dual_mov_b32 v10, 0 :: v_dual_mov_b32 v15, 0
	v_mov_b32_e32 v16, 0
	s_mov_b32 s7, 0
.LBB157_16:                             ; =>This Inner Loop Header: Depth=1
	global_load_b32 v32, v[19:20], off
	s_clause 0x1
	global_load_b128 v[24:27], v[17:18], off
	global_load_b128 v[28:31], v[17:18], off offset:16
	v_add_co_u32 v19, s3, v19, 64
	s_wait_alu 0xf1ff
	v_add_co_ci_u32_e64 v20, null, 0, v20, s3
	s_wait_loadcnt 0x2
	v_subrev_nc_u32_e32 v32, s12, v32
	s_wait_loadcnt 0x1
	v_cvt_f64_f32_e32 v[38:39], v24
	v_cvt_f64_f32_e32 v[40:41], v27
	s_wait_loadcnt 0x0
	v_cvt_f64_f32_e32 v[42:43], v30
	v_cvt_f64_f32_e32 v[24:25], v25
	v_lshl_add_u32 v32, v32, 1, v32
	v_cvt_f64_f32_e32 v[27:28], v28
	v_cvt_f64_f32_e32 v[30:31], v31
	s_delay_alu instid0(VALU_DEP_3) | instskip(NEXT) | instid1(VALU_DEP_1)
	v_ashrrev_i32_e32 v33, 31, v32
	v_lshlrev_b64_e32 v[32:33], 3, v[32:33]
	s_wait_kmcnt 0x0
	s_delay_alu instid0(VALU_DEP_1) | instskip(SKIP_1) | instid1(VALU_DEP_2)
	v_add_co_u32 v36, vcc_lo, s4, v32
	s_wait_alu 0xfffd
	v_add_co_ci_u32_e64 v37, null, s5, v33, vcc_lo
	v_add_co_u32 v21, vcc_lo, v21, 16
	s_wait_alu 0xfffd
	v_add_co_ci_u32_e64 v22, null, 0, v22, vcc_lo
	s_clause 0x1
	global_load_b128 v[32:35], v[36:37], off
	global_load_b64 v[36:37], v[36:37], off offset:16
	global_load_b32 v44, v[17:18], off offset:32
	v_add_co_u32 v17, vcc_lo, 0x240, v17
	s_wait_alu 0xfffd
	v_add_co_ci_u32_e64 v18, null, 0, v18, vcc_lo
	v_cmp_ge_i64_e32 vcc_lo, v[21:22], v[13:14]
	s_wait_alu 0xfffe
	s_or_b32 s7, vcc_lo, s7
	s_wait_loadcnt 0x2
	v_fma_f64 v[15:16], v[38:39], v[32:33], v[15:16]
	v_fma_f64 v[9:10], v[40:41], v[32:33], v[9:10]
	;; [unrolled: 1-line block ×3, first 2 shown]
	v_cvt_f64_f32_e32 v[32:33], v26
	v_cvt_f64_f32_e32 v[38:39], v29
	s_wait_loadcnt 0x0
	v_cvt_f64_f32_e32 v[40:41], v44
	v_fma_f64 v[15:16], v[24:25], v[34:35], v[15:16]
	v_fma_f64 v[9:10], v[27:28], v[34:35], v[9:10]
	;; [unrolled: 1-line block ×3, first 2 shown]
	s_delay_alu instid0(VALU_DEP_3) | instskip(NEXT) | instid1(VALU_DEP_3)
	v_fma_f64 v[15:16], v[32:33], v[36:37], v[15:16]
	v_fma_f64 v[9:10], v[38:39], v[36:37], v[9:10]
	s_delay_alu instid0(VALU_DEP_3)
	v_fma_f64 v[0:1], v[40:41], v[36:37], v[0:1]
	s_wait_alu 0xfffe
	s_and_not1_b32 exec_lo, exec_lo, s7
	s_cbranch_execnz .LBB157_16
; %bb.17:
	s_or_b32 exec_lo, exec_lo, s7
.LBB157_18:
	s_wait_alu 0xfffe
	s_or_b32 exec_lo, exec_lo, s6
	s_cbranch_execz .LBB157_20
	s_branch .LBB157_25
.LBB157_19:
                                        ; implicit-def: $vgpr0_vgpr1
                                        ; implicit-def: $vgpr9_vgpr10
                                        ; implicit-def: $vgpr15_vgpr16
.LBB157_20:
	v_dual_mov_b32 v0, 0 :: v_dual_mov_b32 v9, 0
	v_mov_b32_e32 v15, 0
	v_dual_mov_b32 v1, 0 :: v_dual_mov_b32 v10, 0
	v_mov_b32_e32 v16, 0
	s_and_saveexec_b32 s3, s2
	s_cbranch_execz .LBB157_24
; %bb.21:
	v_lshlrev_b64_e32 v[17:18], 2, v[2:3]
	v_dual_mov_b32 v0, 0 :: v_dual_mov_b32 v9, 0
	v_mov_b32_e32 v15, 0
	v_dual_mov_b32 v1, 0 :: v_dual_mov_b32 v10, 0
	s_delay_alu instid0(VALU_DEP_4)
	v_add_co_u32 v17, vcc_lo, s8, v17
	v_mov_b32_e32 v16, 0
	s_wait_alu 0xfffd
	v_add_co_ci_u32_e64 v18, null, s9, v18, vcc_lo
	s_mov_b32 s6, 0
.LBB157_22:                             ; =>This Inner Loop Header: Depth=1
	global_load_b32 v28, v[17:18], off
	s_clause 0x1
	global_load_b128 v[19:22], v[11:12], off
	global_load_b128 v[24:27], v[11:12], off offset:16
	v_add_co_u32 v17, s2, v17, 64
	s_wait_alu 0xf1ff
	v_add_co_ci_u32_e64 v18, null, 0, v18, s2
	s_wait_loadcnt 0x2
	v_subrev_nc_u32_e32 v28, s12, v28
	s_wait_loadcnt 0x1
	v_cvt_f64_f32_e32 v[34:35], v19
	v_cvt_f64_f32_e32 v[19:20], v20
	;; [unrolled: 1-line block ×4, first 2 shown]
	v_lshl_add_u32 v28, v28, 1, v28
	s_wait_loadcnt 0x0
	v_cvt_f64_f32_e32 v[38:39], v24
	v_cvt_f64_f32_e32 v[24:25], v25
	s_delay_alu instid0(VALU_DEP_3) | instskip(NEXT) | instid1(VALU_DEP_1)
	v_ashrrev_i32_e32 v29, 31, v28
	v_lshlrev_b64_e32 v[28:29], 3, v[28:29]
	s_wait_kmcnt 0x0
	s_delay_alu instid0(VALU_DEP_1) | instskip(SKIP_1) | instid1(VALU_DEP_2)
	v_add_co_u32 v32, vcc_lo, s4, v28
	s_wait_alu 0xfffd
	v_add_co_ci_u32_e64 v33, null, s5, v29, vcc_lo
	v_add_co_u32 v2, vcc_lo, v2, 16
	s_wait_alu 0xfffd
	v_add_co_ci_u32_e64 v3, null, 0, v3, vcc_lo
	s_clause 0x1
	global_load_b128 v[28:31], v[32:33], off
	global_load_b64 v[32:33], v[32:33], off offset:16
	global_load_b32 v40, v[11:12], off offset:32
	v_add_co_u32 v11, vcc_lo, 0x240, v11
	s_wait_alu 0xfffd
	v_add_co_ci_u32_e64 v12, null, 0, v12, vcc_lo
	v_cmp_ge_i64_e32 vcc_lo, v[2:3], v[13:14]
	s_wait_alu 0xfffe
	s_or_b32 s6, vcc_lo, s6
	s_wait_loadcnt 0x2
	v_fma_f64 v[15:16], v[34:35], v[28:29], v[15:16]
	v_fma_f64 v[9:10], v[19:20], v[28:29], v[9:10]
	v_fma_f64 v[0:1], v[36:37], v[28:29], v[0:1]
	v_cvt_f64_f32_e32 v[19:20], v26
	v_cvt_f64_f32_e32 v[26:27], v27
	s_wait_loadcnt 0x0
	v_cvt_f64_f32_e32 v[28:29], v40
	v_fma_f64 v[15:16], v[21:22], v[30:31], v[15:16]
	v_fma_f64 v[9:10], v[38:39], v[30:31], v[9:10]
	;; [unrolled: 1-line block ×3, first 2 shown]
	s_delay_alu instid0(VALU_DEP_3) | instskip(NEXT) | instid1(VALU_DEP_3)
	v_fma_f64 v[15:16], v[19:20], v[32:33], v[15:16]
	v_fma_f64 v[9:10], v[26:27], v[32:33], v[9:10]
	s_delay_alu instid0(VALU_DEP_3)
	v_fma_f64 v[0:1], v[28:29], v[32:33], v[0:1]
	s_wait_alu 0xfffe
	s_and_not1_b32 exec_lo, exec_lo, s6
	s_cbranch_execnz .LBB157_22
; %bb.23:
	s_or_b32 exec_lo, exec_lo, s6
.LBB157_24:
	s_wait_alu 0xfffe
	s_or_b32 exec_lo, exec_lo, s3
.LBB157_25:
	v_mbcnt_lo_u32_b32 v19, -1, 0
	s_delay_alu instid0(VALU_DEP_1) | instskip(NEXT) | instid1(VALU_DEP_1)
	v_xor_b32_e32 v2, 8, v19
	v_cmp_gt_i32_e32 vcc_lo, 32, v2
	s_wait_alu 0xfffd
	v_cndmask_b32_e32 v2, v19, v2, vcc_lo
	s_delay_alu instid0(VALU_DEP_1)
	v_lshlrev_b32_e32 v14, 2, v2
	ds_bpermute_b32 v11, v14, v9
	ds_bpermute_b32 v12, v14, v10
	s_wait_dscnt 0x0
	v_add_f64_e32 v[9:10], v[9:10], v[11:12]
	v_xor_b32_e32 v11, 4, v19
	s_delay_alu instid0(VALU_DEP_1)
	v_cmp_gt_i32_e32 vcc_lo, 32, v11
	s_wait_alu 0xfffd
	v_cndmask_b32_e32 v11, v19, v11, vcc_lo
	ds_bpermute_b32 v2, v14, v15
	ds_bpermute_b32 v3, v14, v16
	;; [unrolled: 1-line block ×4, first 2 shown]
	s_wait_dscnt 0x2
	v_add_f64_e32 v[2:3], v[15:16], v[2:3]
	v_lshlrev_b32_e32 v16, 2, v11
	s_wait_dscnt 0x0
	v_add_f64_e32 v[0:1], v[0:1], v[13:14]
	ds_bpermute_b32 v13, v16, v9
	ds_bpermute_b32 v14, v16, v10
	;; [unrolled: 1-line block ×6, first 2 shown]
	s_wait_dscnt 0x2
	v_add_f64_e32 v[2:3], v[2:3], v[11:12]
	v_add_f64_e32 v[11:12], v[9:10], v[13:14]
	s_wait_dscnt 0x0
	v_add_f64_e32 v[13:14], v[0:1], v[15:16]
	v_xor_b32_e32 v0, 2, v19
	s_delay_alu instid0(VALU_DEP_1) | instskip(SKIP_2) | instid1(VALU_DEP_1)
	v_cmp_gt_i32_e32 vcc_lo, 32, v0
	s_wait_alu 0xfffd
	v_cndmask_b32_e32 v0, v19, v0, vcc_lo
	v_lshlrev_b32_e32 v9, 2, v0
	ds_bpermute_b32 v0, v9, v2
	ds_bpermute_b32 v1, v9, v3
	;; [unrolled: 1-line block ×6, first 2 shown]
	s_wait_dscnt 0x4
	v_add_f64_e32 v[9:10], v[2:3], v[0:1]
	s_wait_dscnt 0x2
	v_add_f64_e32 v[0:1], v[11:12], v[15:16]
	v_xor_b32_e32 v11, 1, v19
	s_wait_dscnt 0x0
	v_add_f64_e32 v[2:3], v[13:14], v[17:18]
	s_delay_alu instid0(VALU_DEP_2) | instskip(SKIP_3) | instid1(VALU_DEP_2)
	v_cmp_gt_i32_e32 vcc_lo, 32, v11
	s_wait_alu 0xfffd
	v_cndmask_b32_e32 v11, v19, v11, vcc_lo
	v_cmp_eq_u32_e32 vcc_lo, 15, v23
	v_lshlrev_b32_e32 v12, 2, v11
	ds_bpermute_b32 v15, v12, v9
	ds_bpermute_b32 v16, v12, v10
	;; [unrolled: 1-line block ×6, first 2 shown]
	s_and_b32 exec_lo, exec_lo, vcc_lo
	s_cbranch_execz .LBB157_10
; %bb.26:
	s_wait_dscnt 0x4
	v_add_f64_e32 v[9:10], v[9:10], v[15:16]
	s_wait_dscnt 0x2
	v_add_f64_e32 v[13:14], v[0:1], v[13:14]
	;; [unrolled: 2-line block ×3, first 2 shown]
	s_load_b64 s[0:1], s[0:1], 0x50
	v_lshl_add_u32 v8, v8, 1, v8
	s_mov_b32 s2, exec_lo
	s_delay_alu instid0(VALU_DEP_4) | instskip(NEXT) | instid1(VALU_DEP_4)
	v_mul_f64_e32 v[0:1], v[6:7], v[9:10]
	v_mul_f64_e32 v[2:3], v[6:7], v[13:14]
	s_delay_alu instid0(VALU_DEP_4)
	v_mul_f64_e32 v[6:7], v[6:7], v[11:12]
	v_ashrrev_i32_e32 v9, 31, v8
	v_cmpx_eq_f64_e32 0, v[4:5]
	s_wait_alu 0xfffe
	s_xor_b32 s2, exec_lo, s2
	s_cbranch_execz .LBB157_28
; %bb.27:
	v_lshlrev_b64_e32 v[4:5], 3, v[8:9]
                                        ; implicit-def: $vgpr8
	s_wait_kmcnt 0x0
	s_delay_alu instid0(VALU_DEP_1) | instskip(SKIP_1) | instid1(VALU_DEP_2)
	v_add_co_u32 v4, vcc_lo, s0, v4
	s_wait_alu 0xfffd
	v_add_co_ci_u32_e64 v5, null, s1, v5, vcc_lo
	s_clause 0x1
	global_store_b128 v[4:5], v[0:3], off
	global_store_b64 v[4:5], v[6:7], off offset:16
                                        ; implicit-def: $vgpr4_vgpr5
                                        ; implicit-def: $vgpr0_vgpr1
                                        ; implicit-def: $vgpr6_vgpr7
.LBB157_28:
	s_wait_alu 0xfffe
	s_and_not1_saveexec_b32 s2, s2
	s_cbranch_execz .LBB157_10
; %bb.29:
	v_lshlrev_b64_e32 v[8:9], 3, v[8:9]
	s_wait_kmcnt 0x0
	s_delay_alu instid0(VALU_DEP_1) | instskip(SKIP_1) | instid1(VALU_DEP_2)
	v_add_co_u32 v12, vcc_lo, s0, v8
	s_wait_alu 0xfffd
	v_add_co_ci_u32_e64 v13, null, s1, v9, vcc_lo
	s_clause 0x1
	global_load_b128 v[8:11], v[12:13], off
	global_load_b64 v[14:15], v[12:13], off offset:16
	s_wait_loadcnt 0x1
	v_fma_f64 v[0:1], v[4:5], v[8:9], v[0:1]
	v_fma_f64 v[2:3], v[4:5], v[10:11], v[2:3]
	s_wait_loadcnt 0x0
	v_fma_f64 v[4:5], v[4:5], v[14:15], v[6:7]
	s_clause 0x1
	global_store_b128 v[12:13], v[0:3], off
	global_store_b64 v[12:13], v[4:5], off offset:16
	s_endpgm
	.section	.rodata,"a",@progbits
	.p2align	6, 0x0
	.amdhsa_kernel _ZN9rocsparseL18bsrxmvn_3x3_kernelILj256ELj16EdlifddEEvT3_20rocsparse_direction_NS_24const_host_device_scalarIT1_EES1_PKS1_PKT2_SA_S7_PKT4_PKT5_S5_PT6_21rocsparse_index_base_b
		.amdhsa_group_segment_fixed_size 0
		.amdhsa_private_segment_fixed_size 0
		.amdhsa_kernarg_size 96
		.amdhsa_user_sgpr_count 2
		.amdhsa_user_sgpr_dispatch_ptr 0
		.amdhsa_user_sgpr_queue_ptr 0
		.amdhsa_user_sgpr_kernarg_segment_ptr 1
		.amdhsa_user_sgpr_dispatch_id 0
		.amdhsa_user_sgpr_private_segment_size 0
		.amdhsa_wavefront_size32 1
		.amdhsa_uses_dynamic_stack 0
		.amdhsa_enable_private_segment 0
		.amdhsa_system_sgpr_workgroup_id_x 1
		.amdhsa_system_sgpr_workgroup_id_y 0
		.amdhsa_system_sgpr_workgroup_id_z 0
		.amdhsa_system_sgpr_workgroup_info 0
		.amdhsa_system_vgpr_workitem_id 0
		.amdhsa_next_free_vgpr 45
		.amdhsa_next_free_sgpr 14
		.amdhsa_reserve_vcc 1
		.amdhsa_float_round_mode_32 0
		.amdhsa_float_round_mode_16_64 0
		.amdhsa_float_denorm_mode_32 3
		.amdhsa_float_denorm_mode_16_64 3
		.amdhsa_fp16_overflow 0
		.amdhsa_workgroup_processor_mode 1
		.amdhsa_memory_ordered 1
		.amdhsa_forward_progress 1
		.amdhsa_inst_pref_size 18
		.amdhsa_round_robin_scheduling 0
		.amdhsa_exception_fp_ieee_invalid_op 0
		.amdhsa_exception_fp_denorm_src 0
		.amdhsa_exception_fp_ieee_div_zero 0
		.amdhsa_exception_fp_ieee_overflow 0
		.amdhsa_exception_fp_ieee_underflow 0
		.amdhsa_exception_fp_ieee_inexact 0
		.amdhsa_exception_int_div_zero 0
	.end_amdhsa_kernel
	.section	.text._ZN9rocsparseL18bsrxmvn_3x3_kernelILj256ELj16EdlifddEEvT3_20rocsparse_direction_NS_24const_host_device_scalarIT1_EES1_PKS1_PKT2_SA_S7_PKT4_PKT5_S5_PT6_21rocsparse_index_base_b,"axG",@progbits,_ZN9rocsparseL18bsrxmvn_3x3_kernelILj256ELj16EdlifddEEvT3_20rocsparse_direction_NS_24const_host_device_scalarIT1_EES1_PKS1_PKT2_SA_S7_PKT4_PKT5_S5_PT6_21rocsparse_index_base_b,comdat
.Lfunc_end157:
	.size	_ZN9rocsparseL18bsrxmvn_3x3_kernelILj256ELj16EdlifddEEvT3_20rocsparse_direction_NS_24const_host_device_scalarIT1_EES1_PKS1_PKT2_SA_S7_PKT4_PKT5_S5_PT6_21rocsparse_index_base_b, .Lfunc_end157-_ZN9rocsparseL18bsrxmvn_3x3_kernelILj256ELj16EdlifddEEvT3_20rocsparse_direction_NS_24const_host_device_scalarIT1_EES1_PKS1_PKT2_SA_S7_PKT4_PKT5_S5_PT6_21rocsparse_index_base_b
                                        ; -- End function
	.set _ZN9rocsparseL18bsrxmvn_3x3_kernelILj256ELj16EdlifddEEvT3_20rocsparse_direction_NS_24const_host_device_scalarIT1_EES1_PKS1_PKT2_SA_S7_PKT4_PKT5_S5_PT6_21rocsparse_index_base_b.num_vgpr, 45
	.set _ZN9rocsparseL18bsrxmvn_3x3_kernelILj256ELj16EdlifddEEvT3_20rocsparse_direction_NS_24const_host_device_scalarIT1_EES1_PKS1_PKT2_SA_S7_PKT4_PKT5_S5_PT6_21rocsparse_index_base_b.num_agpr, 0
	.set _ZN9rocsparseL18bsrxmvn_3x3_kernelILj256ELj16EdlifddEEvT3_20rocsparse_direction_NS_24const_host_device_scalarIT1_EES1_PKS1_PKT2_SA_S7_PKT4_PKT5_S5_PT6_21rocsparse_index_base_b.numbered_sgpr, 14
	.set _ZN9rocsparseL18bsrxmvn_3x3_kernelILj256ELj16EdlifddEEvT3_20rocsparse_direction_NS_24const_host_device_scalarIT1_EES1_PKS1_PKT2_SA_S7_PKT4_PKT5_S5_PT6_21rocsparse_index_base_b.num_named_barrier, 0
	.set _ZN9rocsparseL18bsrxmvn_3x3_kernelILj256ELj16EdlifddEEvT3_20rocsparse_direction_NS_24const_host_device_scalarIT1_EES1_PKS1_PKT2_SA_S7_PKT4_PKT5_S5_PT6_21rocsparse_index_base_b.private_seg_size, 0
	.set _ZN9rocsparseL18bsrxmvn_3x3_kernelILj256ELj16EdlifddEEvT3_20rocsparse_direction_NS_24const_host_device_scalarIT1_EES1_PKS1_PKT2_SA_S7_PKT4_PKT5_S5_PT6_21rocsparse_index_base_b.uses_vcc, 1
	.set _ZN9rocsparseL18bsrxmvn_3x3_kernelILj256ELj16EdlifddEEvT3_20rocsparse_direction_NS_24const_host_device_scalarIT1_EES1_PKS1_PKT2_SA_S7_PKT4_PKT5_S5_PT6_21rocsparse_index_base_b.uses_flat_scratch, 0
	.set _ZN9rocsparseL18bsrxmvn_3x3_kernelILj256ELj16EdlifddEEvT3_20rocsparse_direction_NS_24const_host_device_scalarIT1_EES1_PKS1_PKT2_SA_S7_PKT4_PKT5_S5_PT6_21rocsparse_index_base_b.has_dyn_sized_stack, 0
	.set _ZN9rocsparseL18bsrxmvn_3x3_kernelILj256ELj16EdlifddEEvT3_20rocsparse_direction_NS_24const_host_device_scalarIT1_EES1_PKS1_PKT2_SA_S7_PKT4_PKT5_S5_PT6_21rocsparse_index_base_b.has_recursion, 0
	.set _ZN9rocsparseL18bsrxmvn_3x3_kernelILj256ELj16EdlifddEEvT3_20rocsparse_direction_NS_24const_host_device_scalarIT1_EES1_PKS1_PKT2_SA_S7_PKT4_PKT5_S5_PT6_21rocsparse_index_base_b.has_indirect_call, 0
	.section	.AMDGPU.csdata,"",@progbits
; Kernel info:
; codeLenInByte = 2232
; TotalNumSgprs: 16
; NumVgprs: 45
; ScratchSize: 0
; MemoryBound: 0
; FloatMode: 240
; IeeeMode: 1
; LDSByteSize: 0 bytes/workgroup (compile time only)
; SGPRBlocks: 0
; VGPRBlocks: 5
; NumSGPRsForWavesPerEU: 16
; NumVGPRsForWavesPerEU: 45
; Occupancy: 16
; WaveLimiterHint : 1
; COMPUTE_PGM_RSRC2:SCRATCH_EN: 0
; COMPUTE_PGM_RSRC2:USER_SGPR: 2
; COMPUTE_PGM_RSRC2:TRAP_HANDLER: 0
; COMPUTE_PGM_RSRC2:TGID_X_EN: 1
; COMPUTE_PGM_RSRC2:TGID_Y_EN: 0
; COMPUTE_PGM_RSRC2:TGID_Z_EN: 0
; COMPUTE_PGM_RSRC2:TIDIG_COMP_CNT: 0
	.section	.text._ZN9rocsparseL18bsrxmvn_3x3_kernelILj256ELj32EdlifddEEvT3_20rocsparse_direction_NS_24const_host_device_scalarIT1_EES1_PKS1_PKT2_SA_S7_PKT4_PKT5_S5_PT6_21rocsparse_index_base_b,"axG",@progbits,_ZN9rocsparseL18bsrxmvn_3x3_kernelILj256ELj32EdlifddEEvT3_20rocsparse_direction_NS_24const_host_device_scalarIT1_EES1_PKS1_PKT2_SA_S7_PKT4_PKT5_S5_PT6_21rocsparse_index_base_b,comdat
	.globl	_ZN9rocsparseL18bsrxmvn_3x3_kernelILj256ELj32EdlifddEEvT3_20rocsparse_direction_NS_24const_host_device_scalarIT1_EES1_PKS1_PKT2_SA_S7_PKT4_PKT5_S5_PT6_21rocsparse_index_base_b ; -- Begin function _ZN9rocsparseL18bsrxmvn_3x3_kernelILj256ELj32EdlifddEEvT3_20rocsparse_direction_NS_24const_host_device_scalarIT1_EES1_PKS1_PKT2_SA_S7_PKT4_PKT5_S5_PT6_21rocsparse_index_base_b
	.p2align	8
	.type	_ZN9rocsparseL18bsrxmvn_3x3_kernelILj256ELj32EdlifddEEvT3_20rocsparse_direction_NS_24const_host_device_scalarIT1_EES1_PKS1_PKT2_SA_S7_PKT4_PKT5_S5_PT6_21rocsparse_index_base_b,@function
_ZN9rocsparseL18bsrxmvn_3x3_kernelILj256ELj32EdlifddEEvT3_20rocsparse_direction_NS_24const_host_device_scalarIT1_EES1_PKS1_PKT2_SA_S7_PKT4_PKT5_S5_PT6_21rocsparse_index_base_b: ; @_ZN9rocsparseL18bsrxmvn_3x3_kernelILj256ELj32EdlifddEEvT3_20rocsparse_direction_NS_24const_host_device_scalarIT1_EES1_PKS1_PKT2_SA_S7_PKT4_PKT5_S5_PT6_21rocsparse_index_base_b
; %bb.0:
	s_clause 0x2
	s_load_b64 s[12:13], s[0:1], 0x58
	s_load_b64 s[4:5], s[0:1], 0x8
	;; [unrolled: 1-line block ×3, first 2 shown]
	s_wait_kmcnt 0x0
	s_bitcmp1_b32 s13, 0
	v_dual_mov_b32 v7, s5 :: v_dual_mov_b32 v6, s4
	s_cselect_b32 s6, -1, 0
	s_delay_alu instid0(SALU_CYCLE_1)
	s_and_b32 vcc_lo, exec_lo, s6
	s_xor_b32 s6, s6, -1
	s_cbranch_vccnz .LBB158_2
; %bb.1:
	v_dual_mov_b32 v1, s4 :: v_dual_mov_b32 v2, s5
	flat_load_b64 v[6:7], v[1:2]
.LBB158_2:
	v_dual_mov_b32 v5, s3 :: v_dual_mov_b32 v4, s2
	s_and_not1_b32 vcc_lo, exec_lo, s6
	s_cbranch_vccnz .LBB158_4
; %bb.3:
	v_dual_mov_b32 v1, s2 :: v_dual_mov_b32 v2, s3
	flat_load_b64 v[4:5], v[1:2]
.LBB158_4:
	s_wait_loadcnt_dscnt 0x0
	v_cmp_neq_f64_e32 vcc_lo, 0, v[6:7]
	v_cmp_neq_f64_e64 s2, 1.0, v[4:5]
	s_or_b32 s2, vcc_lo, s2
	s_wait_alu 0xfffe
	s_and_saveexec_b32 s3, s2
	s_cbranch_execz .LBB158_10
; %bb.5:
	s_clause 0x1
	s_load_b64 s[4:5], s[0:1], 0x18
	s_load_b64 s[2:3], s[0:1], 0x0
	v_lshrrev_b32_e32 v1, 5, v0
	s_delay_alu instid0(VALU_DEP_1)
	v_lshl_or_b32 v8, ttmp9, 3, v1
	s_wait_kmcnt 0x0
	s_cmp_lg_u64 s[4:5], 0
	s_cbranch_scc0 .LBB158_11
; %bb.6:
	s_load_b32 s6, s[0:1], 0x10
	s_mov_b32 s7, 0
                                        ; implicit-def: $vgpr1
	s_wait_kmcnt 0x0
	v_cmp_gt_i32_e32 vcc_lo, s6, v8
	s_mov_b32 s6, 0
	s_and_saveexec_b32 s8, vcc_lo
	s_delay_alu instid0(SALU_CYCLE_1)
	s_xor_b32 s8, exec_lo, s8
	s_cbranch_execz .LBB158_8
; %bb.7:
	v_ashrrev_i32_e32 v9, 31, v8
	s_mov_b32 s6, exec_lo
	s_delay_alu instid0(VALU_DEP_1) | instskip(NEXT) | instid1(VALU_DEP_1)
	v_lshlrev_b64_e32 v[1:2], 2, v[8:9]
	v_add_co_u32 v1, vcc_lo, s4, v1
	s_delay_alu instid0(VALU_DEP_1)
	v_add_co_ci_u32_e64 v2, null, s5, v2, vcc_lo
	global_load_b32 v1, v[1:2], off
	s_wait_loadcnt 0x0
	v_subrev_nc_u32_e32 v1, s12, v1
.LBB158_8:
	s_or_b32 exec_lo, exec_lo, s8
	s_delay_alu instid0(SALU_CYCLE_1)
	s_and_b32 vcc_lo, exec_lo, s7
	s_wait_alu 0xfffe
	s_cbranch_vccz .LBB158_12
.LBB158_9:
	v_cmp_gt_i32_e32 vcc_lo, s2, v8
	s_and_not1_b32 s2, s6, exec_lo
	s_and_b32 s4, vcc_lo, exec_lo
	s_wait_alu 0xfffe
	s_or_b32 s6, s2, s4
	s_wait_alu 0xfffe
	s_and_b32 exec_lo, exec_lo, s6
	s_cbranch_execnz .LBB158_13
.LBB158_10:
	s_endpgm
.LBB158_11:
	s_mov_b32 s6, 0
                                        ; implicit-def: $vgpr1
	s_cbranch_execnz .LBB158_9
.LBB158_12:
	v_mov_b32_e32 v8, v1
	s_and_b32 exec_lo, exec_lo, s6
	s_cbranch_execz .LBB158_10
.LBB158_13:
	s_load_b256 s[4:11], s[0:1], 0x20
	s_delay_alu instid0(VALU_DEP_1) | instskip(SKIP_1) | instid1(VALU_DEP_2)
	v_ashrrev_i32_e32 v9, 31, v8
	v_and_b32_e32 v23, 31, v0
	v_lshlrev_b64_e32 v[1:2], 3, v[8:9]
	s_wait_kmcnt 0x0
	s_delay_alu instid0(VALU_DEP_1) | instskip(SKIP_1) | instid1(VALU_DEP_2)
	v_add_co_u32 v9, vcc_lo, s4, v1
	s_wait_alu 0xfffd
	v_add_co_ci_u32_e64 v10, null, s5, v2, vcc_lo
	v_add_co_u32 v1, vcc_lo, s6, v1
	s_wait_alu 0xfffd
	v_add_co_ci_u32_e64 v2, null, s7, v2, vcc_lo
	global_load_b64 v[11:12], v[9:10], off
	v_add_co_u32 v3, vcc_lo, v9, 8
	s_wait_alu 0xfffd
	v_add_co_ci_u32_e64 v9, null, 0, v10, vcc_lo
	s_cmp_eq_u64 s[6:7], 0
	s_load_b64 s[4:5], s[0:1], 0x40
	s_cselect_b32 vcc_lo, -1, 0
	s_cmp_eq_u32 s3, 1
	s_wait_alu 0xfffe
	v_dual_cndmask_b32 v2, v2, v9 :: v_dual_cndmask_b32 v1, v1, v3
	global_load_b64 v[1:2], v[1:2], off
	s_wait_loadcnt 0x1
	v_sub_co_u32 v0, vcc_lo, v11, s12
	s_wait_alu 0xfffd
	v_subrev_co_ci_u32_e64 v3, null, 0, v12, vcc_lo
	s_delay_alu instid0(VALU_DEP_2) | instskip(SKIP_1) | instid1(VALU_DEP_2)
	v_add_co_u32 v11, vcc_lo, v0, v23
	s_wait_alu 0xfffd
	v_add_co_ci_u32_e64 v12, null, 0, v3, vcc_lo
	s_delay_alu instid0(VALU_DEP_2) | instskip(SKIP_4) | instid1(VALU_DEP_3)
	v_mad_co_u64_u32 v[13:14], null, v11, 36, s[10:11]
	s_wait_loadcnt 0x0
	v_sub_co_u32 v15, vcc_lo, v1, s12
	s_wait_alu 0xfffd
	v_subrev_co_ci_u32_e64 v16, null, 0, v2, vcc_lo
	v_mov_b32_e32 v0, v14
	s_delay_alu instid0(VALU_DEP_2) | instskip(NEXT) | instid1(VALU_DEP_2)
	v_cmp_lt_i64_e64 s2, v[11:12], v[15:16]
	v_mad_co_u64_u32 v[9:10], null, v12, 36, v[0:1]
	s_delay_alu instid0(VALU_DEP_1)
	v_mov_b32_e32 v14, v9
	s_cbranch_scc1 .LBB158_19
; %bb.14:
	v_mov_b32_e32 v0, 0
	v_dual_mov_b32 v1, 0 :: v_dual_mov_b32 v2, 0
	v_mov_b32_e32 v9, 0
	v_dual_mov_b32 v3, 0 :: v_dual_mov_b32 v10, 0
	s_and_saveexec_b32 s6, s2
	s_cbranch_execz .LBB158_18
; %bb.15:
	v_lshlrev_b64_e32 v[2:3], 2, v[11:12]
	v_mov_b32_e32 v0, 0
	v_dual_mov_b32 v1, 0 :: v_dual_mov_b32 v18, v14
	v_dual_mov_b32 v17, v13 :: v_dual_mov_b32 v22, v12
	v_mov_b32_e32 v21, v11
	v_add_co_u32 v19, vcc_lo, s8, v2
	s_wait_alu 0xfffd
	v_add_co_ci_u32_e64 v20, null, s9, v3, vcc_lo
	v_dual_mov_b32 v2, 0 :: v_dual_mov_b32 v9, 0
	v_dual_mov_b32 v3, 0 :: v_dual_mov_b32 v10, 0
	s_mov_b32 s7, 0
.LBB158_16:                             ; =>This Inner Loop Header: Depth=1
	global_load_b32 v32, v[19:20], off
	s_clause 0x1
	global_load_b128 v[24:27], v[17:18], off
	global_load_b128 v[28:31], v[17:18], off offset:16
	v_add_co_u32 v19, s3, 0x80, v19
	s_wait_alu 0xf1ff
	v_add_co_ci_u32_e64 v20, null, 0, v20, s3
	s_wait_loadcnt 0x2
	v_subrev_nc_u32_e32 v32, s12, v32
	s_wait_loadcnt 0x1
	v_cvt_f64_f32_e32 v[38:39], v24
	v_cvt_f64_f32_e32 v[40:41], v27
	s_wait_loadcnt 0x0
	v_cvt_f64_f32_e32 v[42:43], v30
	v_cvt_f64_f32_e32 v[24:25], v25
	v_lshl_add_u32 v32, v32, 1, v32
	v_cvt_f64_f32_e32 v[27:28], v28
	v_cvt_f64_f32_e32 v[30:31], v31
	s_delay_alu instid0(VALU_DEP_3) | instskip(NEXT) | instid1(VALU_DEP_1)
	v_ashrrev_i32_e32 v33, 31, v32
	v_lshlrev_b64_e32 v[32:33], 3, v[32:33]
	s_wait_kmcnt 0x0
	s_delay_alu instid0(VALU_DEP_1) | instskip(SKIP_1) | instid1(VALU_DEP_2)
	v_add_co_u32 v36, vcc_lo, s4, v32
	s_wait_alu 0xfffd
	v_add_co_ci_u32_e64 v37, null, s5, v33, vcc_lo
	v_add_co_u32 v21, vcc_lo, v21, 32
	s_wait_alu 0xfffd
	v_add_co_ci_u32_e64 v22, null, 0, v22, vcc_lo
	s_clause 0x1
	global_load_b128 v[32:35], v[36:37], off
	global_load_b64 v[36:37], v[36:37], off offset:16
	global_load_b32 v44, v[17:18], off offset:32
	v_add_co_u32 v17, vcc_lo, 0x480, v17
	s_wait_alu 0xfffd
	v_add_co_ci_u32_e64 v18, null, 0, v18, vcc_lo
	v_cmp_ge_i64_e32 vcc_lo, v[21:22], v[15:16]
	s_wait_alu 0xfffe
	s_or_b32 s7, vcc_lo, s7
	s_wait_loadcnt 0x2
	v_fma_f64 v[9:10], v[38:39], v[32:33], v[9:10]
	v_fma_f64 v[2:3], v[40:41], v[32:33], v[2:3]
	;; [unrolled: 1-line block ×3, first 2 shown]
	v_cvt_f64_f32_e32 v[32:33], v26
	v_cvt_f64_f32_e32 v[38:39], v29
	s_wait_loadcnt 0x0
	v_cvt_f64_f32_e32 v[40:41], v44
	v_fma_f64 v[9:10], v[24:25], v[34:35], v[9:10]
	v_fma_f64 v[2:3], v[27:28], v[34:35], v[2:3]
	;; [unrolled: 1-line block ×3, first 2 shown]
	s_delay_alu instid0(VALU_DEP_3) | instskip(NEXT) | instid1(VALU_DEP_3)
	v_fma_f64 v[9:10], v[32:33], v[36:37], v[9:10]
	v_fma_f64 v[2:3], v[38:39], v[36:37], v[2:3]
	s_delay_alu instid0(VALU_DEP_3)
	v_fma_f64 v[0:1], v[40:41], v[36:37], v[0:1]
	s_wait_alu 0xfffe
	s_and_not1_b32 exec_lo, exec_lo, s7
	s_cbranch_execnz .LBB158_16
; %bb.17:
	s_or_b32 exec_lo, exec_lo, s7
.LBB158_18:
	s_wait_alu 0xfffe
	s_or_b32 exec_lo, exec_lo, s6
	s_cbranch_execz .LBB158_20
	s_branch .LBB158_25
.LBB158_19:
                                        ; implicit-def: $vgpr0_vgpr1
                                        ; implicit-def: $vgpr2_vgpr3
                                        ; implicit-def: $vgpr9_vgpr10
.LBB158_20:
	v_mov_b32_e32 v0, 0
	v_dual_mov_b32 v1, 0 :: v_dual_mov_b32 v2, 0
	v_mov_b32_e32 v9, 0
	v_dual_mov_b32 v3, 0 :: v_dual_mov_b32 v10, 0
	s_and_saveexec_b32 s3, s2
	s_cbranch_execz .LBB158_24
; %bb.21:
	v_lshlrev_b64_e32 v[17:18], 2, v[11:12]
	v_mov_b32_e32 v0, 0
	v_dual_mov_b32 v1, 0 :: v_dual_mov_b32 v2, 0
	v_mov_b32_e32 v9, 0
	v_mov_b32_e32 v3, 0
	v_add_co_u32 v17, vcc_lo, s8, v17
	v_mov_b32_e32 v10, 0
	s_wait_alu 0xfffd
	v_add_co_ci_u32_e64 v18, null, s9, v18, vcc_lo
	s_mov_b32 s6, 0
.LBB158_22:                             ; =>This Inner Loop Header: Depth=1
	global_load_b32 v28, v[17:18], off
	s_clause 0x1
	global_load_b128 v[19:22], v[13:14], off
	global_load_b128 v[24:27], v[13:14], off offset:16
	v_add_co_u32 v17, s2, 0x80, v17
	s_wait_alu 0xf1ff
	v_add_co_ci_u32_e64 v18, null, 0, v18, s2
	s_wait_loadcnt 0x2
	v_subrev_nc_u32_e32 v28, s12, v28
	s_wait_loadcnt 0x1
	v_cvt_f64_f32_e32 v[34:35], v19
	v_cvt_f64_f32_e32 v[19:20], v20
	;; [unrolled: 1-line block ×4, first 2 shown]
	v_lshl_add_u32 v28, v28, 1, v28
	s_wait_loadcnt 0x0
	v_cvt_f64_f32_e32 v[38:39], v24
	v_cvt_f64_f32_e32 v[24:25], v25
	s_delay_alu instid0(VALU_DEP_3) | instskip(NEXT) | instid1(VALU_DEP_1)
	v_ashrrev_i32_e32 v29, 31, v28
	v_lshlrev_b64_e32 v[28:29], 3, v[28:29]
	s_wait_kmcnt 0x0
	s_delay_alu instid0(VALU_DEP_1) | instskip(SKIP_1) | instid1(VALU_DEP_2)
	v_add_co_u32 v32, vcc_lo, s4, v28
	s_wait_alu 0xfffd
	v_add_co_ci_u32_e64 v33, null, s5, v29, vcc_lo
	v_add_co_u32 v11, vcc_lo, v11, 32
	s_wait_alu 0xfffd
	v_add_co_ci_u32_e64 v12, null, 0, v12, vcc_lo
	s_clause 0x1
	global_load_b128 v[28:31], v[32:33], off
	global_load_b64 v[32:33], v[32:33], off offset:16
	global_load_b32 v40, v[13:14], off offset:32
	v_add_co_u32 v13, vcc_lo, 0x480, v13
	s_wait_alu 0xfffd
	v_add_co_ci_u32_e64 v14, null, 0, v14, vcc_lo
	v_cmp_ge_i64_e32 vcc_lo, v[11:12], v[15:16]
	s_wait_alu 0xfffe
	s_or_b32 s6, vcc_lo, s6
	s_wait_loadcnt 0x2
	v_fma_f64 v[9:10], v[34:35], v[28:29], v[9:10]
	v_fma_f64 v[2:3], v[19:20], v[28:29], v[2:3]
	;; [unrolled: 1-line block ×3, first 2 shown]
	v_cvt_f64_f32_e32 v[19:20], v26
	v_cvt_f64_f32_e32 v[26:27], v27
	s_wait_loadcnt 0x0
	v_cvt_f64_f32_e32 v[28:29], v40
	v_fma_f64 v[9:10], v[21:22], v[30:31], v[9:10]
	v_fma_f64 v[2:3], v[38:39], v[30:31], v[2:3]
	;; [unrolled: 1-line block ×3, first 2 shown]
	s_delay_alu instid0(VALU_DEP_3) | instskip(NEXT) | instid1(VALU_DEP_3)
	v_fma_f64 v[9:10], v[19:20], v[32:33], v[9:10]
	v_fma_f64 v[2:3], v[26:27], v[32:33], v[2:3]
	s_delay_alu instid0(VALU_DEP_3)
	v_fma_f64 v[0:1], v[28:29], v[32:33], v[0:1]
	s_wait_alu 0xfffe
	s_and_not1_b32 exec_lo, exec_lo, s6
	s_cbranch_execnz .LBB158_22
; %bb.23:
	s_or_b32 exec_lo, exec_lo, s6
.LBB158_24:
	s_wait_alu 0xfffe
	s_or_b32 exec_lo, exec_lo, s3
.LBB158_25:
	v_mbcnt_lo_u32_b32 v17, -1, 0
	s_delay_alu instid0(VALU_DEP_1) | instskip(NEXT) | instid1(VALU_DEP_1)
	v_xor_b32_e32 v11, 16, v17
	v_cmp_gt_i32_e32 vcc_lo, 32, v11
	s_wait_alu 0xfffd
	v_cndmask_b32_e32 v11, v17, v11, vcc_lo
	s_delay_alu instid0(VALU_DEP_1)
	v_lshlrev_b32_e32 v16, 2, v11
	ds_bpermute_b32 v11, v16, v9
	ds_bpermute_b32 v12, v16, v10
	;; [unrolled: 1-line block ×6, first 2 shown]
	s_wait_dscnt 0x4
	v_add_f64_e32 v[9:10], v[9:10], v[11:12]
	v_xor_b32_e32 v11, 8, v17
	s_wait_dscnt 0x2
	v_add_f64_e32 v[2:3], v[2:3], v[13:14]
	s_wait_dscnt 0x0
	v_add_f64_e32 v[0:1], v[0:1], v[15:16]
	v_cmp_gt_i32_e32 vcc_lo, 32, v11
	s_wait_alu 0xfffd
	v_cndmask_b32_e32 v11, v17, v11, vcc_lo
	s_delay_alu instid0(VALU_DEP_1)
	v_lshlrev_b32_e32 v16, 2, v11
	ds_bpermute_b32 v11, v16, v9
	ds_bpermute_b32 v12, v16, v10
	;; [unrolled: 1-line block ×6, first 2 shown]
	s_wait_dscnt 0x4
	v_add_f64_e32 v[9:10], v[9:10], v[11:12]
	v_xor_b32_e32 v11, 4, v17
	s_wait_dscnt 0x2
	v_add_f64_e32 v[2:3], v[2:3], v[13:14]
	s_wait_dscnt 0x0
	v_add_f64_e32 v[0:1], v[0:1], v[15:16]
	v_cmp_gt_i32_e32 vcc_lo, 32, v11
	s_wait_alu 0xfffd
	v_cndmask_b32_e32 v11, v17, v11, vcc_lo
	s_delay_alu instid0(VALU_DEP_1)
	v_lshlrev_b32_e32 v16, 2, v11
	ds_bpermute_b32 v11, v16, v9
	ds_bpermute_b32 v12, v16, v10
	;; [unrolled: 1-line block ×6, first 2 shown]
	s_wait_dscnt 0x4
	v_add_f64_e32 v[9:10], v[9:10], v[11:12]
	s_wait_dscnt 0x2
	v_add_f64_e32 v[2:3], v[2:3], v[13:14]
	;; [unrolled: 2-line block ×3, first 2 shown]
	v_xor_b32_e32 v0, 2, v17
	s_delay_alu instid0(VALU_DEP_1) | instskip(SKIP_2) | instid1(VALU_DEP_1)
	v_cmp_gt_i32_e32 vcc_lo, 32, v0
	s_wait_alu 0xfffd
	v_cndmask_b32_e32 v0, v17, v0, vcc_lo
	v_lshlrev_b32_e32 v16, 2, v0
	ds_bpermute_b32 v0, v16, v9
	ds_bpermute_b32 v1, v16, v10
	;; [unrolled: 1-line block ×6, first 2 shown]
	s_wait_dscnt 0x4
	v_add_f64_e32 v[9:10], v[9:10], v[0:1]
	s_wait_dscnt 0x2
	v_add_f64_e32 v[0:1], v[2:3], v[13:14]
	;; [unrolled: 2-line block ×3, first 2 shown]
	v_xor_b32_e32 v11, 1, v17
	s_delay_alu instid0(VALU_DEP_1) | instskip(SKIP_3) | instid1(VALU_DEP_2)
	v_cmp_gt_i32_e32 vcc_lo, 32, v11
	s_wait_alu 0xfffd
	v_cndmask_b32_e32 v11, v17, v11, vcc_lo
	v_cmp_eq_u32_e32 vcc_lo, 31, v23
	v_lshlrev_b32_e32 v12, 2, v11
	ds_bpermute_b32 v15, v12, v9
	ds_bpermute_b32 v16, v12, v10
	;; [unrolled: 1-line block ×6, first 2 shown]
	s_and_b32 exec_lo, exec_lo, vcc_lo
	s_cbranch_execz .LBB158_10
; %bb.26:
	s_wait_dscnt 0x4
	v_add_f64_e32 v[9:10], v[9:10], v[15:16]
	s_wait_dscnt 0x2
	v_add_f64_e32 v[13:14], v[0:1], v[13:14]
	s_wait_dscnt 0x0
	v_add_f64_e32 v[11:12], v[2:3], v[11:12]
	s_load_b64 s[0:1], s[0:1], 0x50
	v_lshl_add_u32 v8, v8, 1, v8
	s_mov_b32 s2, exec_lo
	s_delay_alu instid0(VALU_DEP_4) | instskip(NEXT) | instid1(VALU_DEP_4)
	v_mul_f64_e32 v[0:1], v[6:7], v[9:10]
	v_mul_f64_e32 v[2:3], v[6:7], v[13:14]
	s_delay_alu instid0(VALU_DEP_4)
	v_mul_f64_e32 v[6:7], v[6:7], v[11:12]
	v_ashrrev_i32_e32 v9, 31, v8
	v_cmpx_eq_f64_e32 0, v[4:5]
	s_wait_alu 0xfffe
	s_xor_b32 s2, exec_lo, s2
	s_cbranch_execz .LBB158_28
; %bb.27:
	v_lshlrev_b64_e32 v[4:5], 3, v[8:9]
                                        ; implicit-def: $vgpr8
	s_wait_kmcnt 0x0
	s_delay_alu instid0(VALU_DEP_1) | instskip(SKIP_1) | instid1(VALU_DEP_2)
	v_add_co_u32 v4, vcc_lo, s0, v4
	s_wait_alu 0xfffd
	v_add_co_ci_u32_e64 v5, null, s1, v5, vcc_lo
	s_clause 0x1
	global_store_b128 v[4:5], v[0:3], off
	global_store_b64 v[4:5], v[6:7], off offset:16
                                        ; implicit-def: $vgpr4_vgpr5
                                        ; implicit-def: $vgpr0_vgpr1
                                        ; implicit-def: $vgpr6_vgpr7
.LBB158_28:
	s_wait_alu 0xfffe
	s_and_not1_saveexec_b32 s2, s2
	s_cbranch_execz .LBB158_10
; %bb.29:
	v_lshlrev_b64_e32 v[8:9], 3, v[8:9]
	s_wait_kmcnt 0x0
	s_delay_alu instid0(VALU_DEP_1) | instskip(SKIP_1) | instid1(VALU_DEP_2)
	v_add_co_u32 v12, vcc_lo, s0, v8
	s_wait_alu 0xfffd
	v_add_co_ci_u32_e64 v13, null, s1, v9, vcc_lo
	s_clause 0x1
	global_load_b128 v[8:11], v[12:13], off
	global_load_b64 v[14:15], v[12:13], off offset:16
	s_wait_loadcnt 0x1
	v_fma_f64 v[0:1], v[4:5], v[8:9], v[0:1]
	v_fma_f64 v[2:3], v[4:5], v[10:11], v[2:3]
	s_wait_loadcnt 0x0
	v_fma_f64 v[4:5], v[4:5], v[14:15], v[6:7]
	s_clause 0x1
	global_store_b128 v[12:13], v[0:3], off
	global_store_b64 v[12:13], v[4:5], off offset:16
	s_endpgm
	.section	.rodata,"a",@progbits
	.p2align	6, 0x0
	.amdhsa_kernel _ZN9rocsparseL18bsrxmvn_3x3_kernelILj256ELj32EdlifddEEvT3_20rocsparse_direction_NS_24const_host_device_scalarIT1_EES1_PKS1_PKT2_SA_S7_PKT4_PKT5_S5_PT6_21rocsparse_index_base_b
		.amdhsa_group_segment_fixed_size 0
		.amdhsa_private_segment_fixed_size 0
		.amdhsa_kernarg_size 96
		.amdhsa_user_sgpr_count 2
		.amdhsa_user_sgpr_dispatch_ptr 0
		.amdhsa_user_sgpr_queue_ptr 0
		.amdhsa_user_sgpr_kernarg_segment_ptr 1
		.amdhsa_user_sgpr_dispatch_id 0
		.amdhsa_user_sgpr_private_segment_size 0
		.amdhsa_wavefront_size32 1
		.amdhsa_uses_dynamic_stack 0
		.amdhsa_enable_private_segment 0
		.amdhsa_system_sgpr_workgroup_id_x 1
		.amdhsa_system_sgpr_workgroup_id_y 0
		.amdhsa_system_sgpr_workgroup_id_z 0
		.amdhsa_system_sgpr_workgroup_info 0
		.amdhsa_system_vgpr_workitem_id 0
		.amdhsa_next_free_vgpr 45
		.amdhsa_next_free_sgpr 14
		.amdhsa_reserve_vcc 1
		.amdhsa_float_round_mode_32 0
		.amdhsa_float_round_mode_16_64 0
		.amdhsa_float_denorm_mode_32 3
		.amdhsa_float_denorm_mode_16_64 3
		.amdhsa_fp16_overflow 0
		.amdhsa_workgroup_processor_mode 1
		.amdhsa_memory_ordered 1
		.amdhsa_forward_progress 1
		.amdhsa_inst_pref_size 19
		.amdhsa_round_robin_scheduling 0
		.amdhsa_exception_fp_ieee_invalid_op 0
		.amdhsa_exception_fp_denorm_src 0
		.amdhsa_exception_fp_ieee_div_zero 0
		.amdhsa_exception_fp_ieee_overflow 0
		.amdhsa_exception_fp_ieee_underflow 0
		.amdhsa_exception_fp_ieee_inexact 0
		.amdhsa_exception_int_div_zero 0
	.end_amdhsa_kernel
	.section	.text._ZN9rocsparseL18bsrxmvn_3x3_kernelILj256ELj32EdlifddEEvT3_20rocsparse_direction_NS_24const_host_device_scalarIT1_EES1_PKS1_PKT2_SA_S7_PKT4_PKT5_S5_PT6_21rocsparse_index_base_b,"axG",@progbits,_ZN9rocsparseL18bsrxmvn_3x3_kernelILj256ELj32EdlifddEEvT3_20rocsparse_direction_NS_24const_host_device_scalarIT1_EES1_PKS1_PKT2_SA_S7_PKT4_PKT5_S5_PT6_21rocsparse_index_base_b,comdat
.Lfunc_end158:
	.size	_ZN9rocsparseL18bsrxmvn_3x3_kernelILj256ELj32EdlifddEEvT3_20rocsparse_direction_NS_24const_host_device_scalarIT1_EES1_PKS1_PKT2_SA_S7_PKT4_PKT5_S5_PT6_21rocsparse_index_base_b, .Lfunc_end158-_ZN9rocsparseL18bsrxmvn_3x3_kernelILj256ELj32EdlifddEEvT3_20rocsparse_direction_NS_24const_host_device_scalarIT1_EES1_PKS1_PKT2_SA_S7_PKT4_PKT5_S5_PT6_21rocsparse_index_base_b
                                        ; -- End function
	.set _ZN9rocsparseL18bsrxmvn_3x3_kernelILj256ELj32EdlifddEEvT3_20rocsparse_direction_NS_24const_host_device_scalarIT1_EES1_PKS1_PKT2_SA_S7_PKT4_PKT5_S5_PT6_21rocsparse_index_base_b.num_vgpr, 45
	.set _ZN9rocsparseL18bsrxmvn_3x3_kernelILj256ELj32EdlifddEEvT3_20rocsparse_direction_NS_24const_host_device_scalarIT1_EES1_PKS1_PKT2_SA_S7_PKT4_PKT5_S5_PT6_21rocsparse_index_base_b.num_agpr, 0
	.set _ZN9rocsparseL18bsrxmvn_3x3_kernelILj256ELj32EdlifddEEvT3_20rocsparse_direction_NS_24const_host_device_scalarIT1_EES1_PKS1_PKT2_SA_S7_PKT4_PKT5_S5_PT6_21rocsparse_index_base_b.numbered_sgpr, 14
	.set _ZN9rocsparseL18bsrxmvn_3x3_kernelILj256ELj32EdlifddEEvT3_20rocsparse_direction_NS_24const_host_device_scalarIT1_EES1_PKS1_PKT2_SA_S7_PKT4_PKT5_S5_PT6_21rocsparse_index_base_b.num_named_barrier, 0
	.set _ZN9rocsparseL18bsrxmvn_3x3_kernelILj256ELj32EdlifddEEvT3_20rocsparse_direction_NS_24const_host_device_scalarIT1_EES1_PKS1_PKT2_SA_S7_PKT4_PKT5_S5_PT6_21rocsparse_index_base_b.private_seg_size, 0
	.set _ZN9rocsparseL18bsrxmvn_3x3_kernelILj256ELj32EdlifddEEvT3_20rocsparse_direction_NS_24const_host_device_scalarIT1_EES1_PKS1_PKT2_SA_S7_PKT4_PKT5_S5_PT6_21rocsparse_index_base_b.uses_vcc, 1
	.set _ZN9rocsparseL18bsrxmvn_3x3_kernelILj256ELj32EdlifddEEvT3_20rocsparse_direction_NS_24const_host_device_scalarIT1_EES1_PKS1_PKT2_SA_S7_PKT4_PKT5_S5_PT6_21rocsparse_index_base_b.uses_flat_scratch, 0
	.set _ZN9rocsparseL18bsrxmvn_3x3_kernelILj256ELj32EdlifddEEvT3_20rocsparse_direction_NS_24const_host_device_scalarIT1_EES1_PKS1_PKT2_SA_S7_PKT4_PKT5_S5_PT6_21rocsparse_index_base_b.has_dyn_sized_stack, 0
	.set _ZN9rocsparseL18bsrxmvn_3x3_kernelILj256ELj32EdlifddEEvT3_20rocsparse_direction_NS_24const_host_device_scalarIT1_EES1_PKS1_PKT2_SA_S7_PKT4_PKT5_S5_PT6_21rocsparse_index_base_b.has_recursion, 0
	.set _ZN9rocsparseL18bsrxmvn_3x3_kernelILj256ELj32EdlifddEEvT3_20rocsparse_direction_NS_24const_host_device_scalarIT1_EES1_PKS1_PKT2_SA_S7_PKT4_PKT5_S5_PT6_21rocsparse_index_base_b.has_indirect_call, 0
	.section	.AMDGPU.csdata,"",@progbits
; Kernel info:
; codeLenInByte = 2336
; TotalNumSgprs: 16
; NumVgprs: 45
; ScratchSize: 0
; MemoryBound: 0
; FloatMode: 240
; IeeeMode: 1
; LDSByteSize: 0 bytes/workgroup (compile time only)
; SGPRBlocks: 0
; VGPRBlocks: 5
; NumSGPRsForWavesPerEU: 16
; NumVGPRsForWavesPerEU: 45
; Occupancy: 16
; WaveLimiterHint : 1
; COMPUTE_PGM_RSRC2:SCRATCH_EN: 0
; COMPUTE_PGM_RSRC2:USER_SGPR: 2
; COMPUTE_PGM_RSRC2:TRAP_HANDLER: 0
; COMPUTE_PGM_RSRC2:TGID_X_EN: 1
; COMPUTE_PGM_RSRC2:TGID_Y_EN: 0
; COMPUTE_PGM_RSRC2:TGID_Z_EN: 0
; COMPUTE_PGM_RSRC2:TIDIG_COMP_CNT: 0
	.section	.text._ZN9rocsparseL18bsrxmvn_3x3_kernelILj256ELj64EdlifddEEvT3_20rocsparse_direction_NS_24const_host_device_scalarIT1_EES1_PKS1_PKT2_SA_S7_PKT4_PKT5_S5_PT6_21rocsparse_index_base_b,"axG",@progbits,_ZN9rocsparseL18bsrxmvn_3x3_kernelILj256ELj64EdlifddEEvT3_20rocsparse_direction_NS_24const_host_device_scalarIT1_EES1_PKS1_PKT2_SA_S7_PKT4_PKT5_S5_PT6_21rocsparse_index_base_b,comdat
	.globl	_ZN9rocsparseL18bsrxmvn_3x3_kernelILj256ELj64EdlifddEEvT3_20rocsparse_direction_NS_24const_host_device_scalarIT1_EES1_PKS1_PKT2_SA_S7_PKT4_PKT5_S5_PT6_21rocsparse_index_base_b ; -- Begin function _ZN9rocsparseL18bsrxmvn_3x3_kernelILj256ELj64EdlifddEEvT3_20rocsparse_direction_NS_24const_host_device_scalarIT1_EES1_PKS1_PKT2_SA_S7_PKT4_PKT5_S5_PT6_21rocsparse_index_base_b
	.p2align	8
	.type	_ZN9rocsparseL18bsrxmvn_3x3_kernelILj256ELj64EdlifddEEvT3_20rocsparse_direction_NS_24const_host_device_scalarIT1_EES1_PKS1_PKT2_SA_S7_PKT4_PKT5_S5_PT6_21rocsparse_index_base_b,@function
_ZN9rocsparseL18bsrxmvn_3x3_kernelILj256ELj64EdlifddEEvT3_20rocsparse_direction_NS_24const_host_device_scalarIT1_EES1_PKS1_PKT2_SA_S7_PKT4_PKT5_S5_PT6_21rocsparse_index_base_b: ; @_ZN9rocsparseL18bsrxmvn_3x3_kernelILj256ELj64EdlifddEEvT3_20rocsparse_direction_NS_24const_host_device_scalarIT1_EES1_PKS1_PKT2_SA_S7_PKT4_PKT5_S5_PT6_21rocsparse_index_base_b
; %bb.0:
	s_clause 0x2
	s_load_b64 s[12:13], s[0:1], 0x58
	s_load_b64 s[4:5], s[0:1], 0x8
	;; [unrolled: 1-line block ×3, first 2 shown]
	s_wait_kmcnt 0x0
	s_bitcmp1_b32 s13, 0
	v_dual_mov_b32 v7, s5 :: v_dual_mov_b32 v6, s4
	s_cselect_b32 s6, -1, 0
	s_delay_alu instid0(SALU_CYCLE_1)
	s_and_b32 vcc_lo, exec_lo, s6
	s_xor_b32 s6, s6, -1
	s_cbranch_vccnz .LBB159_2
; %bb.1:
	v_dual_mov_b32 v1, s4 :: v_dual_mov_b32 v2, s5
	flat_load_b64 v[6:7], v[1:2]
.LBB159_2:
	v_dual_mov_b32 v5, s3 :: v_dual_mov_b32 v4, s2
	s_and_not1_b32 vcc_lo, exec_lo, s6
	s_cbranch_vccnz .LBB159_4
; %bb.3:
	v_dual_mov_b32 v1, s2 :: v_dual_mov_b32 v2, s3
	flat_load_b64 v[4:5], v[1:2]
.LBB159_4:
	s_wait_loadcnt_dscnt 0x0
	v_cmp_neq_f64_e32 vcc_lo, 0, v[6:7]
	v_cmp_neq_f64_e64 s2, 1.0, v[4:5]
	s_or_b32 s2, vcc_lo, s2
	s_wait_alu 0xfffe
	s_and_saveexec_b32 s3, s2
	s_cbranch_execz .LBB159_10
; %bb.5:
	s_clause 0x1
	s_load_b64 s[4:5], s[0:1], 0x18
	s_load_b64 s[2:3], s[0:1], 0x0
	v_lshrrev_b32_e32 v1, 6, v0
	s_delay_alu instid0(VALU_DEP_1)
	v_lshl_or_b32 v8, ttmp9, 2, v1
	s_wait_kmcnt 0x0
	s_cmp_lg_u64 s[4:5], 0
	s_cbranch_scc0 .LBB159_11
; %bb.6:
	s_load_b32 s6, s[0:1], 0x10
	s_mov_b32 s7, 0
                                        ; implicit-def: $vgpr1
	s_wait_kmcnt 0x0
	v_cmp_gt_i32_e32 vcc_lo, s6, v8
	s_mov_b32 s6, 0
	s_and_saveexec_b32 s8, vcc_lo
	s_delay_alu instid0(SALU_CYCLE_1)
	s_xor_b32 s8, exec_lo, s8
	s_cbranch_execz .LBB159_8
; %bb.7:
	v_ashrrev_i32_e32 v9, 31, v8
	s_mov_b32 s6, exec_lo
	s_delay_alu instid0(VALU_DEP_1) | instskip(NEXT) | instid1(VALU_DEP_1)
	v_lshlrev_b64_e32 v[1:2], 2, v[8:9]
	v_add_co_u32 v1, vcc_lo, s4, v1
	s_delay_alu instid0(VALU_DEP_1)
	v_add_co_ci_u32_e64 v2, null, s5, v2, vcc_lo
	global_load_b32 v1, v[1:2], off
	s_wait_loadcnt 0x0
	v_subrev_nc_u32_e32 v1, s12, v1
.LBB159_8:
	s_or_b32 exec_lo, exec_lo, s8
	s_delay_alu instid0(SALU_CYCLE_1)
	s_and_b32 vcc_lo, exec_lo, s7
	s_wait_alu 0xfffe
	s_cbranch_vccz .LBB159_12
.LBB159_9:
	v_cmp_gt_i32_e32 vcc_lo, s2, v8
	s_and_not1_b32 s2, s6, exec_lo
	s_and_b32 s4, vcc_lo, exec_lo
	s_wait_alu 0xfffe
	s_or_b32 s6, s2, s4
	s_wait_alu 0xfffe
	s_and_b32 exec_lo, exec_lo, s6
	s_cbranch_execnz .LBB159_13
.LBB159_10:
	s_endpgm
.LBB159_11:
	s_mov_b32 s6, 0
                                        ; implicit-def: $vgpr1
	s_cbranch_execnz .LBB159_9
.LBB159_12:
	v_mov_b32_e32 v8, v1
	s_and_b32 exec_lo, exec_lo, s6
	s_cbranch_execz .LBB159_10
.LBB159_13:
	s_load_b256 s[4:11], s[0:1], 0x20
	s_delay_alu instid0(VALU_DEP_1) | instskip(SKIP_1) | instid1(VALU_DEP_2)
	v_ashrrev_i32_e32 v9, 31, v8
	v_and_b32_e32 v23, 63, v0
	v_lshlrev_b64_e32 v[1:2], 3, v[8:9]
	s_wait_kmcnt 0x0
	s_delay_alu instid0(VALU_DEP_1) | instskip(SKIP_1) | instid1(VALU_DEP_2)
	v_add_co_u32 v9, vcc_lo, s4, v1
	s_wait_alu 0xfffd
	v_add_co_ci_u32_e64 v10, null, s5, v2, vcc_lo
	v_add_co_u32 v1, vcc_lo, s6, v1
	s_wait_alu 0xfffd
	v_add_co_ci_u32_e64 v2, null, s7, v2, vcc_lo
	global_load_b64 v[11:12], v[9:10], off
	v_add_co_u32 v3, vcc_lo, v9, 8
	s_wait_alu 0xfffd
	v_add_co_ci_u32_e64 v9, null, 0, v10, vcc_lo
	s_cmp_eq_u64 s[6:7], 0
	s_load_b64 s[4:5], s[0:1], 0x40
	s_cselect_b32 vcc_lo, -1, 0
	s_cmp_eq_u32 s3, 1
	s_wait_alu 0xfffe
	v_dual_cndmask_b32 v2, v2, v9 :: v_dual_cndmask_b32 v1, v1, v3
	global_load_b64 v[1:2], v[1:2], off
	s_wait_loadcnt 0x1
	v_sub_co_u32 v0, vcc_lo, v11, s12
	s_wait_alu 0xfffd
	v_subrev_co_ci_u32_e64 v3, null, 0, v12, vcc_lo
	s_delay_alu instid0(VALU_DEP_2) | instskip(SKIP_1) | instid1(VALU_DEP_2)
	v_add_co_u32 v11, vcc_lo, v0, v23
	s_wait_alu 0xfffd
	v_add_co_ci_u32_e64 v12, null, 0, v3, vcc_lo
	s_delay_alu instid0(VALU_DEP_2) | instskip(SKIP_4) | instid1(VALU_DEP_3)
	v_mad_co_u64_u32 v[13:14], null, v11, 36, s[10:11]
	s_wait_loadcnt 0x0
	v_sub_co_u32 v15, vcc_lo, v1, s12
	s_wait_alu 0xfffd
	v_subrev_co_ci_u32_e64 v16, null, 0, v2, vcc_lo
	v_mov_b32_e32 v0, v14
	s_delay_alu instid0(VALU_DEP_2) | instskip(NEXT) | instid1(VALU_DEP_2)
	v_cmp_lt_i64_e64 s2, v[11:12], v[15:16]
	v_mad_co_u64_u32 v[9:10], null, v12, 36, v[0:1]
	s_delay_alu instid0(VALU_DEP_1)
	v_mov_b32_e32 v14, v9
	s_cbranch_scc1 .LBB159_19
; %bb.14:
	v_mov_b32_e32 v0, 0
	v_dual_mov_b32 v1, 0 :: v_dual_mov_b32 v2, 0
	v_mov_b32_e32 v9, 0
	v_dual_mov_b32 v3, 0 :: v_dual_mov_b32 v10, 0
	s_and_saveexec_b32 s6, s2
	s_cbranch_execz .LBB159_18
; %bb.15:
	v_lshlrev_b64_e32 v[2:3], 2, v[11:12]
	v_mov_b32_e32 v0, 0
	v_dual_mov_b32 v1, 0 :: v_dual_mov_b32 v18, v14
	v_dual_mov_b32 v17, v13 :: v_dual_mov_b32 v22, v12
	v_mov_b32_e32 v21, v11
	v_add_co_u32 v19, vcc_lo, s8, v2
	s_wait_alu 0xfffd
	v_add_co_ci_u32_e64 v20, null, s9, v3, vcc_lo
	v_dual_mov_b32 v2, 0 :: v_dual_mov_b32 v9, 0
	v_dual_mov_b32 v3, 0 :: v_dual_mov_b32 v10, 0
	s_mov_b32 s7, 0
.LBB159_16:                             ; =>This Inner Loop Header: Depth=1
	global_load_b32 v32, v[19:20], off
	s_clause 0x1
	global_load_b128 v[24:27], v[17:18], off
	global_load_b128 v[28:31], v[17:18], off offset:16
	v_add_co_u32 v19, s3, 0x100, v19
	s_wait_alu 0xf1ff
	v_add_co_ci_u32_e64 v20, null, 0, v20, s3
	s_wait_loadcnt 0x2
	v_subrev_nc_u32_e32 v32, s12, v32
	s_wait_loadcnt 0x1
	v_cvt_f64_f32_e32 v[38:39], v24
	v_cvt_f64_f32_e32 v[40:41], v27
	s_wait_loadcnt 0x0
	v_cvt_f64_f32_e32 v[42:43], v30
	v_cvt_f64_f32_e32 v[24:25], v25
	v_lshl_add_u32 v32, v32, 1, v32
	v_cvt_f64_f32_e32 v[27:28], v28
	v_cvt_f64_f32_e32 v[30:31], v31
	s_delay_alu instid0(VALU_DEP_3) | instskip(NEXT) | instid1(VALU_DEP_1)
	v_ashrrev_i32_e32 v33, 31, v32
	v_lshlrev_b64_e32 v[32:33], 3, v[32:33]
	s_wait_kmcnt 0x0
	s_delay_alu instid0(VALU_DEP_1) | instskip(SKIP_1) | instid1(VALU_DEP_2)
	v_add_co_u32 v36, vcc_lo, s4, v32
	s_wait_alu 0xfffd
	v_add_co_ci_u32_e64 v37, null, s5, v33, vcc_lo
	v_add_co_u32 v21, vcc_lo, v21, 64
	s_wait_alu 0xfffd
	v_add_co_ci_u32_e64 v22, null, 0, v22, vcc_lo
	s_clause 0x1
	global_load_b128 v[32:35], v[36:37], off
	global_load_b64 v[36:37], v[36:37], off offset:16
	global_load_b32 v44, v[17:18], off offset:32
	v_add_co_u32 v17, vcc_lo, 0x900, v17
	s_wait_alu 0xfffd
	v_add_co_ci_u32_e64 v18, null, 0, v18, vcc_lo
	v_cmp_ge_i64_e32 vcc_lo, v[21:22], v[15:16]
	s_wait_alu 0xfffe
	s_or_b32 s7, vcc_lo, s7
	s_wait_loadcnt 0x2
	v_fma_f64 v[9:10], v[38:39], v[32:33], v[9:10]
	v_fma_f64 v[2:3], v[40:41], v[32:33], v[2:3]
	;; [unrolled: 1-line block ×3, first 2 shown]
	v_cvt_f64_f32_e32 v[32:33], v26
	v_cvt_f64_f32_e32 v[38:39], v29
	s_wait_loadcnt 0x0
	v_cvt_f64_f32_e32 v[40:41], v44
	v_fma_f64 v[9:10], v[24:25], v[34:35], v[9:10]
	v_fma_f64 v[2:3], v[27:28], v[34:35], v[2:3]
	;; [unrolled: 1-line block ×3, first 2 shown]
	s_delay_alu instid0(VALU_DEP_3) | instskip(NEXT) | instid1(VALU_DEP_3)
	v_fma_f64 v[9:10], v[32:33], v[36:37], v[9:10]
	v_fma_f64 v[2:3], v[38:39], v[36:37], v[2:3]
	s_delay_alu instid0(VALU_DEP_3)
	v_fma_f64 v[0:1], v[40:41], v[36:37], v[0:1]
	s_wait_alu 0xfffe
	s_and_not1_b32 exec_lo, exec_lo, s7
	s_cbranch_execnz .LBB159_16
; %bb.17:
	s_or_b32 exec_lo, exec_lo, s7
.LBB159_18:
	s_wait_alu 0xfffe
	s_or_b32 exec_lo, exec_lo, s6
	s_cbranch_execz .LBB159_20
	s_branch .LBB159_25
.LBB159_19:
                                        ; implicit-def: $vgpr0_vgpr1
                                        ; implicit-def: $vgpr2_vgpr3
                                        ; implicit-def: $vgpr9_vgpr10
.LBB159_20:
	v_mov_b32_e32 v0, 0
	v_dual_mov_b32 v1, 0 :: v_dual_mov_b32 v2, 0
	v_mov_b32_e32 v9, 0
	v_dual_mov_b32 v3, 0 :: v_dual_mov_b32 v10, 0
	s_and_saveexec_b32 s3, s2
	s_cbranch_execz .LBB159_24
; %bb.21:
	v_lshlrev_b64_e32 v[17:18], 2, v[11:12]
	v_mov_b32_e32 v0, 0
	v_dual_mov_b32 v1, 0 :: v_dual_mov_b32 v2, 0
	v_mov_b32_e32 v9, 0
	v_mov_b32_e32 v3, 0
	v_add_co_u32 v17, vcc_lo, s8, v17
	v_mov_b32_e32 v10, 0
	s_wait_alu 0xfffd
	v_add_co_ci_u32_e64 v18, null, s9, v18, vcc_lo
	s_mov_b32 s6, 0
.LBB159_22:                             ; =>This Inner Loop Header: Depth=1
	global_load_b32 v28, v[17:18], off
	s_clause 0x1
	global_load_b128 v[19:22], v[13:14], off
	global_load_b128 v[24:27], v[13:14], off offset:16
	v_add_co_u32 v17, s2, 0x100, v17
	s_wait_alu 0xf1ff
	v_add_co_ci_u32_e64 v18, null, 0, v18, s2
	s_wait_loadcnt 0x2
	v_subrev_nc_u32_e32 v28, s12, v28
	s_wait_loadcnt 0x1
	v_cvt_f64_f32_e32 v[34:35], v19
	v_cvt_f64_f32_e32 v[19:20], v20
	;; [unrolled: 1-line block ×4, first 2 shown]
	v_lshl_add_u32 v28, v28, 1, v28
	s_wait_loadcnt 0x0
	v_cvt_f64_f32_e32 v[38:39], v24
	v_cvt_f64_f32_e32 v[24:25], v25
	s_delay_alu instid0(VALU_DEP_3) | instskip(NEXT) | instid1(VALU_DEP_1)
	v_ashrrev_i32_e32 v29, 31, v28
	v_lshlrev_b64_e32 v[28:29], 3, v[28:29]
	s_wait_kmcnt 0x0
	s_delay_alu instid0(VALU_DEP_1) | instskip(SKIP_1) | instid1(VALU_DEP_2)
	v_add_co_u32 v32, vcc_lo, s4, v28
	s_wait_alu 0xfffd
	v_add_co_ci_u32_e64 v33, null, s5, v29, vcc_lo
	v_add_co_u32 v11, vcc_lo, v11, 64
	s_wait_alu 0xfffd
	v_add_co_ci_u32_e64 v12, null, 0, v12, vcc_lo
	s_clause 0x1
	global_load_b128 v[28:31], v[32:33], off
	global_load_b64 v[32:33], v[32:33], off offset:16
	global_load_b32 v40, v[13:14], off offset:32
	v_add_co_u32 v13, vcc_lo, 0x900, v13
	s_wait_alu 0xfffd
	v_add_co_ci_u32_e64 v14, null, 0, v14, vcc_lo
	v_cmp_ge_i64_e32 vcc_lo, v[11:12], v[15:16]
	s_wait_alu 0xfffe
	s_or_b32 s6, vcc_lo, s6
	s_wait_loadcnt 0x2
	v_fma_f64 v[9:10], v[34:35], v[28:29], v[9:10]
	v_fma_f64 v[2:3], v[19:20], v[28:29], v[2:3]
	;; [unrolled: 1-line block ×3, first 2 shown]
	v_cvt_f64_f32_e32 v[19:20], v26
	v_cvt_f64_f32_e32 v[26:27], v27
	s_wait_loadcnt 0x0
	v_cvt_f64_f32_e32 v[28:29], v40
	v_fma_f64 v[9:10], v[21:22], v[30:31], v[9:10]
	v_fma_f64 v[2:3], v[38:39], v[30:31], v[2:3]
	;; [unrolled: 1-line block ×3, first 2 shown]
	s_delay_alu instid0(VALU_DEP_3) | instskip(NEXT) | instid1(VALU_DEP_3)
	v_fma_f64 v[9:10], v[19:20], v[32:33], v[9:10]
	v_fma_f64 v[2:3], v[26:27], v[32:33], v[2:3]
	s_delay_alu instid0(VALU_DEP_3)
	v_fma_f64 v[0:1], v[28:29], v[32:33], v[0:1]
	s_wait_alu 0xfffe
	s_and_not1_b32 exec_lo, exec_lo, s6
	s_cbranch_execnz .LBB159_22
; %bb.23:
	s_or_b32 exec_lo, exec_lo, s6
.LBB159_24:
	s_wait_alu 0xfffe
	s_or_b32 exec_lo, exec_lo, s3
.LBB159_25:
	v_mbcnt_lo_u32_b32 v17, -1, 0
	s_delay_alu instid0(VALU_DEP_1) | instskip(NEXT) | instid1(VALU_DEP_1)
	v_or_b32_e32 v11, 32, v17
	v_cmp_gt_i32_e32 vcc_lo, 32, v11
	s_wait_alu 0xfffd
	v_cndmask_b32_e32 v11, v17, v11, vcc_lo
	s_delay_alu instid0(VALU_DEP_1)
	v_lshlrev_b32_e32 v16, 2, v11
	ds_bpermute_b32 v11, v16, v9
	ds_bpermute_b32 v12, v16, v10
	ds_bpermute_b32 v13, v16, v2
	ds_bpermute_b32 v14, v16, v3
	ds_bpermute_b32 v15, v16, v0
	ds_bpermute_b32 v16, v16, v1
	s_wait_dscnt 0x4
	v_add_f64_e32 v[9:10], v[9:10], v[11:12]
	v_xor_b32_e32 v11, 16, v17
	s_wait_dscnt 0x2
	v_add_f64_e32 v[2:3], v[2:3], v[13:14]
	s_wait_dscnt 0x0
	v_add_f64_e32 v[0:1], v[0:1], v[15:16]
	v_cmp_gt_i32_e32 vcc_lo, 32, v11
	s_wait_alu 0xfffd
	v_cndmask_b32_e32 v11, v17, v11, vcc_lo
	s_delay_alu instid0(VALU_DEP_1)
	v_lshlrev_b32_e32 v16, 2, v11
	ds_bpermute_b32 v11, v16, v9
	ds_bpermute_b32 v12, v16, v10
	ds_bpermute_b32 v13, v16, v2
	ds_bpermute_b32 v14, v16, v3
	ds_bpermute_b32 v15, v16, v0
	ds_bpermute_b32 v16, v16, v1
	s_wait_dscnt 0x4
	v_add_f64_e32 v[9:10], v[9:10], v[11:12]
	v_xor_b32_e32 v11, 8, v17
	s_wait_dscnt 0x2
	v_add_f64_e32 v[2:3], v[2:3], v[13:14]
	s_wait_dscnt 0x0
	v_add_f64_e32 v[0:1], v[0:1], v[15:16]
	;; [unrolled: 18-line block ×3, first 2 shown]
	v_cmp_gt_i32_e32 vcc_lo, 32, v11
	s_wait_alu 0xfffd
	v_cndmask_b32_e32 v11, v17, v11, vcc_lo
	s_delay_alu instid0(VALU_DEP_1)
	v_lshlrev_b32_e32 v16, 2, v11
	ds_bpermute_b32 v11, v16, v9
	ds_bpermute_b32 v12, v16, v10
	;; [unrolled: 1-line block ×6, first 2 shown]
	s_wait_dscnt 0x4
	v_add_f64_e32 v[9:10], v[9:10], v[11:12]
	s_wait_dscnt 0x2
	v_add_f64_e32 v[2:3], v[2:3], v[13:14]
	s_wait_dscnt 0x0
	v_add_f64_e32 v[11:12], v[0:1], v[15:16]
	v_xor_b32_e32 v0, 2, v17
	s_delay_alu instid0(VALU_DEP_1) | instskip(SKIP_2) | instid1(VALU_DEP_1)
	v_cmp_gt_i32_e32 vcc_lo, 32, v0
	s_wait_alu 0xfffd
	v_cndmask_b32_e32 v0, v17, v0, vcc_lo
	v_lshlrev_b32_e32 v16, 2, v0
	ds_bpermute_b32 v0, v16, v9
	ds_bpermute_b32 v1, v16, v10
	;; [unrolled: 1-line block ×6, first 2 shown]
	s_wait_dscnt 0x4
	v_add_f64_e32 v[9:10], v[9:10], v[0:1]
	s_wait_dscnt 0x2
	v_add_f64_e32 v[0:1], v[2:3], v[13:14]
	;; [unrolled: 2-line block ×3, first 2 shown]
	v_xor_b32_e32 v11, 1, v17
	s_delay_alu instid0(VALU_DEP_1) | instskip(SKIP_3) | instid1(VALU_DEP_2)
	v_cmp_gt_i32_e32 vcc_lo, 32, v11
	s_wait_alu 0xfffd
	v_cndmask_b32_e32 v11, v17, v11, vcc_lo
	v_cmp_eq_u32_e32 vcc_lo, 63, v23
	v_lshlrev_b32_e32 v12, 2, v11
	ds_bpermute_b32 v15, v12, v9
	ds_bpermute_b32 v16, v12, v10
	;; [unrolled: 1-line block ×6, first 2 shown]
	s_and_b32 exec_lo, exec_lo, vcc_lo
	s_cbranch_execz .LBB159_10
; %bb.26:
	s_wait_dscnt 0x4
	v_add_f64_e32 v[9:10], v[9:10], v[15:16]
	s_wait_dscnt 0x2
	v_add_f64_e32 v[13:14], v[0:1], v[13:14]
	;; [unrolled: 2-line block ×3, first 2 shown]
	s_load_b64 s[0:1], s[0:1], 0x50
	v_lshl_add_u32 v8, v8, 1, v8
	s_mov_b32 s2, exec_lo
	s_delay_alu instid0(VALU_DEP_4) | instskip(NEXT) | instid1(VALU_DEP_4)
	v_mul_f64_e32 v[0:1], v[6:7], v[9:10]
	v_mul_f64_e32 v[2:3], v[6:7], v[13:14]
	s_delay_alu instid0(VALU_DEP_4)
	v_mul_f64_e32 v[6:7], v[6:7], v[11:12]
	v_ashrrev_i32_e32 v9, 31, v8
	v_cmpx_eq_f64_e32 0, v[4:5]
	s_wait_alu 0xfffe
	s_xor_b32 s2, exec_lo, s2
	s_cbranch_execz .LBB159_28
; %bb.27:
	v_lshlrev_b64_e32 v[4:5], 3, v[8:9]
                                        ; implicit-def: $vgpr8
	s_wait_kmcnt 0x0
	s_delay_alu instid0(VALU_DEP_1) | instskip(SKIP_1) | instid1(VALU_DEP_2)
	v_add_co_u32 v4, vcc_lo, s0, v4
	s_wait_alu 0xfffd
	v_add_co_ci_u32_e64 v5, null, s1, v5, vcc_lo
	s_clause 0x1
	global_store_b128 v[4:5], v[0:3], off
	global_store_b64 v[4:5], v[6:7], off offset:16
                                        ; implicit-def: $vgpr4_vgpr5
                                        ; implicit-def: $vgpr0_vgpr1
                                        ; implicit-def: $vgpr6_vgpr7
.LBB159_28:
	s_wait_alu 0xfffe
	s_and_not1_saveexec_b32 s2, s2
	s_cbranch_execz .LBB159_10
; %bb.29:
	v_lshlrev_b64_e32 v[8:9], 3, v[8:9]
	s_wait_kmcnt 0x0
	s_delay_alu instid0(VALU_DEP_1) | instskip(SKIP_1) | instid1(VALU_DEP_2)
	v_add_co_u32 v12, vcc_lo, s0, v8
	s_wait_alu 0xfffd
	v_add_co_ci_u32_e64 v13, null, s1, v9, vcc_lo
	s_clause 0x1
	global_load_b128 v[8:11], v[12:13], off
	global_load_b64 v[14:15], v[12:13], off offset:16
	s_wait_loadcnt 0x1
	v_fma_f64 v[0:1], v[4:5], v[8:9], v[0:1]
	v_fma_f64 v[2:3], v[4:5], v[10:11], v[2:3]
	s_wait_loadcnt 0x0
	v_fma_f64 v[4:5], v[4:5], v[14:15], v[6:7]
	s_clause 0x1
	global_store_b128 v[12:13], v[0:3], off
	global_store_b64 v[12:13], v[4:5], off offset:16
	s_endpgm
	.section	.rodata,"a",@progbits
	.p2align	6, 0x0
	.amdhsa_kernel _ZN9rocsparseL18bsrxmvn_3x3_kernelILj256ELj64EdlifddEEvT3_20rocsparse_direction_NS_24const_host_device_scalarIT1_EES1_PKS1_PKT2_SA_S7_PKT4_PKT5_S5_PT6_21rocsparse_index_base_b
		.amdhsa_group_segment_fixed_size 0
		.amdhsa_private_segment_fixed_size 0
		.amdhsa_kernarg_size 96
		.amdhsa_user_sgpr_count 2
		.amdhsa_user_sgpr_dispatch_ptr 0
		.amdhsa_user_sgpr_queue_ptr 0
		.amdhsa_user_sgpr_kernarg_segment_ptr 1
		.amdhsa_user_sgpr_dispatch_id 0
		.amdhsa_user_sgpr_private_segment_size 0
		.amdhsa_wavefront_size32 1
		.amdhsa_uses_dynamic_stack 0
		.amdhsa_enable_private_segment 0
		.amdhsa_system_sgpr_workgroup_id_x 1
		.amdhsa_system_sgpr_workgroup_id_y 0
		.amdhsa_system_sgpr_workgroup_id_z 0
		.amdhsa_system_sgpr_workgroup_info 0
		.amdhsa_system_vgpr_workitem_id 0
		.amdhsa_next_free_vgpr 45
		.amdhsa_next_free_sgpr 14
		.amdhsa_reserve_vcc 1
		.amdhsa_float_round_mode_32 0
		.amdhsa_float_round_mode_16_64 0
		.amdhsa_float_denorm_mode_32 3
		.amdhsa_float_denorm_mode_16_64 3
		.amdhsa_fp16_overflow 0
		.amdhsa_workgroup_processor_mode 1
		.amdhsa_memory_ordered 1
		.amdhsa_forward_progress 1
		.amdhsa_inst_pref_size 19
		.amdhsa_round_robin_scheduling 0
		.amdhsa_exception_fp_ieee_invalid_op 0
		.amdhsa_exception_fp_denorm_src 0
		.amdhsa_exception_fp_ieee_div_zero 0
		.amdhsa_exception_fp_ieee_overflow 0
		.amdhsa_exception_fp_ieee_underflow 0
		.amdhsa_exception_fp_ieee_inexact 0
		.amdhsa_exception_int_div_zero 0
	.end_amdhsa_kernel
	.section	.text._ZN9rocsparseL18bsrxmvn_3x3_kernelILj256ELj64EdlifddEEvT3_20rocsparse_direction_NS_24const_host_device_scalarIT1_EES1_PKS1_PKT2_SA_S7_PKT4_PKT5_S5_PT6_21rocsparse_index_base_b,"axG",@progbits,_ZN9rocsparseL18bsrxmvn_3x3_kernelILj256ELj64EdlifddEEvT3_20rocsparse_direction_NS_24const_host_device_scalarIT1_EES1_PKS1_PKT2_SA_S7_PKT4_PKT5_S5_PT6_21rocsparse_index_base_b,comdat
.Lfunc_end159:
	.size	_ZN9rocsparseL18bsrxmvn_3x3_kernelILj256ELj64EdlifddEEvT3_20rocsparse_direction_NS_24const_host_device_scalarIT1_EES1_PKS1_PKT2_SA_S7_PKT4_PKT5_S5_PT6_21rocsparse_index_base_b, .Lfunc_end159-_ZN9rocsparseL18bsrxmvn_3x3_kernelILj256ELj64EdlifddEEvT3_20rocsparse_direction_NS_24const_host_device_scalarIT1_EES1_PKS1_PKT2_SA_S7_PKT4_PKT5_S5_PT6_21rocsparse_index_base_b
                                        ; -- End function
	.set _ZN9rocsparseL18bsrxmvn_3x3_kernelILj256ELj64EdlifddEEvT3_20rocsparse_direction_NS_24const_host_device_scalarIT1_EES1_PKS1_PKT2_SA_S7_PKT4_PKT5_S5_PT6_21rocsparse_index_base_b.num_vgpr, 45
	.set _ZN9rocsparseL18bsrxmvn_3x3_kernelILj256ELj64EdlifddEEvT3_20rocsparse_direction_NS_24const_host_device_scalarIT1_EES1_PKS1_PKT2_SA_S7_PKT4_PKT5_S5_PT6_21rocsparse_index_base_b.num_agpr, 0
	.set _ZN9rocsparseL18bsrxmvn_3x3_kernelILj256ELj64EdlifddEEvT3_20rocsparse_direction_NS_24const_host_device_scalarIT1_EES1_PKS1_PKT2_SA_S7_PKT4_PKT5_S5_PT6_21rocsparse_index_base_b.numbered_sgpr, 14
	.set _ZN9rocsparseL18bsrxmvn_3x3_kernelILj256ELj64EdlifddEEvT3_20rocsparse_direction_NS_24const_host_device_scalarIT1_EES1_PKS1_PKT2_SA_S7_PKT4_PKT5_S5_PT6_21rocsparse_index_base_b.num_named_barrier, 0
	.set _ZN9rocsparseL18bsrxmvn_3x3_kernelILj256ELj64EdlifddEEvT3_20rocsparse_direction_NS_24const_host_device_scalarIT1_EES1_PKS1_PKT2_SA_S7_PKT4_PKT5_S5_PT6_21rocsparse_index_base_b.private_seg_size, 0
	.set _ZN9rocsparseL18bsrxmvn_3x3_kernelILj256ELj64EdlifddEEvT3_20rocsparse_direction_NS_24const_host_device_scalarIT1_EES1_PKS1_PKT2_SA_S7_PKT4_PKT5_S5_PT6_21rocsparse_index_base_b.uses_vcc, 1
	.set _ZN9rocsparseL18bsrxmvn_3x3_kernelILj256ELj64EdlifddEEvT3_20rocsparse_direction_NS_24const_host_device_scalarIT1_EES1_PKS1_PKT2_SA_S7_PKT4_PKT5_S5_PT6_21rocsparse_index_base_b.uses_flat_scratch, 0
	.set _ZN9rocsparseL18bsrxmvn_3x3_kernelILj256ELj64EdlifddEEvT3_20rocsparse_direction_NS_24const_host_device_scalarIT1_EES1_PKS1_PKT2_SA_S7_PKT4_PKT5_S5_PT6_21rocsparse_index_base_b.has_dyn_sized_stack, 0
	.set _ZN9rocsparseL18bsrxmvn_3x3_kernelILj256ELj64EdlifddEEvT3_20rocsparse_direction_NS_24const_host_device_scalarIT1_EES1_PKS1_PKT2_SA_S7_PKT4_PKT5_S5_PT6_21rocsparse_index_base_b.has_recursion, 0
	.set _ZN9rocsparseL18bsrxmvn_3x3_kernelILj256ELj64EdlifddEEvT3_20rocsparse_direction_NS_24const_host_device_scalarIT1_EES1_PKS1_PKT2_SA_S7_PKT4_PKT5_S5_PT6_21rocsparse_index_base_b.has_indirect_call, 0
	.section	.AMDGPU.csdata,"",@progbits
; Kernel info:
; codeLenInByte = 2432
; TotalNumSgprs: 16
; NumVgprs: 45
; ScratchSize: 0
; MemoryBound: 0
; FloatMode: 240
; IeeeMode: 1
; LDSByteSize: 0 bytes/workgroup (compile time only)
; SGPRBlocks: 0
; VGPRBlocks: 5
; NumSGPRsForWavesPerEU: 16
; NumVGPRsForWavesPerEU: 45
; Occupancy: 16
; WaveLimiterHint : 1
; COMPUTE_PGM_RSRC2:SCRATCH_EN: 0
; COMPUTE_PGM_RSRC2:USER_SGPR: 2
; COMPUTE_PGM_RSRC2:TRAP_HANDLER: 0
; COMPUTE_PGM_RSRC2:TGID_X_EN: 1
; COMPUTE_PGM_RSRC2:TGID_Y_EN: 0
; COMPUTE_PGM_RSRC2:TGID_Z_EN: 0
; COMPUTE_PGM_RSRC2:TIDIG_COMP_CNT: 0
	.section	.text._ZN9rocsparseL18bsrxmvn_3x3_kernelILj256ELj4EdllfddEEvT3_20rocsparse_direction_NS_24const_host_device_scalarIT1_EES1_PKS1_PKT2_SA_S7_PKT4_PKT5_S5_PT6_21rocsparse_index_base_b,"axG",@progbits,_ZN9rocsparseL18bsrxmvn_3x3_kernelILj256ELj4EdllfddEEvT3_20rocsparse_direction_NS_24const_host_device_scalarIT1_EES1_PKS1_PKT2_SA_S7_PKT4_PKT5_S5_PT6_21rocsparse_index_base_b,comdat
	.globl	_ZN9rocsparseL18bsrxmvn_3x3_kernelILj256ELj4EdllfddEEvT3_20rocsparse_direction_NS_24const_host_device_scalarIT1_EES1_PKS1_PKT2_SA_S7_PKT4_PKT5_S5_PT6_21rocsparse_index_base_b ; -- Begin function _ZN9rocsparseL18bsrxmvn_3x3_kernelILj256ELj4EdllfddEEvT3_20rocsparse_direction_NS_24const_host_device_scalarIT1_EES1_PKS1_PKT2_SA_S7_PKT4_PKT5_S5_PT6_21rocsparse_index_base_b
	.p2align	8
	.type	_ZN9rocsparseL18bsrxmvn_3x3_kernelILj256ELj4EdllfddEEvT3_20rocsparse_direction_NS_24const_host_device_scalarIT1_EES1_PKS1_PKT2_SA_S7_PKT4_PKT5_S5_PT6_21rocsparse_index_base_b,@function
_ZN9rocsparseL18bsrxmvn_3x3_kernelILj256ELj4EdllfddEEvT3_20rocsparse_direction_NS_24const_host_device_scalarIT1_EES1_PKS1_PKT2_SA_S7_PKT4_PKT5_S5_PT6_21rocsparse_index_base_b: ; @_ZN9rocsparseL18bsrxmvn_3x3_kernelILj256ELj4EdllfddEEvT3_20rocsparse_direction_NS_24const_host_device_scalarIT1_EES1_PKS1_PKT2_SA_S7_PKT4_PKT5_S5_PT6_21rocsparse_index_base_b
; %bb.0:
	s_clause 0x2
	s_load_b64 s[8:9], s[0:1], 0x60
	s_load_b128 s[4:7], s[0:1], 0x10
	s_load_b64 s[2:3], s[0:1], 0x50
	s_wait_kmcnt 0x0
	s_bitcmp1_b32 s9, 0
	v_dual_mov_b32 v7, s5 :: v_dual_mov_b32 v6, s4
	s_cselect_b32 s9, -1, 0
	s_delay_alu instid0(SALU_CYCLE_1)
	s_and_b32 vcc_lo, exec_lo, s9
	s_xor_b32 s9, s9, -1
	s_cbranch_vccnz .LBB160_2
; %bb.1:
	v_dual_mov_b32 v1, s4 :: v_dual_mov_b32 v2, s5
	flat_load_b64 v[6:7], v[1:2]
.LBB160_2:
	v_dual_mov_b32 v5, s3 :: v_dual_mov_b32 v4, s2
	s_and_not1_b32 vcc_lo, exec_lo, s9
	s_cbranch_vccnz .LBB160_4
; %bb.3:
	v_dual_mov_b32 v1, s2 :: v_dual_mov_b32 v2, s3
	flat_load_b64 v[4:5], v[1:2]
.LBB160_4:
	s_wait_loadcnt_dscnt 0x0
	v_cmp_neq_f64_e32 vcc_lo, 0, v[6:7]
	v_cmp_neq_f64_e64 s2, 1.0, v[4:5]
	s_or_b32 s2, vcc_lo, s2
	s_wait_alu 0xfffe
	s_and_saveexec_b32 s3, s2
	s_cbranch_execz .LBB160_10
; %bb.5:
	s_load_b64 s[2:3], s[0:1], 0x20
	v_lshrrev_b32_e32 v1, 2, v0
	v_mov_b32_e32 v11, 0
	s_delay_alu instid0(VALU_DEP_2)
	v_lshl_or_b32 v10, ttmp9, 6, v1
	s_wait_kmcnt 0x0
	s_cmp_lg_u64 s[2:3], 0
	s_cbranch_scc0 .LBB160_11
; %bb.6:
	s_delay_alu instid0(VALU_DEP_1)
	v_cmp_gt_i64_e32 vcc_lo, s[6:7], v[10:11]
	s_mov_b32 s5, 0
	s_mov_b32 s4, 0
                                        ; implicit-def: $vgpr8_vgpr9
                                        ; implicit-def: $vgpr1_vgpr2
	s_and_saveexec_b32 s6, vcc_lo
	s_wait_alu 0xfffe
	s_xor_b32 s6, exec_lo, s6
	s_cbranch_execz .LBB160_8
; %bb.7:
	v_lshlrev_b64_e32 v[1:2], 3, v[10:11]
	s_mov_b32 s9, 0
	s_mov_b32 s4, exec_lo
	s_delay_alu instid0(VALU_DEP_1) | instskip(NEXT) | instid1(VALU_DEP_1)
	v_add_co_u32 v1, vcc_lo, s2, v1
	v_add_co_ci_u32_e64 v2, null, s3, v2, vcc_lo
	global_load_b64 v[1:2], v[1:2], off
	s_wait_loadcnt 0x0
	v_sub_co_u32 v8, vcc_lo, v1, s8
	s_wait_alu 0xfffd
	v_subrev_co_ci_u32_e64 v9, null, 0, v2, vcc_lo
	v_dual_mov_b32 v1, s8 :: v_dual_mov_b32 v2, s9
.LBB160_8:
	s_wait_alu 0xfffe
	s_or_b32 exec_lo, exec_lo, s6
	s_delay_alu instid0(SALU_CYCLE_1)
	s_and_b32 vcc_lo, exec_lo, s5
	s_wait_alu 0xfffe
	s_cbranch_vccnz .LBB160_12
.LBB160_9:
	s_wait_alu 0xfffe
	s_and_b32 exec_lo, exec_lo, s4
	s_cbranch_execnz .LBB160_15
.LBB160_10:
	s_endpgm
.LBB160_11:
	s_mov_b32 s4, 0
                                        ; implicit-def: $vgpr8_vgpr9
                                        ; implicit-def: $vgpr1_vgpr2
	s_cbranch_execz .LBB160_9
.LBB160_12:
	s_load_b64 s[2:3], s[0:1], 0x0
	s_wait_kmcnt 0x0
	v_cmp_gt_i64_e32 vcc_lo, s[2:3], v[10:11]
	s_and_saveexec_b32 s2, vcc_lo
; %bb.13:
	s_mov_b32 s9, 0
	s_or_b32 s4, s4, exec_lo
; %bb.14:
	s_wait_alu 0xfffe
	s_or_b32 exec_lo, exec_lo, s2
	v_dual_mov_b32 v1, s8 :: v_dual_mov_b32 v2, s9
	v_dual_mov_b32 v8, v10 :: v_dual_mov_b32 v9, v11
	s_and_b32 exec_lo, exec_lo, s4
	s_cbranch_execz .LBB160_10
.LBB160_15:
	s_load_b256 s[4:11], s[0:1], 0x28
	s_delay_alu instid0(VALU_DEP_1) | instskip(SKIP_2) | instid1(VALU_DEP_2)
	v_lshlrev_b64_e32 v[10:11], 3, v[8:9]
	v_and_b32_e32 v28, 3, v0
	s_wait_kmcnt 0x0
	v_add_co_u32 v12, vcc_lo, s4, v10
	s_wait_alu 0xfffd
	s_delay_alu instid0(VALU_DEP_3)
	v_add_co_ci_u32_e64 v13, null, s5, v11, vcc_lo
	v_add_co_u32 v3, vcc_lo, s6, v10
	s_wait_alu 0xfffd
	v_add_co_ci_u32_e64 v10, null, s7, v11, vcc_lo
	global_load_b64 v[14:15], v[12:13], off
	v_add_co_u32 v12, vcc_lo, v12, 8
	s_wait_alu 0xfffd
	v_add_co_ci_u32_e64 v11, null, 0, v13, vcc_lo
	s_cmp_eq_u64 s[6:7], 0
	s_cselect_b32 vcc_lo, -1, 0
	s_wait_alu 0xfffe
	v_dual_cndmask_b32 v11, v10, v11 :: v_dual_cndmask_b32 v10, v3, v12
	global_load_b64 v[16:17], v[10:11], off
	s_clause 0x1
	s_load_b32 s3, s[0:1], 0x8
	s_load_b64 s[4:5], s[0:1], 0x48
	s_wait_kmcnt 0x0
	s_cmp_eq_u32 s3, 1
	s_wait_loadcnt 0x1
	v_sub_co_u32 v0, vcc_lo, v14, v1
	s_wait_alu 0xfffd
	v_sub_co_ci_u32_e64 v3, null, v15, v2, vcc_lo
	s_delay_alu instid0(VALU_DEP_2) | instskip(SKIP_1) | instid1(VALU_DEP_2)
	v_add_co_u32 v10, vcc_lo, v0, v28
	s_wait_alu 0xfffd
	v_add_co_ci_u32_e64 v11, null, 0, v3, vcc_lo
	s_delay_alu instid0(VALU_DEP_2) | instskip(SKIP_4) | instid1(VALU_DEP_3)
	v_mad_co_u64_u32 v[12:13], null, v10, 36, s[10:11]
	s_wait_loadcnt 0x0
	v_sub_co_u32 v16, vcc_lo, v16, v1
	s_wait_alu 0xfffd
	v_sub_co_ci_u32_e64 v17, null, v17, v2, vcc_lo
	v_mov_b32_e32 v0, v13
	s_delay_alu instid0(VALU_DEP_2) | instskip(NEXT) | instid1(VALU_DEP_2)
	v_cmp_lt_i64_e64 s2, v[10:11], v[16:17]
	v_mad_co_u64_u32 v[13:14], null, v11, 36, v[0:1]
	s_cbranch_scc1 .LBB160_21
; %bb.16:
	v_mov_b32_e32 v14, 0
	v_dual_mov_b32 v15, 0 :: v_dual_mov_b32 v18, 0
	v_dual_mov_b32 v20, 0 :: v_dual_mov_b32 v19, 0
	v_mov_b32_e32 v21, 0
	s_and_saveexec_b32 s6, s2
	s_cbranch_execz .LBB160_20
; %bb.17:
	v_lshlrev_b64_e32 v[18:19], 3, v[10:11]
	v_dual_mov_b32 v14, 0 :: v_dual_mov_b32 v23, v13
	v_dual_mov_b32 v15, 0 :: v_dual_mov_b32 v22, v12
	;; [unrolled: 1-line block ×3, first 2 shown]
	s_delay_alu instid0(VALU_DEP_4)
	v_add_co_u32 v24, vcc_lo, s8, v18
	s_wait_alu 0xfffd
	v_add_co_ci_u32_e64 v25, null, s9, v19, vcc_lo
	v_mov_b32_e32 v18, 0
	v_dual_mov_b32 v19, 0 :: v_dual_mov_b32 v20, 0
	v_mov_b32_e32 v21, 0
	s_mov_b32 s7, 0
.LBB160_18:                             ; =>This Inner Loop Header: Depth=1
	global_load_b64 v[37:38], v[24:25], off
	s_clause 0x1
	global_load_b128 v[29:32], v[22:23], off
	global_load_b128 v[33:36], v[22:23], off offset:16
	v_add_co_u32 v24, s3, v24, 32
	s_wait_alu 0xf1ff
	v_add_co_ci_u32_e64 v25, null, 0, v25, s3
	s_wait_loadcnt 0x2
	v_sub_co_u32 v0, vcc_lo, v37, v1
	s_wait_alu 0xfffd
	v_sub_co_ci_u32_e64 v3, null, v38, v2, vcc_lo
	s_wait_loadcnt 0x1
	v_cvt_f64_f32_e32 v[43:44], v29
	v_mad_co_u64_u32 v[41:42], null, v0, 24, s[4:5]
	v_cvt_f64_f32_e32 v[45:46], v32
	s_wait_loadcnt 0x0
	v_cvt_f64_f32_e32 v[47:48], v35
	v_cvt_f64_f32_e32 v[29:30], v30
	;; [unrolled: 1-line block ×4, first 2 shown]
	v_add_co_u32 v26, vcc_lo, v26, 4
	v_mov_b32_e32 v0, v42
	s_wait_alu 0xfffd
	v_add_co_ci_u32_e64 v27, null, 0, v27, vcc_lo
	s_delay_alu instid0(VALU_DEP_2) | instskip(NEXT) | instid1(VALU_DEP_1)
	v_mad_co_u64_u32 v[37:38], null, v3, 24, v[0:1]
	v_mov_b32_e32 v42, v37
	s_clause 0x1
	global_load_b128 v[37:40], v[41:42], off
	global_load_b64 v[41:42], v[41:42], off offset:16
	global_load_b32 v0, v[22:23], off offset:32
	v_add_co_u32 v22, vcc_lo, 0x90, v22
	s_wait_alu 0xfffd
	v_add_co_ci_u32_e64 v23, null, 0, v23, vcc_lo
	v_cmp_ge_i64_e32 vcc_lo, v[26:27], v[16:17]
	s_wait_alu 0xfffe
	s_or_b32 s7, vcc_lo, s7
	s_wait_loadcnt 0x2
	v_fma_f64 v[20:21], v[43:44], v[37:38], v[20:21]
	v_fma_f64 v[18:19], v[45:46], v[37:38], v[18:19]
	v_fma_f64 v[14:15], v[47:48], v[37:38], v[14:15]
	v_cvt_f64_f32_e32 v[37:38], v31
	v_cvt_f64_f32_e32 v[43:44], v34
	s_wait_loadcnt 0x0
	v_cvt_f64_f32_e32 v[45:46], v0
	v_fma_f64 v[20:21], v[29:30], v[39:40], v[20:21]
	v_fma_f64 v[18:19], v[32:33], v[39:40], v[18:19]
	;; [unrolled: 1-line block ×3, first 2 shown]
	s_delay_alu instid0(VALU_DEP_3) | instskip(NEXT) | instid1(VALU_DEP_3)
	v_fma_f64 v[20:21], v[37:38], v[41:42], v[20:21]
	v_fma_f64 v[18:19], v[43:44], v[41:42], v[18:19]
	s_delay_alu instid0(VALU_DEP_3)
	v_fma_f64 v[14:15], v[45:46], v[41:42], v[14:15]
	s_wait_alu 0xfffe
	s_and_not1_b32 exec_lo, exec_lo, s7
	s_cbranch_execnz .LBB160_18
; %bb.19:
	s_or_b32 exec_lo, exec_lo, s7
.LBB160_20:
	s_wait_alu 0xfffe
	s_or_b32 exec_lo, exec_lo, s6
	s_cbranch_execz .LBB160_22
	s_branch .LBB160_27
.LBB160_21:
                                        ; implicit-def: $vgpr14_vgpr15
                                        ; implicit-def: $vgpr18_vgpr19
                                        ; implicit-def: $vgpr20_vgpr21
.LBB160_22:
	v_mov_b32_e32 v14, 0
	v_dual_mov_b32 v15, 0 :: v_dual_mov_b32 v18, 0
	v_dual_mov_b32 v20, 0 :: v_dual_mov_b32 v19, 0
	v_mov_b32_e32 v21, 0
	s_and_saveexec_b32 s3, s2
	s_cbranch_execz .LBB160_26
; %bb.23:
	v_lshlrev_b64_e32 v[22:23], 3, v[10:11]
	v_mov_b32_e32 v14, 0
	v_dual_mov_b32 v15, 0 :: v_dual_mov_b32 v18, 0
	v_dual_mov_b32 v20, 0 :: v_dual_mov_b32 v19, 0
	s_delay_alu instid0(VALU_DEP_4)
	v_add_co_u32 v22, vcc_lo, s8, v22
	v_mov_b32_e32 v21, 0
	s_wait_alu 0xfffd
	v_add_co_ci_u32_e64 v23, null, s9, v23, vcc_lo
	s_mov_b32 s6, 0
.LBB160_24:                             ; =>This Inner Loop Header: Depth=1
	global_load_b64 v[33:34], v[22:23], off
	s_clause 0x1
	global_load_b128 v[24:27], v[12:13], off
	global_load_b128 v[29:32], v[12:13], off offset:16
	v_add_co_u32 v22, s2, v22, 32
	s_wait_alu 0xf1ff
	v_add_co_ci_u32_e64 v23, null, 0, v23, s2
	s_wait_loadcnt 0x2
	v_sub_co_u32 v0, vcc_lo, v33, v1
	s_wait_alu 0xfffd
	v_sub_co_ci_u32_e64 v3, null, v34, v2, vcc_lo
	s_wait_loadcnt 0x1
	v_cvt_f64_f32_e32 v[39:40], v24
	v_mad_co_u64_u32 v[37:38], null, v0, 24, s[4:5]
	v_cvt_f64_f32_e32 v[24:25], v25
	v_cvt_f64_f32_e32 v[41:42], v26
	;; [unrolled: 1-line block ×3, first 2 shown]
	s_wait_loadcnt 0x0
	v_cvt_f64_f32_e32 v[43:44], v29
	v_cvt_f64_f32_e32 v[29:30], v30
	v_add_co_u32 v10, vcc_lo, v10, 4
	v_mov_b32_e32 v0, v38
	s_wait_alu 0xfffd
	v_add_co_ci_u32_e64 v11, null, 0, v11, vcc_lo
	s_delay_alu instid0(VALU_DEP_2) | instskip(NEXT) | instid1(VALU_DEP_1)
	v_mad_co_u64_u32 v[33:34], null, v3, 24, v[0:1]
	v_mov_b32_e32 v38, v33
	s_clause 0x1
	global_load_b128 v[33:36], v[37:38], off
	global_load_b64 v[37:38], v[37:38], off offset:16
	global_load_b32 v0, v[12:13], off offset:32
	v_add_co_u32 v12, vcc_lo, 0x90, v12
	s_wait_alu 0xfffd
	v_add_co_ci_u32_e64 v13, null, 0, v13, vcc_lo
	v_cmp_ge_i64_e32 vcc_lo, v[10:11], v[16:17]
	s_wait_alu 0xfffe
	s_or_b32 s6, vcc_lo, s6
	s_wait_loadcnt 0x2
	v_fma_f64 v[20:21], v[39:40], v[33:34], v[20:21]
	v_fma_f64 v[18:19], v[24:25], v[33:34], v[18:19]
	;; [unrolled: 1-line block ×3, first 2 shown]
	v_cvt_f64_f32_e32 v[24:25], v31
	v_cvt_f64_f32_e32 v[31:32], v32
	s_wait_loadcnt 0x0
	v_cvt_f64_f32_e32 v[33:34], v0
	v_fma_f64 v[20:21], v[26:27], v[35:36], v[20:21]
	v_fma_f64 v[18:19], v[43:44], v[35:36], v[18:19]
	;; [unrolled: 1-line block ×3, first 2 shown]
	s_delay_alu instid0(VALU_DEP_3) | instskip(NEXT) | instid1(VALU_DEP_3)
	v_fma_f64 v[20:21], v[24:25], v[37:38], v[20:21]
	v_fma_f64 v[18:19], v[31:32], v[37:38], v[18:19]
	s_delay_alu instid0(VALU_DEP_3)
	v_fma_f64 v[14:15], v[33:34], v[37:38], v[14:15]
	s_wait_alu 0xfffe
	s_and_not1_b32 exec_lo, exec_lo, s6
	s_cbranch_execnz .LBB160_24
; %bb.25:
	s_or_b32 exec_lo, exec_lo, s6
.LBB160_26:
	s_wait_alu 0xfffe
	s_or_b32 exec_lo, exec_lo, s3
.LBB160_27:
	v_mbcnt_lo_u32_b32 v16, -1, 0
	s_delay_alu instid0(VALU_DEP_1) | instskip(NEXT) | instid1(VALU_DEP_1)
	v_xor_b32_e32 v0, 2, v16
	v_cmp_gt_i32_e32 vcc_lo, 32, v0
	s_wait_alu 0xfffd
	v_cndmask_b32_e32 v0, v16, v0, vcc_lo
	s_delay_alu instid0(VALU_DEP_1)
	v_lshlrev_b32_e32 v10, 2, v0
	ds_bpermute_b32 v0, v10, v20
	ds_bpermute_b32 v1, v10, v21
	;; [unrolled: 1-line block ×6, first 2 shown]
	s_wait_dscnt 0x4
	v_add_f64_e32 v[10:11], v[20:21], v[0:1]
	s_wait_dscnt 0x2
	v_add_f64_e32 v[0:1], v[18:19], v[2:3]
	;; [unrolled: 2-line block ×3, first 2 shown]
	v_xor_b32_e32 v12, 1, v16
	s_delay_alu instid0(VALU_DEP_1) | instskip(SKIP_3) | instid1(VALU_DEP_2)
	v_cmp_gt_i32_e32 vcc_lo, 32, v12
	s_wait_alu 0xfffd
	v_cndmask_b32_e32 v12, v16, v12, vcc_lo
	v_cmp_eq_u32_e32 vcc_lo, 3, v28
	v_lshlrev_b32_e32 v13, 2, v12
	ds_bpermute_b32 v16, v13, v10
	ds_bpermute_b32 v17, v13, v11
	;; [unrolled: 1-line block ×6, first 2 shown]
	s_and_b32 exec_lo, exec_lo, vcc_lo
	s_cbranch_execz .LBB160_10
; %bb.28:
	s_wait_dscnt 0x4
	v_add_f64_e32 v[10:11], v[10:11], v[16:17]
	s_wait_dscnt 0x2
	v_add_f64_e32 v[14:15], v[0:1], v[14:15]
	;; [unrolled: 2-line block ×3, first 2 shown]
	s_load_b64 s[0:1], s[0:1], 0x58
	s_mov_b32 s2, exec_lo
	s_delay_alu instid0(VALU_DEP_3) | instskip(NEXT) | instid1(VALU_DEP_3)
	v_mul_f64_e32 v[0:1], v[6:7], v[10:11]
	v_mul_f64_e32 v[2:3], v[6:7], v[14:15]
	s_delay_alu instid0(VALU_DEP_3)
	v_mul_f64_e32 v[6:7], v[6:7], v[12:13]
	v_cmpx_eq_f64_e32 0, v[4:5]
	s_wait_alu 0xfffe
	s_xor_b32 s2, exec_lo, s2
	s_cbranch_execz .LBB160_30
; %bb.29:
	s_wait_kmcnt 0x0
	v_mad_co_u64_u32 v[4:5], null, v8, 24, s[0:1]
	s_delay_alu instid0(VALU_DEP_1) | instskip(NEXT) | instid1(VALU_DEP_1)
	v_mad_co_u64_u32 v[8:9], null, v9, 24, v[5:6]
	v_mov_b32_e32 v5, v8
                                        ; implicit-def: $vgpr8_vgpr9
	s_clause 0x1
	global_store_b128 v[4:5], v[0:3], off
	global_store_b64 v[4:5], v[6:7], off offset:16
                                        ; implicit-def: $vgpr4_vgpr5
                                        ; implicit-def: $vgpr0_vgpr1
                                        ; implicit-def: $vgpr6_vgpr7
.LBB160_30:
	s_wait_alu 0xfffe
	s_and_not1_saveexec_b32 s2, s2
	s_cbranch_execz .LBB160_10
; %bb.31:
	s_wait_kmcnt 0x0
	v_mad_co_u64_u32 v[12:13], null, v8, 24, s[0:1]
	s_delay_alu instid0(VALU_DEP_1) | instskip(NEXT) | instid1(VALU_DEP_1)
	v_mov_b32_e32 v8, v13
	v_mad_co_u64_u32 v[8:9], null, v9, 24, v[8:9]
	s_delay_alu instid0(VALU_DEP_1)
	v_mov_b32_e32 v13, v8
	s_clause 0x1
	global_load_b128 v[8:11], v[12:13], off
	global_load_b64 v[14:15], v[12:13], off offset:16
	s_wait_loadcnt 0x1
	v_fma_f64 v[0:1], v[4:5], v[8:9], v[0:1]
	v_fma_f64 v[2:3], v[4:5], v[10:11], v[2:3]
	s_wait_loadcnt 0x0
	v_fma_f64 v[4:5], v[4:5], v[14:15], v[6:7]
	s_clause 0x1
	global_store_b128 v[12:13], v[0:3], off
	global_store_b64 v[12:13], v[4:5], off offset:16
	s_endpgm
	.section	.rodata,"a",@progbits
	.p2align	6, 0x0
	.amdhsa_kernel _ZN9rocsparseL18bsrxmvn_3x3_kernelILj256ELj4EdllfddEEvT3_20rocsparse_direction_NS_24const_host_device_scalarIT1_EES1_PKS1_PKT2_SA_S7_PKT4_PKT5_S5_PT6_21rocsparse_index_base_b
		.amdhsa_group_segment_fixed_size 0
		.amdhsa_private_segment_fixed_size 0
		.amdhsa_kernarg_size 104
		.amdhsa_user_sgpr_count 2
		.amdhsa_user_sgpr_dispatch_ptr 0
		.amdhsa_user_sgpr_queue_ptr 0
		.amdhsa_user_sgpr_kernarg_segment_ptr 1
		.amdhsa_user_sgpr_dispatch_id 0
		.amdhsa_user_sgpr_private_segment_size 0
		.amdhsa_wavefront_size32 1
		.amdhsa_uses_dynamic_stack 0
		.amdhsa_enable_private_segment 0
		.amdhsa_system_sgpr_workgroup_id_x 1
		.amdhsa_system_sgpr_workgroup_id_y 0
		.amdhsa_system_sgpr_workgroup_id_z 0
		.amdhsa_system_sgpr_workgroup_info 0
		.amdhsa_system_vgpr_workitem_id 0
		.amdhsa_next_free_vgpr 49
		.amdhsa_next_free_sgpr 12
		.amdhsa_reserve_vcc 1
		.amdhsa_float_round_mode_32 0
		.amdhsa_float_round_mode_16_64 0
		.amdhsa_float_denorm_mode_32 3
		.amdhsa_float_denorm_mode_16_64 3
		.amdhsa_fp16_overflow 0
		.amdhsa_workgroup_processor_mode 1
		.amdhsa_memory_ordered 1
		.amdhsa_forward_progress 1
		.amdhsa_inst_pref_size 17
		.amdhsa_round_robin_scheduling 0
		.amdhsa_exception_fp_ieee_invalid_op 0
		.amdhsa_exception_fp_denorm_src 0
		.amdhsa_exception_fp_ieee_div_zero 0
		.amdhsa_exception_fp_ieee_overflow 0
		.amdhsa_exception_fp_ieee_underflow 0
		.amdhsa_exception_fp_ieee_inexact 0
		.amdhsa_exception_int_div_zero 0
	.end_amdhsa_kernel
	.section	.text._ZN9rocsparseL18bsrxmvn_3x3_kernelILj256ELj4EdllfddEEvT3_20rocsparse_direction_NS_24const_host_device_scalarIT1_EES1_PKS1_PKT2_SA_S7_PKT4_PKT5_S5_PT6_21rocsparse_index_base_b,"axG",@progbits,_ZN9rocsparseL18bsrxmvn_3x3_kernelILj256ELj4EdllfddEEvT3_20rocsparse_direction_NS_24const_host_device_scalarIT1_EES1_PKS1_PKT2_SA_S7_PKT4_PKT5_S5_PT6_21rocsparse_index_base_b,comdat
.Lfunc_end160:
	.size	_ZN9rocsparseL18bsrxmvn_3x3_kernelILj256ELj4EdllfddEEvT3_20rocsparse_direction_NS_24const_host_device_scalarIT1_EES1_PKS1_PKT2_SA_S7_PKT4_PKT5_S5_PT6_21rocsparse_index_base_b, .Lfunc_end160-_ZN9rocsparseL18bsrxmvn_3x3_kernelILj256ELj4EdllfddEEvT3_20rocsparse_direction_NS_24const_host_device_scalarIT1_EES1_PKS1_PKT2_SA_S7_PKT4_PKT5_S5_PT6_21rocsparse_index_base_b
                                        ; -- End function
	.set _ZN9rocsparseL18bsrxmvn_3x3_kernelILj256ELj4EdllfddEEvT3_20rocsparse_direction_NS_24const_host_device_scalarIT1_EES1_PKS1_PKT2_SA_S7_PKT4_PKT5_S5_PT6_21rocsparse_index_base_b.num_vgpr, 49
	.set _ZN9rocsparseL18bsrxmvn_3x3_kernelILj256ELj4EdllfddEEvT3_20rocsparse_direction_NS_24const_host_device_scalarIT1_EES1_PKS1_PKT2_SA_S7_PKT4_PKT5_S5_PT6_21rocsparse_index_base_b.num_agpr, 0
	.set _ZN9rocsparseL18bsrxmvn_3x3_kernelILj256ELj4EdllfddEEvT3_20rocsparse_direction_NS_24const_host_device_scalarIT1_EES1_PKS1_PKT2_SA_S7_PKT4_PKT5_S5_PT6_21rocsparse_index_base_b.numbered_sgpr, 12
	.set _ZN9rocsparseL18bsrxmvn_3x3_kernelILj256ELj4EdllfddEEvT3_20rocsparse_direction_NS_24const_host_device_scalarIT1_EES1_PKS1_PKT2_SA_S7_PKT4_PKT5_S5_PT6_21rocsparse_index_base_b.num_named_barrier, 0
	.set _ZN9rocsparseL18bsrxmvn_3x3_kernelILj256ELj4EdllfddEEvT3_20rocsparse_direction_NS_24const_host_device_scalarIT1_EES1_PKS1_PKT2_SA_S7_PKT4_PKT5_S5_PT6_21rocsparse_index_base_b.private_seg_size, 0
	.set _ZN9rocsparseL18bsrxmvn_3x3_kernelILj256ELj4EdllfddEEvT3_20rocsparse_direction_NS_24const_host_device_scalarIT1_EES1_PKS1_PKT2_SA_S7_PKT4_PKT5_S5_PT6_21rocsparse_index_base_b.uses_vcc, 1
	.set _ZN9rocsparseL18bsrxmvn_3x3_kernelILj256ELj4EdllfddEEvT3_20rocsparse_direction_NS_24const_host_device_scalarIT1_EES1_PKS1_PKT2_SA_S7_PKT4_PKT5_S5_PT6_21rocsparse_index_base_b.uses_flat_scratch, 0
	.set _ZN9rocsparseL18bsrxmvn_3x3_kernelILj256ELj4EdllfddEEvT3_20rocsparse_direction_NS_24const_host_device_scalarIT1_EES1_PKS1_PKT2_SA_S7_PKT4_PKT5_S5_PT6_21rocsparse_index_base_b.has_dyn_sized_stack, 0
	.set _ZN9rocsparseL18bsrxmvn_3x3_kernelILj256ELj4EdllfddEEvT3_20rocsparse_direction_NS_24const_host_device_scalarIT1_EES1_PKS1_PKT2_SA_S7_PKT4_PKT5_S5_PT6_21rocsparse_index_base_b.has_recursion, 0
	.set _ZN9rocsparseL18bsrxmvn_3x3_kernelILj256ELj4EdllfddEEvT3_20rocsparse_direction_NS_24const_host_device_scalarIT1_EES1_PKS1_PKT2_SA_S7_PKT4_PKT5_S5_PT6_21rocsparse_index_base_b.has_indirect_call, 0
	.section	.AMDGPU.csdata,"",@progbits
; Kernel info:
; codeLenInByte = 2068
; TotalNumSgprs: 14
; NumVgprs: 49
; ScratchSize: 0
; MemoryBound: 0
; FloatMode: 240
; IeeeMode: 1
; LDSByteSize: 0 bytes/workgroup (compile time only)
; SGPRBlocks: 0
; VGPRBlocks: 6
; NumSGPRsForWavesPerEU: 14
; NumVGPRsForWavesPerEU: 49
; Occupancy: 16
; WaveLimiterHint : 1
; COMPUTE_PGM_RSRC2:SCRATCH_EN: 0
; COMPUTE_PGM_RSRC2:USER_SGPR: 2
; COMPUTE_PGM_RSRC2:TRAP_HANDLER: 0
; COMPUTE_PGM_RSRC2:TGID_X_EN: 1
; COMPUTE_PGM_RSRC2:TGID_Y_EN: 0
; COMPUTE_PGM_RSRC2:TGID_Z_EN: 0
; COMPUTE_PGM_RSRC2:TIDIG_COMP_CNT: 0
	.section	.text._ZN9rocsparseL18bsrxmvn_3x3_kernelILj256ELj8EdllfddEEvT3_20rocsparse_direction_NS_24const_host_device_scalarIT1_EES1_PKS1_PKT2_SA_S7_PKT4_PKT5_S5_PT6_21rocsparse_index_base_b,"axG",@progbits,_ZN9rocsparseL18bsrxmvn_3x3_kernelILj256ELj8EdllfddEEvT3_20rocsparse_direction_NS_24const_host_device_scalarIT1_EES1_PKS1_PKT2_SA_S7_PKT4_PKT5_S5_PT6_21rocsparse_index_base_b,comdat
	.globl	_ZN9rocsparseL18bsrxmvn_3x3_kernelILj256ELj8EdllfddEEvT3_20rocsparse_direction_NS_24const_host_device_scalarIT1_EES1_PKS1_PKT2_SA_S7_PKT4_PKT5_S5_PT6_21rocsparse_index_base_b ; -- Begin function _ZN9rocsparseL18bsrxmvn_3x3_kernelILj256ELj8EdllfddEEvT3_20rocsparse_direction_NS_24const_host_device_scalarIT1_EES1_PKS1_PKT2_SA_S7_PKT4_PKT5_S5_PT6_21rocsparse_index_base_b
	.p2align	8
	.type	_ZN9rocsparseL18bsrxmvn_3x3_kernelILj256ELj8EdllfddEEvT3_20rocsparse_direction_NS_24const_host_device_scalarIT1_EES1_PKS1_PKT2_SA_S7_PKT4_PKT5_S5_PT6_21rocsparse_index_base_b,@function
_ZN9rocsparseL18bsrxmvn_3x3_kernelILj256ELj8EdllfddEEvT3_20rocsparse_direction_NS_24const_host_device_scalarIT1_EES1_PKS1_PKT2_SA_S7_PKT4_PKT5_S5_PT6_21rocsparse_index_base_b: ; @_ZN9rocsparseL18bsrxmvn_3x3_kernelILj256ELj8EdllfddEEvT3_20rocsparse_direction_NS_24const_host_device_scalarIT1_EES1_PKS1_PKT2_SA_S7_PKT4_PKT5_S5_PT6_21rocsparse_index_base_b
; %bb.0:
	s_clause 0x2
	s_load_b64 s[8:9], s[0:1], 0x60
	s_load_b128 s[4:7], s[0:1], 0x10
	s_load_b64 s[2:3], s[0:1], 0x50
	s_wait_kmcnt 0x0
	s_bitcmp1_b32 s9, 0
	v_dual_mov_b32 v7, s5 :: v_dual_mov_b32 v6, s4
	s_cselect_b32 s9, -1, 0
	s_delay_alu instid0(SALU_CYCLE_1)
	s_and_b32 vcc_lo, exec_lo, s9
	s_xor_b32 s9, s9, -1
	s_cbranch_vccnz .LBB161_2
; %bb.1:
	v_dual_mov_b32 v1, s4 :: v_dual_mov_b32 v2, s5
	flat_load_b64 v[6:7], v[1:2]
.LBB161_2:
	v_dual_mov_b32 v5, s3 :: v_dual_mov_b32 v4, s2
	s_and_not1_b32 vcc_lo, exec_lo, s9
	s_cbranch_vccnz .LBB161_4
; %bb.3:
	v_dual_mov_b32 v1, s2 :: v_dual_mov_b32 v2, s3
	flat_load_b64 v[4:5], v[1:2]
.LBB161_4:
	s_wait_loadcnt_dscnt 0x0
	v_cmp_neq_f64_e32 vcc_lo, 0, v[6:7]
	v_cmp_neq_f64_e64 s2, 1.0, v[4:5]
	s_or_b32 s2, vcc_lo, s2
	s_wait_alu 0xfffe
	s_and_saveexec_b32 s3, s2
	s_cbranch_execz .LBB161_10
; %bb.5:
	s_load_b64 s[2:3], s[0:1], 0x20
	v_lshrrev_b32_e32 v1, 3, v0
	v_mov_b32_e32 v11, 0
	s_delay_alu instid0(VALU_DEP_2)
	v_lshl_or_b32 v10, ttmp9, 5, v1
	s_wait_kmcnt 0x0
	s_cmp_lg_u64 s[2:3], 0
	s_cbranch_scc0 .LBB161_11
; %bb.6:
	s_delay_alu instid0(VALU_DEP_1)
	v_cmp_gt_i64_e32 vcc_lo, s[6:7], v[10:11]
	s_mov_b32 s5, 0
	s_mov_b32 s4, 0
                                        ; implicit-def: $vgpr8_vgpr9
                                        ; implicit-def: $vgpr1_vgpr2
	s_and_saveexec_b32 s6, vcc_lo
	s_wait_alu 0xfffe
	s_xor_b32 s6, exec_lo, s6
	s_cbranch_execz .LBB161_8
; %bb.7:
	v_lshlrev_b64_e32 v[1:2], 3, v[10:11]
	s_mov_b32 s9, 0
	s_mov_b32 s4, exec_lo
	s_delay_alu instid0(VALU_DEP_1) | instskip(NEXT) | instid1(VALU_DEP_1)
	v_add_co_u32 v1, vcc_lo, s2, v1
	v_add_co_ci_u32_e64 v2, null, s3, v2, vcc_lo
	global_load_b64 v[1:2], v[1:2], off
	s_wait_loadcnt 0x0
	v_sub_co_u32 v8, vcc_lo, v1, s8
	s_wait_alu 0xfffd
	v_subrev_co_ci_u32_e64 v9, null, 0, v2, vcc_lo
	v_dual_mov_b32 v1, s8 :: v_dual_mov_b32 v2, s9
.LBB161_8:
	s_wait_alu 0xfffe
	s_or_b32 exec_lo, exec_lo, s6
	s_delay_alu instid0(SALU_CYCLE_1)
	s_and_b32 vcc_lo, exec_lo, s5
	s_wait_alu 0xfffe
	s_cbranch_vccnz .LBB161_12
.LBB161_9:
	s_wait_alu 0xfffe
	s_and_b32 exec_lo, exec_lo, s4
	s_cbranch_execnz .LBB161_15
.LBB161_10:
	s_endpgm
.LBB161_11:
	s_mov_b32 s4, 0
                                        ; implicit-def: $vgpr8_vgpr9
                                        ; implicit-def: $vgpr1_vgpr2
	s_cbranch_execz .LBB161_9
.LBB161_12:
	s_load_b64 s[2:3], s[0:1], 0x0
	s_wait_kmcnt 0x0
	v_cmp_gt_i64_e32 vcc_lo, s[2:3], v[10:11]
	s_and_saveexec_b32 s2, vcc_lo
; %bb.13:
	s_mov_b32 s9, 0
	s_or_b32 s4, s4, exec_lo
; %bb.14:
	s_wait_alu 0xfffe
	s_or_b32 exec_lo, exec_lo, s2
	v_dual_mov_b32 v1, s8 :: v_dual_mov_b32 v2, s9
	v_dual_mov_b32 v8, v10 :: v_dual_mov_b32 v9, v11
	s_and_b32 exec_lo, exec_lo, s4
	s_cbranch_execz .LBB161_10
.LBB161_15:
	s_load_b256 s[4:11], s[0:1], 0x28
	s_delay_alu instid0(VALU_DEP_1) | instskip(SKIP_2) | instid1(VALU_DEP_2)
	v_lshlrev_b64_e32 v[10:11], 3, v[8:9]
	v_and_b32_e32 v28, 7, v0
	s_wait_kmcnt 0x0
	v_add_co_u32 v12, vcc_lo, s4, v10
	s_wait_alu 0xfffd
	s_delay_alu instid0(VALU_DEP_3)
	v_add_co_ci_u32_e64 v13, null, s5, v11, vcc_lo
	v_add_co_u32 v3, vcc_lo, s6, v10
	s_wait_alu 0xfffd
	v_add_co_ci_u32_e64 v10, null, s7, v11, vcc_lo
	global_load_b64 v[14:15], v[12:13], off
	v_add_co_u32 v12, vcc_lo, v12, 8
	s_wait_alu 0xfffd
	v_add_co_ci_u32_e64 v11, null, 0, v13, vcc_lo
	s_cmp_eq_u64 s[6:7], 0
	s_cselect_b32 vcc_lo, -1, 0
	s_wait_alu 0xfffe
	v_dual_cndmask_b32 v11, v10, v11 :: v_dual_cndmask_b32 v10, v3, v12
	global_load_b64 v[10:11], v[10:11], off
	s_clause 0x1
	s_load_b32 s3, s[0:1], 0x8
	s_load_b64 s[4:5], s[0:1], 0x48
	s_wait_kmcnt 0x0
	s_cmp_eq_u32 s3, 1
	s_wait_loadcnt 0x1
	v_sub_co_u32 v0, vcc_lo, v14, v1
	s_wait_alu 0xfffd
	v_sub_co_ci_u32_e64 v3, null, v15, v2, vcc_lo
	s_delay_alu instid0(VALU_DEP_2) | instskip(SKIP_1) | instid1(VALU_DEP_2)
	v_add_co_u32 v12, vcc_lo, v0, v28
	s_wait_alu 0xfffd
	v_add_co_ci_u32_e64 v13, null, 0, v3, vcc_lo
	s_delay_alu instid0(VALU_DEP_2) | instskip(NEXT) | instid1(VALU_DEP_1)
	v_mad_co_u64_u32 v[14:15], null, v12, 36, s[10:11]
	v_mov_b32_e32 v0, v15
	s_delay_alu instid0(VALU_DEP_1) | instskip(SKIP_4) | instid1(VALU_DEP_1)
	v_mad_co_u64_u32 v[15:16], null, v13, 36, v[0:1]
	s_wait_loadcnt 0x0
	v_sub_co_u32 v16, vcc_lo, v10, v1
	s_wait_alu 0xfffd
	v_sub_co_ci_u32_e64 v17, null, v11, v2, vcc_lo
	v_cmp_lt_i64_e64 s2, v[12:13], v[16:17]
	s_cbranch_scc1 .LBB161_21
; %bb.16:
	v_mov_b32_e32 v10, 0
	v_dual_mov_b32 v11, 0 :: v_dual_mov_b32 v18, 0
	v_dual_mov_b32 v20, 0 :: v_dual_mov_b32 v19, 0
	v_mov_b32_e32 v21, 0
	s_and_saveexec_b32 s6, s2
	s_cbranch_execz .LBB161_20
; %bb.17:
	v_lshlrev_b64_e32 v[18:19], 3, v[12:13]
	v_dual_mov_b32 v10, 0 :: v_dual_mov_b32 v23, v15
	v_dual_mov_b32 v11, 0 :: v_dual_mov_b32 v22, v14
	;; [unrolled: 1-line block ×3, first 2 shown]
	s_delay_alu instid0(VALU_DEP_4)
	v_add_co_u32 v24, vcc_lo, s8, v18
	s_wait_alu 0xfffd
	v_add_co_ci_u32_e64 v25, null, s9, v19, vcc_lo
	v_mov_b32_e32 v18, 0
	v_dual_mov_b32 v19, 0 :: v_dual_mov_b32 v20, 0
	v_mov_b32_e32 v21, 0
	s_mov_b32 s7, 0
.LBB161_18:                             ; =>This Inner Loop Header: Depth=1
	global_load_b64 v[37:38], v[24:25], off
	s_clause 0x1
	global_load_b128 v[29:32], v[22:23], off
	global_load_b128 v[33:36], v[22:23], off offset:16
	v_add_co_u32 v24, s3, v24, 64
	s_wait_alu 0xf1ff
	v_add_co_ci_u32_e64 v25, null, 0, v25, s3
	s_wait_loadcnt 0x2
	v_sub_co_u32 v0, vcc_lo, v37, v1
	s_wait_alu 0xfffd
	v_sub_co_ci_u32_e64 v3, null, v38, v2, vcc_lo
	s_wait_loadcnt 0x1
	v_cvt_f64_f32_e32 v[43:44], v29
	v_mad_co_u64_u32 v[41:42], null, v0, 24, s[4:5]
	v_cvt_f64_f32_e32 v[45:46], v32
	s_wait_loadcnt 0x0
	v_cvt_f64_f32_e32 v[47:48], v35
	v_cvt_f64_f32_e32 v[29:30], v30
	;; [unrolled: 1-line block ×4, first 2 shown]
	v_add_co_u32 v26, vcc_lo, v26, 8
	v_mov_b32_e32 v0, v42
	s_wait_alu 0xfffd
	v_add_co_ci_u32_e64 v27, null, 0, v27, vcc_lo
	s_delay_alu instid0(VALU_DEP_2) | instskip(NEXT) | instid1(VALU_DEP_1)
	v_mad_co_u64_u32 v[37:38], null, v3, 24, v[0:1]
	v_mov_b32_e32 v42, v37
	s_clause 0x1
	global_load_b128 v[37:40], v[41:42], off
	global_load_b64 v[41:42], v[41:42], off offset:16
	global_load_b32 v0, v[22:23], off offset:32
	v_add_co_u32 v22, vcc_lo, 0x120, v22
	s_wait_alu 0xfffd
	v_add_co_ci_u32_e64 v23, null, 0, v23, vcc_lo
	v_cmp_ge_i64_e32 vcc_lo, v[26:27], v[16:17]
	s_wait_alu 0xfffe
	s_or_b32 s7, vcc_lo, s7
	s_wait_loadcnt 0x2
	v_fma_f64 v[20:21], v[43:44], v[37:38], v[20:21]
	v_fma_f64 v[18:19], v[45:46], v[37:38], v[18:19]
	;; [unrolled: 1-line block ×3, first 2 shown]
	v_cvt_f64_f32_e32 v[37:38], v31
	v_cvt_f64_f32_e32 v[43:44], v34
	s_wait_loadcnt 0x0
	v_cvt_f64_f32_e32 v[45:46], v0
	v_fma_f64 v[20:21], v[29:30], v[39:40], v[20:21]
	v_fma_f64 v[18:19], v[32:33], v[39:40], v[18:19]
	;; [unrolled: 1-line block ×3, first 2 shown]
	s_delay_alu instid0(VALU_DEP_3) | instskip(NEXT) | instid1(VALU_DEP_3)
	v_fma_f64 v[20:21], v[37:38], v[41:42], v[20:21]
	v_fma_f64 v[18:19], v[43:44], v[41:42], v[18:19]
	s_delay_alu instid0(VALU_DEP_3)
	v_fma_f64 v[10:11], v[45:46], v[41:42], v[10:11]
	s_wait_alu 0xfffe
	s_and_not1_b32 exec_lo, exec_lo, s7
	s_cbranch_execnz .LBB161_18
; %bb.19:
	s_or_b32 exec_lo, exec_lo, s7
.LBB161_20:
	s_wait_alu 0xfffe
	s_or_b32 exec_lo, exec_lo, s6
	s_cbranch_execz .LBB161_22
	s_branch .LBB161_27
.LBB161_21:
                                        ; implicit-def: $vgpr10_vgpr11
                                        ; implicit-def: $vgpr18_vgpr19
                                        ; implicit-def: $vgpr20_vgpr21
.LBB161_22:
	v_mov_b32_e32 v10, 0
	v_dual_mov_b32 v11, 0 :: v_dual_mov_b32 v18, 0
	v_dual_mov_b32 v20, 0 :: v_dual_mov_b32 v19, 0
	v_mov_b32_e32 v21, 0
	s_and_saveexec_b32 s3, s2
	s_cbranch_execz .LBB161_26
; %bb.23:
	v_lshlrev_b64_e32 v[22:23], 3, v[12:13]
	v_mov_b32_e32 v10, 0
	v_dual_mov_b32 v11, 0 :: v_dual_mov_b32 v18, 0
	v_dual_mov_b32 v20, 0 :: v_dual_mov_b32 v19, 0
	s_delay_alu instid0(VALU_DEP_4)
	v_add_co_u32 v22, vcc_lo, s8, v22
	v_mov_b32_e32 v21, 0
	s_wait_alu 0xfffd
	v_add_co_ci_u32_e64 v23, null, s9, v23, vcc_lo
	s_mov_b32 s6, 0
.LBB161_24:                             ; =>This Inner Loop Header: Depth=1
	global_load_b64 v[33:34], v[22:23], off
	s_clause 0x1
	global_load_b128 v[24:27], v[14:15], off
	global_load_b128 v[29:32], v[14:15], off offset:16
	v_add_co_u32 v22, s2, v22, 64
	s_wait_alu 0xf1ff
	v_add_co_ci_u32_e64 v23, null, 0, v23, s2
	s_wait_loadcnt 0x2
	v_sub_co_u32 v0, vcc_lo, v33, v1
	s_wait_alu 0xfffd
	v_sub_co_ci_u32_e64 v3, null, v34, v2, vcc_lo
	s_wait_loadcnt 0x1
	v_cvt_f64_f32_e32 v[39:40], v24
	v_mad_co_u64_u32 v[37:38], null, v0, 24, s[4:5]
	v_cvt_f64_f32_e32 v[24:25], v25
	v_cvt_f64_f32_e32 v[41:42], v26
	;; [unrolled: 1-line block ×3, first 2 shown]
	s_wait_loadcnt 0x0
	v_cvt_f64_f32_e32 v[43:44], v29
	v_cvt_f64_f32_e32 v[29:30], v30
	v_add_co_u32 v12, vcc_lo, v12, 8
	v_mov_b32_e32 v0, v38
	s_wait_alu 0xfffd
	v_add_co_ci_u32_e64 v13, null, 0, v13, vcc_lo
	s_delay_alu instid0(VALU_DEP_2) | instskip(NEXT) | instid1(VALU_DEP_1)
	v_mad_co_u64_u32 v[33:34], null, v3, 24, v[0:1]
	v_mov_b32_e32 v38, v33
	s_clause 0x1
	global_load_b128 v[33:36], v[37:38], off
	global_load_b64 v[37:38], v[37:38], off offset:16
	global_load_b32 v0, v[14:15], off offset:32
	v_add_co_u32 v14, vcc_lo, 0x120, v14
	s_wait_alu 0xfffd
	v_add_co_ci_u32_e64 v15, null, 0, v15, vcc_lo
	v_cmp_ge_i64_e32 vcc_lo, v[12:13], v[16:17]
	s_wait_alu 0xfffe
	s_or_b32 s6, vcc_lo, s6
	s_wait_loadcnt 0x2
	v_fma_f64 v[20:21], v[39:40], v[33:34], v[20:21]
	v_fma_f64 v[18:19], v[24:25], v[33:34], v[18:19]
	;; [unrolled: 1-line block ×3, first 2 shown]
	v_cvt_f64_f32_e32 v[24:25], v31
	v_cvt_f64_f32_e32 v[31:32], v32
	s_wait_loadcnt 0x0
	v_cvt_f64_f32_e32 v[33:34], v0
	v_fma_f64 v[20:21], v[26:27], v[35:36], v[20:21]
	v_fma_f64 v[18:19], v[43:44], v[35:36], v[18:19]
	;; [unrolled: 1-line block ×3, first 2 shown]
	s_delay_alu instid0(VALU_DEP_3) | instskip(NEXT) | instid1(VALU_DEP_3)
	v_fma_f64 v[20:21], v[24:25], v[37:38], v[20:21]
	v_fma_f64 v[18:19], v[31:32], v[37:38], v[18:19]
	s_delay_alu instid0(VALU_DEP_3)
	v_fma_f64 v[10:11], v[33:34], v[37:38], v[10:11]
	s_wait_alu 0xfffe
	s_and_not1_b32 exec_lo, exec_lo, s6
	s_cbranch_execnz .LBB161_24
; %bb.25:
	s_or_b32 exec_lo, exec_lo, s6
.LBB161_26:
	s_wait_alu 0xfffe
	s_or_b32 exec_lo, exec_lo, s3
.LBB161_27:
	v_mbcnt_lo_u32_b32 v22, -1, 0
	s_delay_alu instid0(VALU_DEP_1) | instskip(NEXT) | instid1(VALU_DEP_1)
	v_xor_b32_e32 v0, 4, v22
	v_cmp_gt_i32_e32 vcc_lo, 32, v0
	s_wait_alu 0xfffd
	v_cndmask_b32_e32 v0, v22, v0, vcc_lo
	s_delay_alu instid0(VALU_DEP_1)
	v_lshlrev_b32_e32 v13, 2, v0
	ds_bpermute_b32 v0, v13, v20
	ds_bpermute_b32 v1, v13, v21
	;; [unrolled: 1-line block ×6, first 2 shown]
	s_wait_dscnt 0x4
	v_add_f64_e32 v[0:1], v[20:21], v[0:1]
	s_wait_dscnt 0x2
	v_add_f64_e32 v[2:3], v[18:19], v[2:3]
	;; [unrolled: 2-line block ×3, first 2 shown]
	v_xor_b32_e32 v10, 2, v22
	s_delay_alu instid0(VALU_DEP_1) | instskip(SKIP_2) | instid1(VALU_DEP_1)
	v_cmp_gt_i32_e32 vcc_lo, 32, v10
	s_wait_alu 0xfffd
	v_cndmask_b32_e32 v10, v22, v10, vcc_lo
	v_lshlrev_b32_e32 v17, 2, v10
	ds_bpermute_b32 v10, v17, v0
	ds_bpermute_b32 v11, v17, v1
	;; [unrolled: 1-line block ×6, first 2 shown]
	s_wait_dscnt 0x4
	v_add_f64_e32 v[10:11], v[0:1], v[10:11]
	s_wait_dscnt 0x2
	v_add_f64_e32 v[0:1], v[2:3], v[14:15]
	;; [unrolled: 2-line block ×3, first 2 shown]
	v_xor_b32_e32 v12, 1, v22
	s_delay_alu instid0(VALU_DEP_1) | instskip(SKIP_3) | instid1(VALU_DEP_2)
	v_cmp_gt_i32_e32 vcc_lo, 32, v12
	s_wait_alu 0xfffd
	v_cndmask_b32_e32 v12, v22, v12, vcc_lo
	v_cmp_eq_u32_e32 vcc_lo, 7, v28
	v_lshlrev_b32_e32 v13, 2, v12
	ds_bpermute_b32 v16, v13, v10
	ds_bpermute_b32 v17, v13, v11
	;; [unrolled: 1-line block ×6, first 2 shown]
	s_and_b32 exec_lo, exec_lo, vcc_lo
	s_cbranch_execz .LBB161_10
; %bb.28:
	s_wait_dscnt 0x4
	v_add_f64_e32 v[10:11], v[10:11], v[16:17]
	s_wait_dscnt 0x2
	v_add_f64_e32 v[14:15], v[0:1], v[14:15]
	;; [unrolled: 2-line block ×3, first 2 shown]
	s_load_b64 s[0:1], s[0:1], 0x58
	s_mov_b32 s2, exec_lo
	s_delay_alu instid0(VALU_DEP_3) | instskip(NEXT) | instid1(VALU_DEP_3)
	v_mul_f64_e32 v[0:1], v[6:7], v[10:11]
	v_mul_f64_e32 v[2:3], v[6:7], v[14:15]
	s_delay_alu instid0(VALU_DEP_3)
	v_mul_f64_e32 v[6:7], v[6:7], v[12:13]
	v_cmpx_eq_f64_e32 0, v[4:5]
	s_wait_alu 0xfffe
	s_xor_b32 s2, exec_lo, s2
	s_cbranch_execz .LBB161_30
; %bb.29:
	s_wait_kmcnt 0x0
	v_mad_co_u64_u32 v[4:5], null, v8, 24, s[0:1]
	s_delay_alu instid0(VALU_DEP_1) | instskip(NEXT) | instid1(VALU_DEP_1)
	v_mad_co_u64_u32 v[8:9], null, v9, 24, v[5:6]
	v_mov_b32_e32 v5, v8
                                        ; implicit-def: $vgpr8_vgpr9
	s_clause 0x1
	global_store_b128 v[4:5], v[0:3], off
	global_store_b64 v[4:5], v[6:7], off offset:16
                                        ; implicit-def: $vgpr4_vgpr5
                                        ; implicit-def: $vgpr0_vgpr1
                                        ; implicit-def: $vgpr6_vgpr7
.LBB161_30:
	s_wait_alu 0xfffe
	s_and_not1_saveexec_b32 s2, s2
	s_cbranch_execz .LBB161_10
; %bb.31:
	s_wait_kmcnt 0x0
	v_mad_co_u64_u32 v[12:13], null, v8, 24, s[0:1]
	s_delay_alu instid0(VALU_DEP_1) | instskip(NEXT) | instid1(VALU_DEP_1)
	v_mov_b32_e32 v8, v13
	v_mad_co_u64_u32 v[8:9], null, v9, 24, v[8:9]
	s_delay_alu instid0(VALU_DEP_1)
	v_mov_b32_e32 v13, v8
	s_clause 0x1
	global_load_b128 v[8:11], v[12:13], off
	global_load_b64 v[14:15], v[12:13], off offset:16
	s_wait_loadcnt 0x1
	v_fma_f64 v[0:1], v[4:5], v[8:9], v[0:1]
	v_fma_f64 v[2:3], v[4:5], v[10:11], v[2:3]
	s_wait_loadcnt 0x0
	v_fma_f64 v[4:5], v[4:5], v[14:15], v[6:7]
	s_clause 0x1
	global_store_b128 v[12:13], v[0:3], off
	global_store_b64 v[12:13], v[4:5], off offset:16
	s_endpgm
	.section	.rodata,"a",@progbits
	.p2align	6, 0x0
	.amdhsa_kernel _ZN9rocsparseL18bsrxmvn_3x3_kernelILj256ELj8EdllfddEEvT3_20rocsparse_direction_NS_24const_host_device_scalarIT1_EES1_PKS1_PKT2_SA_S7_PKT4_PKT5_S5_PT6_21rocsparse_index_base_b
		.amdhsa_group_segment_fixed_size 0
		.amdhsa_private_segment_fixed_size 0
		.amdhsa_kernarg_size 104
		.amdhsa_user_sgpr_count 2
		.amdhsa_user_sgpr_dispatch_ptr 0
		.amdhsa_user_sgpr_queue_ptr 0
		.amdhsa_user_sgpr_kernarg_segment_ptr 1
		.amdhsa_user_sgpr_dispatch_id 0
		.amdhsa_user_sgpr_private_segment_size 0
		.amdhsa_wavefront_size32 1
		.amdhsa_uses_dynamic_stack 0
		.amdhsa_enable_private_segment 0
		.amdhsa_system_sgpr_workgroup_id_x 1
		.amdhsa_system_sgpr_workgroup_id_y 0
		.amdhsa_system_sgpr_workgroup_id_z 0
		.amdhsa_system_sgpr_workgroup_info 0
		.amdhsa_system_vgpr_workitem_id 0
		.amdhsa_next_free_vgpr 49
		.amdhsa_next_free_sgpr 12
		.amdhsa_reserve_vcc 1
		.amdhsa_float_round_mode_32 0
		.amdhsa_float_round_mode_16_64 0
		.amdhsa_float_denorm_mode_32 3
		.amdhsa_float_denorm_mode_16_64 3
		.amdhsa_fp16_overflow 0
		.amdhsa_workgroup_processor_mode 1
		.amdhsa_memory_ordered 1
		.amdhsa_forward_progress 1
		.amdhsa_inst_pref_size 17
		.amdhsa_round_robin_scheduling 0
		.amdhsa_exception_fp_ieee_invalid_op 0
		.amdhsa_exception_fp_denorm_src 0
		.amdhsa_exception_fp_ieee_div_zero 0
		.amdhsa_exception_fp_ieee_overflow 0
		.amdhsa_exception_fp_ieee_underflow 0
		.amdhsa_exception_fp_ieee_inexact 0
		.amdhsa_exception_int_div_zero 0
	.end_amdhsa_kernel
	.section	.text._ZN9rocsparseL18bsrxmvn_3x3_kernelILj256ELj8EdllfddEEvT3_20rocsparse_direction_NS_24const_host_device_scalarIT1_EES1_PKS1_PKT2_SA_S7_PKT4_PKT5_S5_PT6_21rocsparse_index_base_b,"axG",@progbits,_ZN9rocsparseL18bsrxmvn_3x3_kernelILj256ELj8EdllfddEEvT3_20rocsparse_direction_NS_24const_host_device_scalarIT1_EES1_PKS1_PKT2_SA_S7_PKT4_PKT5_S5_PT6_21rocsparse_index_base_b,comdat
.Lfunc_end161:
	.size	_ZN9rocsparseL18bsrxmvn_3x3_kernelILj256ELj8EdllfddEEvT3_20rocsparse_direction_NS_24const_host_device_scalarIT1_EES1_PKS1_PKT2_SA_S7_PKT4_PKT5_S5_PT6_21rocsparse_index_base_b, .Lfunc_end161-_ZN9rocsparseL18bsrxmvn_3x3_kernelILj256ELj8EdllfddEEvT3_20rocsparse_direction_NS_24const_host_device_scalarIT1_EES1_PKS1_PKT2_SA_S7_PKT4_PKT5_S5_PT6_21rocsparse_index_base_b
                                        ; -- End function
	.set _ZN9rocsparseL18bsrxmvn_3x3_kernelILj256ELj8EdllfddEEvT3_20rocsparse_direction_NS_24const_host_device_scalarIT1_EES1_PKS1_PKT2_SA_S7_PKT4_PKT5_S5_PT6_21rocsparse_index_base_b.num_vgpr, 49
	.set _ZN9rocsparseL18bsrxmvn_3x3_kernelILj256ELj8EdllfddEEvT3_20rocsparse_direction_NS_24const_host_device_scalarIT1_EES1_PKS1_PKT2_SA_S7_PKT4_PKT5_S5_PT6_21rocsparse_index_base_b.num_agpr, 0
	.set _ZN9rocsparseL18bsrxmvn_3x3_kernelILj256ELj8EdllfddEEvT3_20rocsparse_direction_NS_24const_host_device_scalarIT1_EES1_PKS1_PKT2_SA_S7_PKT4_PKT5_S5_PT6_21rocsparse_index_base_b.numbered_sgpr, 12
	.set _ZN9rocsparseL18bsrxmvn_3x3_kernelILj256ELj8EdllfddEEvT3_20rocsparse_direction_NS_24const_host_device_scalarIT1_EES1_PKS1_PKT2_SA_S7_PKT4_PKT5_S5_PT6_21rocsparse_index_base_b.num_named_barrier, 0
	.set _ZN9rocsparseL18bsrxmvn_3x3_kernelILj256ELj8EdllfddEEvT3_20rocsparse_direction_NS_24const_host_device_scalarIT1_EES1_PKS1_PKT2_SA_S7_PKT4_PKT5_S5_PT6_21rocsparse_index_base_b.private_seg_size, 0
	.set _ZN9rocsparseL18bsrxmvn_3x3_kernelILj256ELj8EdllfddEEvT3_20rocsparse_direction_NS_24const_host_device_scalarIT1_EES1_PKS1_PKT2_SA_S7_PKT4_PKT5_S5_PT6_21rocsparse_index_base_b.uses_vcc, 1
	.set _ZN9rocsparseL18bsrxmvn_3x3_kernelILj256ELj8EdllfddEEvT3_20rocsparse_direction_NS_24const_host_device_scalarIT1_EES1_PKS1_PKT2_SA_S7_PKT4_PKT5_S5_PT6_21rocsparse_index_base_b.uses_flat_scratch, 0
	.set _ZN9rocsparseL18bsrxmvn_3x3_kernelILj256ELj8EdllfddEEvT3_20rocsparse_direction_NS_24const_host_device_scalarIT1_EES1_PKS1_PKT2_SA_S7_PKT4_PKT5_S5_PT6_21rocsparse_index_base_b.has_dyn_sized_stack, 0
	.set _ZN9rocsparseL18bsrxmvn_3x3_kernelILj256ELj8EdllfddEEvT3_20rocsparse_direction_NS_24const_host_device_scalarIT1_EES1_PKS1_PKT2_SA_S7_PKT4_PKT5_S5_PT6_21rocsparse_index_base_b.has_recursion, 0
	.set _ZN9rocsparseL18bsrxmvn_3x3_kernelILj256ELj8EdllfddEEvT3_20rocsparse_direction_NS_24const_host_device_scalarIT1_EES1_PKS1_PKT2_SA_S7_PKT4_PKT5_S5_PT6_21rocsparse_index_base_b.has_indirect_call, 0
	.section	.AMDGPU.csdata,"",@progbits
; Kernel info:
; codeLenInByte = 2164
; TotalNumSgprs: 14
; NumVgprs: 49
; ScratchSize: 0
; MemoryBound: 0
; FloatMode: 240
; IeeeMode: 1
; LDSByteSize: 0 bytes/workgroup (compile time only)
; SGPRBlocks: 0
; VGPRBlocks: 6
; NumSGPRsForWavesPerEU: 14
; NumVGPRsForWavesPerEU: 49
; Occupancy: 16
; WaveLimiterHint : 1
; COMPUTE_PGM_RSRC2:SCRATCH_EN: 0
; COMPUTE_PGM_RSRC2:USER_SGPR: 2
; COMPUTE_PGM_RSRC2:TRAP_HANDLER: 0
; COMPUTE_PGM_RSRC2:TGID_X_EN: 1
; COMPUTE_PGM_RSRC2:TGID_Y_EN: 0
; COMPUTE_PGM_RSRC2:TGID_Z_EN: 0
; COMPUTE_PGM_RSRC2:TIDIG_COMP_CNT: 0
	.section	.text._ZN9rocsparseL18bsrxmvn_3x3_kernelILj256ELj16EdllfddEEvT3_20rocsparse_direction_NS_24const_host_device_scalarIT1_EES1_PKS1_PKT2_SA_S7_PKT4_PKT5_S5_PT6_21rocsparse_index_base_b,"axG",@progbits,_ZN9rocsparseL18bsrxmvn_3x3_kernelILj256ELj16EdllfddEEvT3_20rocsparse_direction_NS_24const_host_device_scalarIT1_EES1_PKS1_PKT2_SA_S7_PKT4_PKT5_S5_PT6_21rocsparse_index_base_b,comdat
	.globl	_ZN9rocsparseL18bsrxmvn_3x3_kernelILj256ELj16EdllfddEEvT3_20rocsparse_direction_NS_24const_host_device_scalarIT1_EES1_PKS1_PKT2_SA_S7_PKT4_PKT5_S5_PT6_21rocsparse_index_base_b ; -- Begin function _ZN9rocsparseL18bsrxmvn_3x3_kernelILj256ELj16EdllfddEEvT3_20rocsparse_direction_NS_24const_host_device_scalarIT1_EES1_PKS1_PKT2_SA_S7_PKT4_PKT5_S5_PT6_21rocsparse_index_base_b
	.p2align	8
	.type	_ZN9rocsparseL18bsrxmvn_3x3_kernelILj256ELj16EdllfddEEvT3_20rocsparse_direction_NS_24const_host_device_scalarIT1_EES1_PKS1_PKT2_SA_S7_PKT4_PKT5_S5_PT6_21rocsparse_index_base_b,@function
_ZN9rocsparseL18bsrxmvn_3x3_kernelILj256ELj16EdllfddEEvT3_20rocsparse_direction_NS_24const_host_device_scalarIT1_EES1_PKS1_PKT2_SA_S7_PKT4_PKT5_S5_PT6_21rocsparse_index_base_b: ; @_ZN9rocsparseL18bsrxmvn_3x3_kernelILj256ELj16EdllfddEEvT3_20rocsparse_direction_NS_24const_host_device_scalarIT1_EES1_PKS1_PKT2_SA_S7_PKT4_PKT5_S5_PT6_21rocsparse_index_base_b
; %bb.0:
	s_clause 0x2
	s_load_b64 s[8:9], s[0:1], 0x60
	s_load_b128 s[4:7], s[0:1], 0x10
	s_load_b64 s[2:3], s[0:1], 0x50
	s_wait_kmcnt 0x0
	s_bitcmp1_b32 s9, 0
	v_dual_mov_b32 v7, s5 :: v_dual_mov_b32 v6, s4
	s_cselect_b32 s9, -1, 0
	s_delay_alu instid0(SALU_CYCLE_1)
	s_and_b32 vcc_lo, exec_lo, s9
	s_xor_b32 s9, s9, -1
	s_cbranch_vccnz .LBB162_2
; %bb.1:
	v_dual_mov_b32 v1, s4 :: v_dual_mov_b32 v2, s5
	flat_load_b64 v[6:7], v[1:2]
.LBB162_2:
	v_dual_mov_b32 v5, s3 :: v_dual_mov_b32 v4, s2
	s_and_not1_b32 vcc_lo, exec_lo, s9
	s_cbranch_vccnz .LBB162_4
; %bb.3:
	v_dual_mov_b32 v1, s2 :: v_dual_mov_b32 v2, s3
	flat_load_b64 v[4:5], v[1:2]
.LBB162_4:
	s_wait_loadcnt_dscnt 0x0
	v_cmp_neq_f64_e32 vcc_lo, 0, v[6:7]
	v_cmp_neq_f64_e64 s2, 1.0, v[4:5]
	s_or_b32 s2, vcc_lo, s2
	s_wait_alu 0xfffe
	s_and_saveexec_b32 s3, s2
	s_cbranch_execz .LBB162_10
; %bb.5:
	s_load_b64 s[2:3], s[0:1], 0x20
	v_lshrrev_b32_e32 v1, 4, v0
	v_mov_b32_e32 v11, 0
	s_delay_alu instid0(VALU_DEP_2)
	v_lshl_or_b32 v10, ttmp9, 4, v1
	s_wait_kmcnt 0x0
	s_cmp_lg_u64 s[2:3], 0
	s_cbranch_scc0 .LBB162_11
; %bb.6:
	s_delay_alu instid0(VALU_DEP_1)
	v_cmp_gt_i64_e32 vcc_lo, s[6:7], v[10:11]
	s_mov_b32 s5, 0
	s_mov_b32 s4, 0
                                        ; implicit-def: $vgpr8_vgpr9
                                        ; implicit-def: $vgpr1_vgpr2
	s_and_saveexec_b32 s6, vcc_lo
	s_wait_alu 0xfffe
	s_xor_b32 s6, exec_lo, s6
	s_cbranch_execz .LBB162_8
; %bb.7:
	v_lshlrev_b64_e32 v[1:2], 3, v[10:11]
	s_mov_b32 s9, 0
	s_mov_b32 s4, exec_lo
	s_delay_alu instid0(VALU_DEP_1) | instskip(NEXT) | instid1(VALU_DEP_1)
	v_add_co_u32 v1, vcc_lo, s2, v1
	v_add_co_ci_u32_e64 v2, null, s3, v2, vcc_lo
	global_load_b64 v[1:2], v[1:2], off
	s_wait_loadcnt 0x0
	v_sub_co_u32 v8, vcc_lo, v1, s8
	s_wait_alu 0xfffd
	v_subrev_co_ci_u32_e64 v9, null, 0, v2, vcc_lo
	v_dual_mov_b32 v1, s8 :: v_dual_mov_b32 v2, s9
.LBB162_8:
	s_wait_alu 0xfffe
	s_or_b32 exec_lo, exec_lo, s6
	s_delay_alu instid0(SALU_CYCLE_1)
	s_and_b32 vcc_lo, exec_lo, s5
	s_wait_alu 0xfffe
	s_cbranch_vccnz .LBB162_12
.LBB162_9:
	s_wait_alu 0xfffe
	s_and_b32 exec_lo, exec_lo, s4
	s_cbranch_execnz .LBB162_15
.LBB162_10:
	s_endpgm
.LBB162_11:
	s_mov_b32 s4, 0
                                        ; implicit-def: $vgpr8_vgpr9
                                        ; implicit-def: $vgpr1_vgpr2
	s_cbranch_execz .LBB162_9
.LBB162_12:
	s_load_b64 s[2:3], s[0:1], 0x0
	s_wait_kmcnt 0x0
	v_cmp_gt_i64_e32 vcc_lo, s[2:3], v[10:11]
	s_and_saveexec_b32 s2, vcc_lo
; %bb.13:
	s_mov_b32 s9, 0
	s_or_b32 s4, s4, exec_lo
; %bb.14:
	s_wait_alu 0xfffe
	s_or_b32 exec_lo, exec_lo, s2
	v_dual_mov_b32 v1, s8 :: v_dual_mov_b32 v2, s9
	v_dual_mov_b32 v8, v10 :: v_dual_mov_b32 v9, v11
	s_and_b32 exec_lo, exec_lo, s4
	s_cbranch_execz .LBB162_10
.LBB162_15:
	s_load_b256 s[4:11], s[0:1], 0x28
	s_delay_alu instid0(VALU_DEP_1) | instskip(SKIP_2) | instid1(VALU_DEP_2)
	v_lshlrev_b64_e32 v[10:11], 3, v[8:9]
	v_and_b32_e32 v28, 15, v0
	s_wait_kmcnt 0x0
	v_add_co_u32 v12, vcc_lo, s4, v10
	s_wait_alu 0xfffd
	s_delay_alu instid0(VALU_DEP_3)
	v_add_co_ci_u32_e64 v13, null, s5, v11, vcc_lo
	v_add_co_u32 v3, vcc_lo, s6, v10
	s_wait_alu 0xfffd
	v_add_co_ci_u32_e64 v10, null, s7, v11, vcc_lo
	global_load_b64 v[14:15], v[12:13], off
	v_add_co_u32 v12, vcc_lo, v12, 8
	s_wait_alu 0xfffd
	v_add_co_ci_u32_e64 v11, null, 0, v13, vcc_lo
	s_cmp_eq_u64 s[6:7], 0
	s_cselect_b32 vcc_lo, -1, 0
	s_wait_alu 0xfffe
	v_dual_cndmask_b32 v11, v10, v11 :: v_dual_cndmask_b32 v10, v3, v12
	global_load_b64 v[10:11], v[10:11], off
	s_clause 0x1
	s_load_b32 s3, s[0:1], 0x8
	s_load_b64 s[4:5], s[0:1], 0x48
	s_wait_kmcnt 0x0
	s_cmp_eq_u32 s3, 1
	s_wait_loadcnt 0x1
	v_sub_co_u32 v0, vcc_lo, v14, v1
	s_wait_alu 0xfffd
	v_sub_co_ci_u32_e64 v3, null, v15, v2, vcc_lo
	s_delay_alu instid0(VALU_DEP_2) | instskip(SKIP_1) | instid1(VALU_DEP_2)
	v_add_co_u32 v12, vcc_lo, v0, v28
	s_wait_alu 0xfffd
	v_add_co_ci_u32_e64 v13, null, 0, v3, vcc_lo
	s_delay_alu instid0(VALU_DEP_2) | instskip(SKIP_4) | instid1(VALU_DEP_3)
	v_mad_co_u64_u32 v[14:15], null, v12, 36, s[10:11]
	s_wait_loadcnt 0x0
	v_sub_co_u32 v18, vcc_lo, v10, v1
	s_wait_alu 0xfffd
	v_sub_co_ci_u32_e64 v19, null, v11, v2, vcc_lo
	v_mov_b32_e32 v0, v15
	s_delay_alu instid0(VALU_DEP_2) | instskip(NEXT) | instid1(VALU_DEP_2)
	v_cmp_lt_i64_e64 s2, v[12:13], v[18:19]
	v_mad_co_u64_u32 v[15:16], null, v13, 36, v[0:1]
	s_cbranch_scc1 .LBB162_21
; %bb.16:
	v_mov_b32_e32 v10, 0
	v_dual_mov_b32 v11, 0 :: v_dual_mov_b32 v16, 0
	v_dual_mov_b32 v20, 0 :: v_dual_mov_b32 v17, 0
	v_mov_b32_e32 v21, 0
	s_and_saveexec_b32 s6, s2
	s_cbranch_execz .LBB162_20
; %bb.17:
	v_lshlrev_b64_e32 v[16:17], 3, v[12:13]
	v_dual_mov_b32 v10, 0 :: v_dual_mov_b32 v23, v15
	v_dual_mov_b32 v11, 0 :: v_dual_mov_b32 v22, v14
	;; [unrolled: 1-line block ×3, first 2 shown]
	s_delay_alu instid0(VALU_DEP_4)
	v_add_co_u32 v24, vcc_lo, s8, v16
	s_wait_alu 0xfffd
	v_add_co_ci_u32_e64 v25, null, s9, v17, vcc_lo
	v_mov_b32_e32 v16, 0
	v_dual_mov_b32 v17, 0 :: v_dual_mov_b32 v20, 0
	v_mov_b32_e32 v21, 0
	s_mov_b32 s7, 0
.LBB162_18:                             ; =>This Inner Loop Header: Depth=1
	global_load_b64 v[37:38], v[24:25], off
	s_clause 0x1
	global_load_b128 v[29:32], v[22:23], off
	global_load_b128 v[33:36], v[22:23], off offset:16
	v_add_co_u32 v24, s3, 0x80, v24
	s_wait_alu 0xf1ff
	v_add_co_ci_u32_e64 v25, null, 0, v25, s3
	s_wait_loadcnt 0x2
	v_sub_co_u32 v0, vcc_lo, v37, v1
	s_wait_alu 0xfffd
	v_sub_co_ci_u32_e64 v3, null, v38, v2, vcc_lo
	s_wait_loadcnt 0x1
	v_cvt_f64_f32_e32 v[43:44], v29
	v_mad_co_u64_u32 v[41:42], null, v0, 24, s[4:5]
	v_cvt_f64_f32_e32 v[45:46], v32
	s_wait_loadcnt 0x0
	v_cvt_f64_f32_e32 v[47:48], v35
	v_cvt_f64_f32_e32 v[29:30], v30
	;; [unrolled: 1-line block ×4, first 2 shown]
	v_add_co_u32 v26, vcc_lo, v26, 16
	v_mov_b32_e32 v0, v42
	s_wait_alu 0xfffd
	v_add_co_ci_u32_e64 v27, null, 0, v27, vcc_lo
	s_delay_alu instid0(VALU_DEP_2) | instskip(NEXT) | instid1(VALU_DEP_1)
	v_mad_co_u64_u32 v[37:38], null, v3, 24, v[0:1]
	v_mov_b32_e32 v42, v37
	s_clause 0x1
	global_load_b128 v[37:40], v[41:42], off
	global_load_b64 v[41:42], v[41:42], off offset:16
	global_load_b32 v0, v[22:23], off offset:32
	v_add_co_u32 v22, vcc_lo, 0x240, v22
	s_wait_alu 0xfffd
	v_add_co_ci_u32_e64 v23, null, 0, v23, vcc_lo
	v_cmp_ge_i64_e32 vcc_lo, v[26:27], v[18:19]
	s_wait_alu 0xfffe
	s_or_b32 s7, vcc_lo, s7
	s_wait_loadcnt 0x2
	v_fma_f64 v[20:21], v[43:44], v[37:38], v[20:21]
	v_fma_f64 v[16:17], v[45:46], v[37:38], v[16:17]
	;; [unrolled: 1-line block ×3, first 2 shown]
	v_cvt_f64_f32_e32 v[37:38], v31
	v_cvt_f64_f32_e32 v[43:44], v34
	s_wait_loadcnt 0x0
	v_cvt_f64_f32_e32 v[45:46], v0
	v_fma_f64 v[20:21], v[29:30], v[39:40], v[20:21]
	v_fma_f64 v[16:17], v[32:33], v[39:40], v[16:17]
	;; [unrolled: 1-line block ×3, first 2 shown]
	s_delay_alu instid0(VALU_DEP_3) | instskip(NEXT) | instid1(VALU_DEP_3)
	v_fma_f64 v[20:21], v[37:38], v[41:42], v[20:21]
	v_fma_f64 v[16:17], v[43:44], v[41:42], v[16:17]
	s_delay_alu instid0(VALU_DEP_3)
	v_fma_f64 v[10:11], v[45:46], v[41:42], v[10:11]
	s_wait_alu 0xfffe
	s_and_not1_b32 exec_lo, exec_lo, s7
	s_cbranch_execnz .LBB162_18
; %bb.19:
	s_or_b32 exec_lo, exec_lo, s7
.LBB162_20:
	s_wait_alu 0xfffe
	s_or_b32 exec_lo, exec_lo, s6
	s_cbranch_execz .LBB162_22
	s_branch .LBB162_27
.LBB162_21:
                                        ; implicit-def: $vgpr10_vgpr11
                                        ; implicit-def: $vgpr16_vgpr17
                                        ; implicit-def: $vgpr20_vgpr21
.LBB162_22:
	v_mov_b32_e32 v10, 0
	v_dual_mov_b32 v11, 0 :: v_dual_mov_b32 v16, 0
	v_dual_mov_b32 v20, 0 :: v_dual_mov_b32 v17, 0
	v_mov_b32_e32 v21, 0
	s_and_saveexec_b32 s3, s2
	s_cbranch_execz .LBB162_26
; %bb.23:
	v_lshlrev_b64_e32 v[22:23], 3, v[12:13]
	v_mov_b32_e32 v10, 0
	v_dual_mov_b32 v11, 0 :: v_dual_mov_b32 v16, 0
	v_dual_mov_b32 v20, 0 :: v_dual_mov_b32 v17, 0
	s_delay_alu instid0(VALU_DEP_4)
	v_add_co_u32 v22, vcc_lo, s8, v22
	v_mov_b32_e32 v21, 0
	s_wait_alu 0xfffd
	v_add_co_ci_u32_e64 v23, null, s9, v23, vcc_lo
	s_mov_b32 s6, 0
.LBB162_24:                             ; =>This Inner Loop Header: Depth=1
	global_load_b64 v[33:34], v[22:23], off
	s_clause 0x1
	global_load_b128 v[24:27], v[14:15], off
	global_load_b128 v[29:32], v[14:15], off offset:16
	v_add_co_u32 v22, s2, 0x80, v22
	s_wait_alu 0xf1ff
	v_add_co_ci_u32_e64 v23, null, 0, v23, s2
	s_wait_loadcnt 0x2
	v_sub_co_u32 v0, vcc_lo, v33, v1
	s_wait_alu 0xfffd
	v_sub_co_ci_u32_e64 v3, null, v34, v2, vcc_lo
	s_wait_loadcnt 0x1
	v_cvt_f64_f32_e32 v[39:40], v24
	v_mad_co_u64_u32 v[37:38], null, v0, 24, s[4:5]
	v_cvt_f64_f32_e32 v[24:25], v25
	v_cvt_f64_f32_e32 v[41:42], v26
	;; [unrolled: 1-line block ×3, first 2 shown]
	s_wait_loadcnt 0x0
	v_cvt_f64_f32_e32 v[43:44], v29
	v_cvt_f64_f32_e32 v[29:30], v30
	v_add_co_u32 v12, vcc_lo, v12, 16
	v_mov_b32_e32 v0, v38
	s_wait_alu 0xfffd
	v_add_co_ci_u32_e64 v13, null, 0, v13, vcc_lo
	s_delay_alu instid0(VALU_DEP_2) | instskip(NEXT) | instid1(VALU_DEP_1)
	v_mad_co_u64_u32 v[33:34], null, v3, 24, v[0:1]
	v_mov_b32_e32 v38, v33
	s_clause 0x1
	global_load_b128 v[33:36], v[37:38], off
	global_load_b64 v[37:38], v[37:38], off offset:16
	global_load_b32 v0, v[14:15], off offset:32
	v_add_co_u32 v14, vcc_lo, 0x240, v14
	s_wait_alu 0xfffd
	v_add_co_ci_u32_e64 v15, null, 0, v15, vcc_lo
	v_cmp_ge_i64_e32 vcc_lo, v[12:13], v[18:19]
	s_wait_alu 0xfffe
	s_or_b32 s6, vcc_lo, s6
	s_wait_loadcnt 0x2
	v_fma_f64 v[20:21], v[39:40], v[33:34], v[20:21]
	v_fma_f64 v[16:17], v[24:25], v[33:34], v[16:17]
	;; [unrolled: 1-line block ×3, first 2 shown]
	v_cvt_f64_f32_e32 v[24:25], v31
	v_cvt_f64_f32_e32 v[31:32], v32
	s_wait_loadcnt 0x0
	v_cvt_f64_f32_e32 v[33:34], v0
	v_fma_f64 v[20:21], v[26:27], v[35:36], v[20:21]
	v_fma_f64 v[16:17], v[43:44], v[35:36], v[16:17]
	;; [unrolled: 1-line block ×3, first 2 shown]
	s_delay_alu instid0(VALU_DEP_3) | instskip(NEXT) | instid1(VALU_DEP_3)
	v_fma_f64 v[20:21], v[24:25], v[37:38], v[20:21]
	v_fma_f64 v[16:17], v[31:32], v[37:38], v[16:17]
	s_delay_alu instid0(VALU_DEP_3)
	v_fma_f64 v[10:11], v[33:34], v[37:38], v[10:11]
	s_wait_alu 0xfffe
	s_and_not1_b32 exec_lo, exec_lo, s6
	s_cbranch_execnz .LBB162_24
; %bb.25:
	s_or_b32 exec_lo, exec_lo, s6
.LBB162_26:
	s_wait_alu 0xfffe
	s_or_b32 exec_lo, exec_lo, s3
.LBB162_27:
	v_mbcnt_lo_u32_b32 v18, -1, 0
	s_delay_alu instid0(VALU_DEP_1) | instskip(NEXT) | instid1(VALU_DEP_1)
	v_xor_b32_e32 v0, 8, v18
	v_cmp_gt_i32_e32 vcc_lo, 32, v0
	s_wait_alu 0xfffd
	v_cndmask_b32_e32 v0, v18, v0, vcc_lo
	s_delay_alu instid0(VALU_DEP_1)
	v_lshlrev_b32_e32 v13, 2, v0
	ds_bpermute_b32 v0, v13, v20
	ds_bpermute_b32 v1, v13, v21
	;; [unrolled: 1-line block ×6, first 2 shown]
	s_wait_dscnt 0x4
	v_add_f64_e32 v[0:1], v[20:21], v[0:1]
	s_wait_dscnt 0x2
	v_add_f64_e32 v[2:3], v[16:17], v[2:3]
	;; [unrolled: 2-line block ×3, first 2 shown]
	v_xor_b32_e32 v12, 4, v18
	s_delay_alu instid0(VALU_DEP_1) | instskip(SKIP_2) | instid1(VALU_DEP_1)
	v_cmp_gt_i32_e32 vcc_lo, 32, v12
	s_wait_alu 0xfffd
	v_cndmask_b32_e32 v12, v18, v12, vcc_lo
	v_lshlrev_b32_e32 v17, 2, v12
	ds_bpermute_b32 v12, v17, v0
	ds_bpermute_b32 v13, v17, v1
	;; [unrolled: 1-line block ×6, first 2 shown]
	s_wait_dscnt 0x4
	v_add_f64_e32 v[0:1], v[0:1], v[12:13]
	s_wait_dscnt 0x2
	v_add_f64_e32 v[2:3], v[2:3], v[14:15]
	;; [unrolled: 2-line block ×3, first 2 shown]
	v_xor_b32_e32 v10, 2, v18
	s_delay_alu instid0(VALU_DEP_1) | instskip(SKIP_2) | instid1(VALU_DEP_1)
	v_cmp_gt_i32_e32 vcc_lo, 32, v10
	s_wait_alu 0xfffd
	v_cndmask_b32_e32 v10, v18, v10, vcc_lo
	v_lshlrev_b32_e32 v17, 2, v10
	ds_bpermute_b32 v10, v17, v0
	ds_bpermute_b32 v11, v17, v1
	;; [unrolled: 1-line block ×6, first 2 shown]
	s_wait_dscnt 0x4
	v_add_f64_e32 v[10:11], v[0:1], v[10:11]
	s_wait_dscnt 0x2
	v_add_f64_e32 v[0:1], v[2:3], v[14:15]
	;; [unrolled: 2-line block ×3, first 2 shown]
	v_xor_b32_e32 v12, 1, v18
	s_delay_alu instid0(VALU_DEP_1) | instskip(SKIP_3) | instid1(VALU_DEP_2)
	v_cmp_gt_i32_e32 vcc_lo, 32, v12
	s_wait_alu 0xfffd
	v_cndmask_b32_e32 v12, v18, v12, vcc_lo
	v_cmp_eq_u32_e32 vcc_lo, 15, v28
	v_lshlrev_b32_e32 v13, 2, v12
	ds_bpermute_b32 v16, v13, v10
	ds_bpermute_b32 v17, v13, v11
	;; [unrolled: 1-line block ×6, first 2 shown]
	s_and_b32 exec_lo, exec_lo, vcc_lo
	s_cbranch_execz .LBB162_10
; %bb.28:
	s_wait_dscnt 0x4
	v_add_f64_e32 v[10:11], v[10:11], v[16:17]
	s_wait_dscnt 0x2
	v_add_f64_e32 v[14:15], v[0:1], v[14:15]
	;; [unrolled: 2-line block ×3, first 2 shown]
	s_load_b64 s[0:1], s[0:1], 0x58
	s_mov_b32 s2, exec_lo
	s_delay_alu instid0(VALU_DEP_3) | instskip(NEXT) | instid1(VALU_DEP_3)
	v_mul_f64_e32 v[0:1], v[6:7], v[10:11]
	v_mul_f64_e32 v[2:3], v[6:7], v[14:15]
	s_delay_alu instid0(VALU_DEP_3)
	v_mul_f64_e32 v[6:7], v[6:7], v[12:13]
	v_cmpx_eq_f64_e32 0, v[4:5]
	s_wait_alu 0xfffe
	s_xor_b32 s2, exec_lo, s2
	s_cbranch_execz .LBB162_30
; %bb.29:
	s_wait_kmcnt 0x0
	v_mad_co_u64_u32 v[4:5], null, v8, 24, s[0:1]
	s_delay_alu instid0(VALU_DEP_1) | instskip(NEXT) | instid1(VALU_DEP_1)
	v_mad_co_u64_u32 v[8:9], null, v9, 24, v[5:6]
	v_mov_b32_e32 v5, v8
                                        ; implicit-def: $vgpr8_vgpr9
	s_clause 0x1
	global_store_b128 v[4:5], v[0:3], off
	global_store_b64 v[4:5], v[6:7], off offset:16
                                        ; implicit-def: $vgpr4_vgpr5
                                        ; implicit-def: $vgpr0_vgpr1
                                        ; implicit-def: $vgpr6_vgpr7
.LBB162_30:
	s_wait_alu 0xfffe
	s_and_not1_saveexec_b32 s2, s2
	s_cbranch_execz .LBB162_10
; %bb.31:
	s_wait_kmcnt 0x0
	v_mad_co_u64_u32 v[12:13], null, v8, 24, s[0:1]
	s_delay_alu instid0(VALU_DEP_1) | instskip(NEXT) | instid1(VALU_DEP_1)
	v_mov_b32_e32 v8, v13
	v_mad_co_u64_u32 v[8:9], null, v9, 24, v[8:9]
	s_delay_alu instid0(VALU_DEP_1)
	v_mov_b32_e32 v13, v8
	s_clause 0x1
	global_load_b128 v[8:11], v[12:13], off
	global_load_b64 v[14:15], v[12:13], off offset:16
	s_wait_loadcnt 0x1
	v_fma_f64 v[0:1], v[4:5], v[8:9], v[0:1]
	v_fma_f64 v[2:3], v[4:5], v[10:11], v[2:3]
	s_wait_loadcnt 0x0
	v_fma_f64 v[4:5], v[4:5], v[14:15], v[6:7]
	s_clause 0x1
	global_store_b128 v[12:13], v[0:3], off
	global_store_b64 v[12:13], v[4:5], off offset:16
	s_endpgm
	.section	.rodata,"a",@progbits
	.p2align	6, 0x0
	.amdhsa_kernel _ZN9rocsparseL18bsrxmvn_3x3_kernelILj256ELj16EdllfddEEvT3_20rocsparse_direction_NS_24const_host_device_scalarIT1_EES1_PKS1_PKT2_SA_S7_PKT4_PKT5_S5_PT6_21rocsparse_index_base_b
		.amdhsa_group_segment_fixed_size 0
		.amdhsa_private_segment_fixed_size 0
		.amdhsa_kernarg_size 104
		.amdhsa_user_sgpr_count 2
		.amdhsa_user_sgpr_dispatch_ptr 0
		.amdhsa_user_sgpr_queue_ptr 0
		.amdhsa_user_sgpr_kernarg_segment_ptr 1
		.amdhsa_user_sgpr_dispatch_id 0
		.amdhsa_user_sgpr_private_segment_size 0
		.amdhsa_wavefront_size32 1
		.amdhsa_uses_dynamic_stack 0
		.amdhsa_enable_private_segment 0
		.amdhsa_system_sgpr_workgroup_id_x 1
		.amdhsa_system_sgpr_workgroup_id_y 0
		.amdhsa_system_sgpr_workgroup_id_z 0
		.amdhsa_system_sgpr_workgroup_info 0
		.amdhsa_system_vgpr_workitem_id 0
		.amdhsa_next_free_vgpr 49
		.amdhsa_next_free_sgpr 12
		.amdhsa_reserve_vcc 1
		.amdhsa_float_round_mode_32 0
		.amdhsa_float_round_mode_16_64 0
		.amdhsa_float_denorm_mode_32 3
		.amdhsa_float_denorm_mode_16_64 3
		.amdhsa_fp16_overflow 0
		.amdhsa_workgroup_processor_mode 1
		.amdhsa_memory_ordered 1
		.amdhsa_forward_progress 1
		.amdhsa_inst_pref_size 18
		.amdhsa_round_robin_scheduling 0
		.amdhsa_exception_fp_ieee_invalid_op 0
		.amdhsa_exception_fp_denorm_src 0
		.amdhsa_exception_fp_ieee_div_zero 0
		.amdhsa_exception_fp_ieee_overflow 0
		.amdhsa_exception_fp_ieee_underflow 0
		.amdhsa_exception_fp_ieee_inexact 0
		.amdhsa_exception_int_div_zero 0
	.end_amdhsa_kernel
	.section	.text._ZN9rocsparseL18bsrxmvn_3x3_kernelILj256ELj16EdllfddEEvT3_20rocsparse_direction_NS_24const_host_device_scalarIT1_EES1_PKS1_PKT2_SA_S7_PKT4_PKT5_S5_PT6_21rocsparse_index_base_b,"axG",@progbits,_ZN9rocsparseL18bsrxmvn_3x3_kernelILj256ELj16EdllfddEEvT3_20rocsparse_direction_NS_24const_host_device_scalarIT1_EES1_PKS1_PKT2_SA_S7_PKT4_PKT5_S5_PT6_21rocsparse_index_base_b,comdat
.Lfunc_end162:
	.size	_ZN9rocsparseL18bsrxmvn_3x3_kernelILj256ELj16EdllfddEEvT3_20rocsparse_direction_NS_24const_host_device_scalarIT1_EES1_PKS1_PKT2_SA_S7_PKT4_PKT5_S5_PT6_21rocsparse_index_base_b, .Lfunc_end162-_ZN9rocsparseL18bsrxmvn_3x3_kernelILj256ELj16EdllfddEEvT3_20rocsparse_direction_NS_24const_host_device_scalarIT1_EES1_PKS1_PKT2_SA_S7_PKT4_PKT5_S5_PT6_21rocsparse_index_base_b
                                        ; -- End function
	.set _ZN9rocsparseL18bsrxmvn_3x3_kernelILj256ELj16EdllfddEEvT3_20rocsparse_direction_NS_24const_host_device_scalarIT1_EES1_PKS1_PKT2_SA_S7_PKT4_PKT5_S5_PT6_21rocsparse_index_base_b.num_vgpr, 49
	.set _ZN9rocsparseL18bsrxmvn_3x3_kernelILj256ELj16EdllfddEEvT3_20rocsparse_direction_NS_24const_host_device_scalarIT1_EES1_PKS1_PKT2_SA_S7_PKT4_PKT5_S5_PT6_21rocsparse_index_base_b.num_agpr, 0
	.set _ZN9rocsparseL18bsrxmvn_3x3_kernelILj256ELj16EdllfddEEvT3_20rocsparse_direction_NS_24const_host_device_scalarIT1_EES1_PKS1_PKT2_SA_S7_PKT4_PKT5_S5_PT6_21rocsparse_index_base_b.numbered_sgpr, 12
	.set _ZN9rocsparseL18bsrxmvn_3x3_kernelILj256ELj16EdllfddEEvT3_20rocsparse_direction_NS_24const_host_device_scalarIT1_EES1_PKS1_PKT2_SA_S7_PKT4_PKT5_S5_PT6_21rocsparse_index_base_b.num_named_barrier, 0
	.set _ZN9rocsparseL18bsrxmvn_3x3_kernelILj256ELj16EdllfddEEvT3_20rocsparse_direction_NS_24const_host_device_scalarIT1_EES1_PKS1_PKT2_SA_S7_PKT4_PKT5_S5_PT6_21rocsparse_index_base_b.private_seg_size, 0
	.set _ZN9rocsparseL18bsrxmvn_3x3_kernelILj256ELj16EdllfddEEvT3_20rocsparse_direction_NS_24const_host_device_scalarIT1_EES1_PKS1_PKT2_SA_S7_PKT4_PKT5_S5_PT6_21rocsparse_index_base_b.uses_vcc, 1
	.set _ZN9rocsparseL18bsrxmvn_3x3_kernelILj256ELj16EdllfddEEvT3_20rocsparse_direction_NS_24const_host_device_scalarIT1_EES1_PKS1_PKT2_SA_S7_PKT4_PKT5_S5_PT6_21rocsparse_index_base_b.uses_flat_scratch, 0
	.set _ZN9rocsparseL18bsrxmvn_3x3_kernelILj256ELj16EdllfddEEvT3_20rocsparse_direction_NS_24const_host_device_scalarIT1_EES1_PKS1_PKT2_SA_S7_PKT4_PKT5_S5_PT6_21rocsparse_index_base_b.has_dyn_sized_stack, 0
	.set _ZN9rocsparseL18bsrxmvn_3x3_kernelILj256ELj16EdllfddEEvT3_20rocsparse_direction_NS_24const_host_device_scalarIT1_EES1_PKS1_PKT2_SA_S7_PKT4_PKT5_S5_PT6_21rocsparse_index_base_b.has_recursion, 0
	.set _ZN9rocsparseL18bsrxmvn_3x3_kernelILj256ELj16EdllfddEEvT3_20rocsparse_direction_NS_24const_host_device_scalarIT1_EES1_PKS1_PKT2_SA_S7_PKT4_PKT5_S5_PT6_21rocsparse_index_base_b.has_indirect_call, 0
	.section	.AMDGPU.csdata,"",@progbits
; Kernel info:
; codeLenInByte = 2268
; TotalNumSgprs: 14
; NumVgprs: 49
; ScratchSize: 0
; MemoryBound: 0
; FloatMode: 240
; IeeeMode: 1
; LDSByteSize: 0 bytes/workgroup (compile time only)
; SGPRBlocks: 0
; VGPRBlocks: 6
; NumSGPRsForWavesPerEU: 14
; NumVGPRsForWavesPerEU: 49
; Occupancy: 16
; WaveLimiterHint : 1
; COMPUTE_PGM_RSRC2:SCRATCH_EN: 0
; COMPUTE_PGM_RSRC2:USER_SGPR: 2
; COMPUTE_PGM_RSRC2:TRAP_HANDLER: 0
; COMPUTE_PGM_RSRC2:TGID_X_EN: 1
; COMPUTE_PGM_RSRC2:TGID_Y_EN: 0
; COMPUTE_PGM_RSRC2:TGID_Z_EN: 0
; COMPUTE_PGM_RSRC2:TIDIG_COMP_CNT: 0
	.section	.text._ZN9rocsparseL18bsrxmvn_3x3_kernelILj256ELj32EdllfddEEvT3_20rocsparse_direction_NS_24const_host_device_scalarIT1_EES1_PKS1_PKT2_SA_S7_PKT4_PKT5_S5_PT6_21rocsparse_index_base_b,"axG",@progbits,_ZN9rocsparseL18bsrxmvn_3x3_kernelILj256ELj32EdllfddEEvT3_20rocsparse_direction_NS_24const_host_device_scalarIT1_EES1_PKS1_PKT2_SA_S7_PKT4_PKT5_S5_PT6_21rocsparse_index_base_b,comdat
	.globl	_ZN9rocsparseL18bsrxmvn_3x3_kernelILj256ELj32EdllfddEEvT3_20rocsparse_direction_NS_24const_host_device_scalarIT1_EES1_PKS1_PKT2_SA_S7_PKT4_PKT5_S5_PT6_21rocsparse_index_base_b ; -- Begin function _ZN9rocsparseL18bsrxmvn_3x3_kernelILj256ELj32EdllfddEEvT3_20rocsparse_direction_NS_24const_host_device_scalarIT1_EES1_PKS1_PKT2_SA_S7_PKT4_PKT5_S5_PT6_21rocsparse_index_base_b
	.p2align	8
	.type	_ZN9rocsparseL18bsrxmvn_3x3_kernelILj256ELj32EdllfddEEvT3_20rocsparse_direction_NS_24const_host_device_scalarIT1_EES1_PKS1_PKT2_SA_S7_PKT4_PKT5_S5_PT6_21rocsparse_index_base_b,@function
_ZN9rocsparseL18bsrxmvn_3x3_kernelILj256ELj32EdllfddEEvT3_20rocsparse_direction_NS_24const_host_device_scalarIT1_EES1_PKS1_PKT2_SA_S7_PKT4_PKT5_S5_PT6_21rocsparse_index_base_b: ; @_ZN9rocsparseL18bsrxmvn_3x3_kernelILj256ELj32EdllfddEEvT3_20rocsparse_direction_NS_24const_host_device_scalarIT1_EES1_PKS1_PKT2_SA_S7_PKT4_PKT5_S5_PT6_21rocsparse_index_base_b
; %bb.0:
	s_clause 0x2
	s_load_b64 s[8:9], s[0:1], 0x60
	s_load_b128 s[4:7], s[0:1], 0x10
	s_load_b64 s[2:3], s[0:1], 0x50
	s_wait_kmcnt 0x0
	s_bitcmp1_b32 s9, 0
	v_dual_mov_b32 v7, s5 :: v_dual_mov_b32 v6, s4
	s_cselect_b32 s9, -1, 0
	s_delay_alu instid0(SALU_CYCLE_1)
	s_and_b32 vcc_lo, exec_lo, s9
	s_xor_b32 s9, s9, -1
	s_cbranch_vccnz .LBB163_2
; %bb.1:
	v_dual_mov_b32 v1, s4 :: v_dual_mov_b32 v2, s5
	flat_load_b64 v[6:7], v[1:2]
.LBB163_2:
	v_dual_mov_b32 v5, s3 :: v_dual_mov_b32 v4, s2
	s_and_not1_b32 vcc_lo, exec_lo, s9
	s_cbranch_vccnz .LBB163_4
; %bb.3:
	v_dual_mov_b32 v1, s2 :: v_dual_mov_b32 v2, s3
	flat_load_b64 v[4:5], v[1:2]
.LBB163_4:
	s_wait_loadcnt_dscnt 0x0
	v_cmp_neq_f64_e32 vcc_lo, 0, v[6:7]
	v_cmp_neq_f64_e64 s2, 1.0, v[4:5]
	s_or_b32 s2, vcc_lo, s2
	s_wait_alu 0xfffe
	s_and_saveexec_b32 s3, s2
	s_cbranch_execz .LBB163_10
; %bb.5:
	s_load_b64 s[2:3], s[0:1], 0x20
	v_lshrrev_b32_e32 v1, 5, v0
	v_mov_b32_e32 v11, 0
	s_delay_alu instid0(VALU_DEP_2)
	v_lshl_or_b32 v10, ttmp9, 3, v1
	s_wait_kmcnt 0x0
	s_cmp_lg_u64 s[2:3], 0
	s_cbranch_scc0 .LBB163_11
; %bb.6:
	s_delay_alu instid0(VALU_DEP_1)
	v_cmp_gt_i64_e32 vcc_lo, s[6:7], v[10:11]
	s_mov_b32 s5, 0
	s_mov_b32 s4, 0
                                        ; implicit-def: $vgpr8_vgpr9
                                        ; implicit-def: $vgpr1_vgpr2
	s_and_saveexec_b32 s6, vcc_lo
	s_wait_alu 0xfffe
	s_xor_b32 s6, exec_lo, s6
	s_cbranch_execz .LBB163_8
; %bb.7:
	v_lshlrev_b64_e32 v[1:2], 3, v[10:11]
	s_mov_b32 s9, 0
	s_mov_b32 s4, exec_lo
	s_delay_alu instid0(VALU_DEP_1) | instskip(NEXT) | instid1(VALU_DEP_1)
	v_add_co_u32 v1, vcc_lo, s2, v1
	v_add_co_ci_u32_e64 v2, null, s3, v2, vcc_lo
	global_load_b64 v[1:2], v[1:2], off
	s_wait_loadcnt 0x0
	v_sub_co_u32 v8, vcc_lo, v1, s8
	s_wait_alu 0xfffd
	v_subrev_co_ci_u32_e64 v9, null, 0, v2, vcc_lo
	v_dual_mov_b32 v1, s8 :: v_dual_mov_b32 v2, s9
.LBB163_8:
	s_wait_alu 0xfffe
	s_or_b32 exec_lo, exec_lo, s6
	s_delay_alu instid0(SALU_CYCLE_1)
	s_and_b32 vcc_lo, exec_lo, s5
	s_wait_alu 0xfffe
	s_cbranch_vccnz .LBB163_12
.LBB163_9:
	s_wait_alu 0xfffe
	s_and_b32 exec_lo, exec_lo, s4
	s_cbranch_execnz .LBB163_15
.LBB163_10:
	s_endpgm
.LBB163_11:
	s_mov_b32 s4, 0
                                        ; implicit-def: $vgpr8_vgpr9
                                        ; implicit-def: $vgpr1_vgpr2
	s_cbranch_execz .LBB163_9
.LBB163_12:
	s_load_b64 s[2:3], s[0:1], 0x0
	s_wait_kmcnt 0x0
	v_cmp_gt_i64_e32 vcc_lo, s[2:3], v[10:11]
	s_and_saveexec_b32 s2, vcc_lo
; %bb.13:
	s_mov_b32 s9, 0
	s_or_b32 s4, s4, exec_lo
; %bb.14:
	s_wait_alu 0xfffe
	s_or_b32 exec_lo, exec_lo, s2
	v_dual_mov_b32 v1, s8 :: v_dual_mov_b32 v2, s9
	v_dual_mov_b32 v8, v10 :: v_dual_mov_b32 v9, v11
	s_and_b32 exec_lo, exec_lo, s4
	s_cbranch_execz .LBB163_10
.LBB163_15:
	s_load_b256 s[4:11], s[0:1], 0x28
	s_delay_alu instid0(VALU_DEP_1) | instskip(SKIP_2) | instid1(VALU_DEP_2)
	v_lshlrev_b64_e32 v[10:11], 3, v[8:9]
	v_and_b32_e32 v28, 31, v0
	s_wait_kmcnt 0x0
	v_add_co_u32 v12, vcc_lo, s4, v10
	s_wait_alu 0xfffd
	s_delay_alu instid0(VALU_DEP_3)
	v_add_co_ci_u32_e64 v13, null, s5, v11, vcc_lo
	v_add_co_u32 v3, vcc_lo, s6, v10
	s_wait_alu 0xfffd
	v_add_co_ci_u32_e64 v10, null, s7, v11, vcc_lo
	global_load_b64 v[14:15], v[12:13], off
	v_add_co_u32 v12, vcc_lo, v12, 8
	s_wait_alu 0xfffd
	v_add_co_ci_u32_e64 v11, null, 0, v13, vcc_lo
	s_cmp_eq_u64 s[6:7], 0
	s_cselect_b32 vcc_lo, -1, 0
	s_wait_alu 0xfffe
	v_dual_cndmask_b32 v11, v10, v11 :: v_dual_cndmask_b32 v10, v3, v12
	global_load_b64 v[10:11], v[10:11], off
	s_clause 0x1
	s_load_b32 s3, s[0:1], 0x8
	s_load_b64 s[4:5], s[0:1], 0x48
	s_wait_kmcnt 0x0
	s_cmp_eq_u32 s3, 1
	s_wait_loadcnt 0x1
	v_sub_co_u32 v0, vcc_lo, v14, v1
	s_wait_alu 0xfffd
	v_sub_co_ci_u32_e64 v3, null, v15, v2, vcc_lo
	s_delay_alu instid0(VALU_DEP_2) | instskip(SKIP_1) | instid1(VALU_DEP_2)
	v_add_co_u32 v16, vcc_lo, v0, v28
	s_wait_alu 0xfffd
	v_add_co_ci_u32_e64 v17, null, 0, v3, vcc_lo
	s_delay_alu instid0(VALU_DEP_2) | instskip(SKIP_4) | instid1(VALU_DEP_3)
	v_mad_co_u64_u32 v[18:19], null, v16, 36, s[10:11]
	s_wait_loadcnt 0x0
	v_sub_co_u32 v20, vcc_lo, v10, v1
	s_wait_alu 0xfffd
	v_sub_co_ci_u32_e64 v21, null, v11, v2, vcc_lo
	v_mov_b32_e32 v0, v19
	s_delay_alu instid0(VALU_DEP_2) | instskip(NEXT) | instid1(VALU_DEP_2)
	v_cmp_lt_i64_e64 s2, v[16:17], v[20:21]
	v_mad_co_u64_u32 v[12:13], null, v17, 36, v[0:1]
	s_delay_alu instid0(VALU_DEP_1)
	v_mov_b32_e32 v19, v12
	s_cbranch_scc1 .LBB163_21
; %bb.16:
	v_mov_b32_e32 v10, 0
	v_dual_mov_b32 v11, 0 :: v_dual_mov_b32 v12, 0
	v_dual_mov_b32 v14, 0 :: v_dual_mov_b32 v13, 0
	v_mov_b32_e32 v15, 0
	s_and_saveexec_b32 s6, s2
	s_cbranch_execz .LBB163_20
; %bb.17:
	v_lshlrev_b64_e32 v[12:13], 3, v[16:17]
	v_dual_mov_b32 v10, 0 :: v_dual_mov_b32 v23, v19
	v_dual_mov_b32 v11, 0 :: v_dual_mov_b32 v22, v18
	;; [unrolled: 1-line block ×3, first 2 shown]
	s_delay_alu instid0(VALU_DEP_4)
	v_add_co_u32 v24, vcc_lo, s8, v12
	s_wait_alu 0xfffd
	v_add_co_ci_u32_e64 v25, null, s9, v13, vcc_lo
	v_mov_b32_e32 v12, 0
	v_dual_mov_b32 v13, 0 :: v_dual_mov_b32 v14, 0
	v_mov_b32_e32 v15, 0
	s_mov_b32 s7, 0
.LBB163_18:                             ; =>This Inner Loop Header: Depth=1
	global_load_b64 v[37:38], v[24:25], off
	s_clause 0x1
	global_load_b128 v[29:32], v[22:23], off
	global_load_b128 v[33:36], v[22:23], off offset:16
	v_add_co_u32 v24, s3, 0x100, v24
	s_wait_alu 0xf1ff
	v_add_co_ci_u32_e64 v25, null, 0, v25, s3
	s_wait_loadcnt 0x2
	v_sub_co_u32 v0, vcc_lo, v37, v1
	s_wait_alu 0xfffd
	v_sub_co_ci_u32_e64 v3, null, v38, v2, vcc_lo
	s_wait_loadcnt 0x1
	v_cvt_f64_f32_e32 v[43:44], v29
	v_mad_co_u64_u32 v[41:42], null, v0, 24, s[4:5]
	v_cvt_f64_f32_e32 v[45:46], v32
	s_wait_loadcnt 0x0
	v_cvt_f64_f32_e32 v[47:48], v35
	v_cvt_f64_f32_e32 v[29:30], v30
	;; [unrolled: 1-line block ×4, first 2 shown]
	v_add_co_u32 v26, vcc_lo, v26, 32
	v_mov_b32_e32 v0, v42
	s_wait_alu 0xfffd
	v_add_co_ci_u32_e64 v27, null, 0, v27, vcc_lo
	s_delay_alu instid0(VALU_DEP_2) | instskip(NEXT) | instid1(VALU_DEP_1)
	v_mad_co_u64_u32 v[37:38], null, v3, 24, v[0:1]
	v_mov_b32_e32 v42, v37
	s_clause 0x1
	global_load_b128 v[37:40], v[41:42], off
	global_load_b64 v[41:42], v[41:42], off offset:16
	global_load_b32 v0, v[22:23], off offset:32
	v_add_co_u32 v22, vcc_lo, 0x480, v22
	s_wait_alu 0xfffd
	v_add_co_ci_u32_e64 v23, null, 0, v23, vcc_lo
	v_cmp_ge_i64_e32 vcc_lo, v[26:27], v[20:21]
	s_wait_alu 0xfffe
	s_or_b32 s7, vcc_lo, s7
	s_wait_loadcnt 0x2
	v_fma_f64 v[14:15], v[43:44], v[37:38], v[14:15]
	v_fma_f64 v[12:13], v[45:46], v[37:38], v[12:13]
	;; [unrolled: 1-line block ×3, first 2 shown]
	v_cvt_f64_f32_e32 v[37:38], v31
	v_cvt_f64_f32_e32 v[43:44], v34
	s_wait_loadcnt 0x0
	v_cvt_f64_f32_e32 v[45:46], v0
	v_fma_f64 v[14:15], v[29:30], v[39:40], v[14:15]
	v_fma_f64 v[12:13], v[32:33], v[39:40], v[12:13]
	v_fma_f64 v[10:11], v[35:36], v[39:40], v[10:11]
	s_delay_alu instid0(VALU_DEP_3) | instskip(NEXT) | instid1(VALU_DEP_3)
	v_fma_f64 v[14:15], v[37:38], v[41:42], v[14:15]
	v_fma_f64 v[12:13], v[43:44], v[41:42], v[12:13]
	s_delay_alu instid0(VALU_DEP_3)
	v_fma_f64 v[10:11], v[45:46], v[41:42], v[10:11]
	s_wait_alu 0xfffe
	s_and_not1_b32 exec_lo, exec_lo, s7
	s_cbranch_execnz .LBB163_18
; %bb.19:
	s_or_b32 exec_lo, exec_lo, s7
.LBB163_20:
	s_wait_alu 0xfffe
	s_or_b32 exec_lo, exec_lo, s6
	s_cbranch_execz .LBB163_22
	s_branch .LBB163_27
.LBB163_21:
                                        ; implicit-def: $vgpr10_vgpr11
                                        ; implicit-def: $vgpr12_vgpr13
                                        ; implicit-def: $vgpr14_vgpr15
.LBB163_22:
	v_mov_b32_e32 v10, 0
	v_dual_mov_b32 v11, 0 :: v_dual_mov_b32 v12, 0
	v_dual_mov_b32 v14, 0 :: v_dual_mov_b32 v13, 0
	v_mov_b32_e32 v15, 0
	s_and_saveexec_b32 s3, s2
	s_cbranch_execz .LBB163_26
; %bb.23:
	v_lshlrev_b64_e32 v[22:23], 3, v[16:17]
	v_mov_b32_e32 v10, 0
	v_dual_mov_b32 v11, 0 :: v_dual_mov_b32 v12, 0
	v_dual_mov_b32 v14, 0 :: v_dual_mov_b32 v13, 0
	s_delay_alu instid0(VALU_DEP_4)
	v_add_co_u32 v22, vcc_lo, s8, v22
	v_mov_b32_e32 v15, 0
	s_wait_alu 0xfffd
	v_add_co_ci_u32_e64 v23, null, s9, v23, vcc_lo
	s_mov_b32 s6, 0
.LBB163_24:                             ; =>This Inner Loop Header: Depth=1
	global_load_b64 v[33:34], v[22:23], off
	s_clause 0x1
	global_load_b128 v[24:27], v[18:19], off
	global_load_b128 v[29:32], v[18:19], off offset:16
	v_add_co_u32 v22, s2, 0x100, v22
	s_wait_alu 0xf1ff
	v_add_co_ci_u32_e64 v23, null, 0, v23, s2
	s_wait_loadcnt 0x2
	v_sub_co_u32 v0, vcc_lo, v33, v1
	s_wait_alu 0xfffd
	v_sub_co_ci_u32_e64 v3, null, v34, v2, vcc_lo
	s_wait_loadcnt 0x1
	v_cvt_f64_f32_e32 v[39:40], v24
	v_mad_co_u64_u32 v[37:38], null, v0, 24, s[4:5]
	v_cvt_f64_f32_e32 v[24:25], v25
	v_cvt_f64_f32_e32 v[41:42], v26
	;; [unrolled: 1-line block ×3, first 2 shown]
	s_wait_loadcnt 0x0
	v_cvt_f64_f32_e32 v[43:44], v29
	v_cvt_f64_f32_e32 v[29:30], v30
	v_add_co_u32 v16, vcc_lo, v16, 32
	v_mov_b32_e32 v0, v38
	s_wait_alu 0xfffd
	v_add_co_ci_u32_e64 v17, null, 0, v17, vcc_lo
	s_delay_alu instid0(VALU_DEP_2) | instskip(NEXT) | instid1(VALU_DEP_1)
	v_mad_co_u64_u32 v[33:34], null, v3, 24, v[0:1]
	v_mov_b32_e32 v38, v33
	s_clause 0x1
	global_load_b128 v[33:36], v[37:38], off
	global_load_b64 v[37:38], v[37:38], off offset:16
	global_load_b32 v0, v[18:19], off offset:32
	v_add_co_u32 v18, vcc_lo, 0x480, v18
	s_wait_alu 0xfffd
	v_add_co_ci_u32_e64 v19, null, 0, v19, vcc_lo
	v_cmp_ge_i64_e32 vcc_lo, v[16:17], v[20:21]
	s_wait_alu 0xfffe
	s_or_b32 s6, vcc_lo, s6
	s_wait_loadcnt 0x2
	v_fma_f64 v[14:15], v[39:40], v[33:34], v[14:15]
	v_fma_f64 v[12:13], v[24:25], v[33:34], v[12:13]
	;; [unrolled: 1-line block ×3, first 2 shown]
	v_cvt_f64_f32_e32 v[24:25], v31
	v_cvt_f64_f32_e32 v[31:32], v32
	s_wait_loadcnt 0x0
	v_cvt_f64_f32_e32 v[33:34], v0
	v_fma_f64 v[14:15], v[26:27], v[35:36], v[14:15]
	v_fma_f64 v[12:13], v[43:44], v[35:36], v[12:13]
	;; [unrolled: 1-line block ×3, first 2 shown]
	s_delay_alu instid0(VALU_DEP_3) | instskip(NEXT) | instid1(VALU_DEP_3)
	v_fma_f64 v[14:15], v[24:25], v[37:38], v[14:15]
	v_fma_f64 v[12:13], v[31:32], v[37:38], v[12:13]
	s_delay_alu instid0(VALU_DEP_3)
	v_fma_f64 v[10:11], v[33:34], v[37:38], v[10:11]
	s_wait_alu 0xfffe
	s_and_not1_b32 exec_lo, exec_lo, s6
	s_cbranch_execnz .LBB163_24
; %bb.25:
	s_or_b32 exec_lo, exec_lo, s6
.LBB163_26:
	s_wait_alu 0xfffe
	s_or_b32 exec_lo, exec_lo, s3
.LBB163_27:
	v_mbcnt_lo_u32_b32 v18, -1, 0
	s_delay_alu instid0(VALU_DEP_1) | instskip(NEXT) | instid1(VALU_DEP_1)
	v_xor_b32_e32 v0, 16, v18
	v_cmp_gt_i32_e32 vcc_lo, 32, v0
	s_wait_alu 0xfffd
	v_cndmask_b32_e32 v0, v18, v0, vcc_lo
	s_delay_alu instid0(VALU_DEP_1)
	v_lshlrev_b32_e32 v17, 2, v0
	ds_bpermute_b32 v0, v17, v14
	ds_bpermute_b32 v1, v17, v15
	;; [unrolled: 1-line block ×6, first 2 shown]
	s_wait_dscnt 0x4
	v_add_f64_e32 v[0:1], v[14:15], v[0:1]
	s_wait_dscnt 0x2
	v_add_f64_e32 v[2:3], v[12:13], v[2:3]
	v_xor_b32_e32 v12, 8, v18
	s_wait_dscnt 0x0
	v_add_f64_e32 v[10:11], v[10:11], v[16:17]
	s_delay_alu instid0(VALU_DEP_2) | instskip(SKIP_2) | instid1(VALU_DEP_1)
	v_cmp_gt_i32_e32 vcc_lo, 32, v12
	s_wait_alu 0xfffd
	v_cndmask_b32_e32 v12, v18, v12, vcc_lo
	v_lshlrev_b32_e32 v17, 2, v12
	ds_bpermute_b32 v12, v17, v0
	ds_bpermute_b32 v13, v17, v1
	;; [unrolled: 1-line block ×6, first 2 shown]
	s_wait_dscnt 0x4
	v_add_f64_e32 v[0:1], v[0:1], v[12:13]
	v_xor_b32_e32 v12, 4, v18
	s_wait_dscnt 0x2
	v_add_f64_e32 v[2:3], v[2:3], v[14:15]
	s_wait_dscnt 0x0
	v_add_f64_e32 v[10:11], v[10:11], v[16:17]
	v_cmp_gt_i32_e32 vcc_lo, 32, v12
	s_wait_alu 0xfffd
	v_cndmask_b32_e32 v12, v18, v12, vcc_lo
	s_delay_alu instid0(VALU_DEP_1)
	v_lshlrev_b32_e32 v17, 2, v12
	ds_bpermute_b32 v12, v17, v0
	ds_bpermute_b32 v13, v17, v1
	;; [unrolled: 1-line block ×6, first 2 shown]
	s_wait_dscnt 0x4
	v_add_f64_e32 v[0:1], v[0:1], v[12:13]
	s_wait_dscnt 0x2
	v_add_f64_e32 v[2:3], v[2:3], v[14:15]
	;; [unrolled: 2-line block ×3, first 2 shown]
	v_xor_b32_e32 v10, 2, v18
	s_delay_alu instid0(VALU_DEP_1) | instskip(SKIP_2) | instid1(VALU_DEP_1)
	v_cmp_gt_i32_e32 vcc_lo, 32, v10
	s_wait_alu 0xfffd
	v_cndmask_b32_e32 v10, v18, v10, vcc_lo
	v_lshlrev_b32_e32 v17, 2, v10
	ds_bpermute_b32 v10, v17, v0
	ds_bpermute_b32 v11, v17, v1
	;; [unrolled: 1-line block ×6, first 2 shown]
	s_wait_dscnt 0x4
	v_add_f64_e32 v[10:11], v[0:1], v[10:11]
	s_wait_dscnt 0x2
	v_add_f64_e32 v[0:1], v[2:3], v[14:15]
	;; [unrolled: 2-line block ×3, first 2 shown]
	v_xor_b32_e32 v12, 1, v18
	s_delay_alu instid0(VALU_DEP_1) | instskip(SKIP_3) | instid1(VALU_DEP_2)
	v_cmp_gt_i32_e32 vcc_lo, 32, v12
	s_wait_alu 0xfffd
	v_cndmask_b32_e32 v12, v18, v12, vcc_lo
	v_cmp_eq_u32_e32 vcc_lo, 31, v28
	v_lshlrev_b32_e32 v13, 2, v12
	ds_bpermute_b32 v16, v13, v10
	ds_bpermute_b32 v17, v13, v11
	;; [unrolled: 1-line block ×6, first 2 shown]
	s_and_b32 exec_lo, exec_lo, vcc_lo
	s_cbranch_execz .LBB163_10
; %bb.28:
	s_wait_dscnt 0x4
	v_add_f64_e32 v[10:11], v[10:11], v[16:17]
	s_wait_dscnt 0x2
	v_add_f64_e32 v[14:15], v[0:1], v[14:15]
	s_wait_dscnt 0x0
	v_add_f64_e32 v[12:13], v[2:3], v[12:13]
	s_load_b64 s[0:1], s[0:1], 0x58
	s_mov_b32 s2, exec_lo
	s_delay_alu instid0(VALU_DEP_3) | instskip(NEXT) | instid1(VALU_DEP_3)
	v_mul_f64_e32 v[0:1], v[6:7], v[10:11]
	v_mul_f64_e32 v[2:3], v[6:7], v[14:15]
	s_delay_alu instid0(VALU_DEP_3)
	v_mul_f64_e32 v[6:7], v[6:7], v[12:13]
	v_cmpx_eq_f64_e32 0, v[4:5]
	s_wait_alu 0xfffe
	s_xor_b32 s2, exec_lo, s2
	s_cbranch_execz .LBB163_30
; %bb.29:
	s_wait_kmcnt 0x0
	v_mad_co_u64_u32 v[4:5], null, v8, 24, s[0:1]
	s_delay_alu instid0(VALU_DEP_1) | instskip(NEXT) | instid1(VALU_DEP_1)
	v_mad_co_u64_u32 v[8:9], null, v9, 24, v[5:6]
	v_mov_b32_e32 v5, v8
                                        ; implicit-def: $vgpr8_vgpr9
	s_clause 0x1
	global_store_b128 v[4:5], v[0:3], off
	global_store_b64 v[4:5], v[6:7], off offset:16
                                        ; implicit-def: $vgpr4_vgpr5
                                        ; implicit-def: $vgpr0_vgpr1
                                        ; implicit-def: $vgpr6_vgpr7
.LBB163_30:
	s_wait_alu 0xfffe
	s_and_not1_saveexec_b32 s2, s2
	s_cbranch_execz .LBB163_10
; %bb.31:
	s_wait_kmcnt 0x0
	v_mad_co_u64_u32 v[12:13], null, v8, 24, s[0:1]
	s_delay_alu instid0(VALU_DEP_1) | instskip(NEXT) | instid1(VALU_DEP_1)
	v_mov_b32_e32 v8, v13
	v_mad_co_u64_u32 v[8:9], null, v9, 24, v[8:9]
	s_delay_alu instid0(VALU_DEP_1)
	v_mov_b32_e32 v13, v8
	s_clause 0x1
	global_load_b128 v[8:11], v[12:13], off
	global_load_b64 v[14:15], v[12:13], off offset:16
	s_wait_loadcnt 0x1
	v_fma_f64 v[0:1], v[4:5], v[8:9], v[0:1]
	v_fma_f64 v[2:3], v[4:5], v[10:11], v[2:3]
	s_wait_loadcnt 0x0
	v_fma_f64 v[4:5], v[4:5], v[14:15], v[6:7]
	s_clause 0x1
	global_store_b128 v[12:13], v[0:3], off
	global_store_b64 v[12:13], v[4:5], off offset:16
	s_endpgm
	.section	.rodata,"a",@progbits
	.p2align	6, 0x0
	.amdhsa_kernel _ZN9rocsparseL18bsrxmvn_3x3_kernelILj256ELj32EdllfddEEvT3_20rocsparse_direction_NS_24const_host_device_scalarIT1_EES1_PKS1_PKT2_SA_S7_PKT4_PKT5_S5_PT6_21rocsparse_index_base_b
		.amdhsa_group_segment_fixed_size 0
		.amdhsa_private_segment_fixed_size 0
		.amdhsa_kernarg_size 104
		.amdhsa_user_sgpr_count 2
		.amdhsa_user_sgpr_dispatch_ptr 0
		.amdhsa_user_sgpr_queue_ptr 0
		.amdhsa_user_sgpr_kernarg_segment_ptr 1
		.amdhsa_user_sgpr_dispatch_id 0
		.amdhsa_user_sgpr_private_segment_size 0
		.amdhsa_wavefront_size32 1
		.amdhsa_uses_dynamic_stack 0
		.amdhsa_enable_private_segment 0
		.amdhsa_system_sgpr_workgroup_id_x 1
		.amdhsa_system_sgpr_workgroup_id_y 0
		.amdhsa_system_sgpr_workgroup_id_z 0
		.amdhsa_system_sgpr_workgroup_info 0
		.amdhsa_system_vgpr_workitem_id 0
		.amdhsa_next_free_vgpr 49
		.amdhsa_next_free_sgpr 12
		.amdhsa_reserve_vcc 1
		.amdhsa_float_round_mode_32 0
		.amdhsa_float_round_mode_16_64 0
		.amdhsa_float_denorm_mode_32 3
		.amdhsa_float_denorm_mode_16_64 3
		.amdhsa_fp16_overflow 0
		.amdhsa_workgroup_processor_mode 1
		.amdhsa_memory_ordered 1
		.amdhsa_forward_progress 1
		.amdhsa_inst_pref_size 19
		.amdhsa_round_robin_scheduling 0
		.amdhsa_exception_fp_ieee_invalid_op 0
		.amdhsa_exception_fp_denorm_src 0
		.amdhsa_exception_fp_ieee_div_zero 0
		.amdhsa_exception_fp_ieee_overflow 0
		.amdhsa_exception_fp_ieee_underflow 0
		.amdhsa_exception_fp_ieee_inexact 0
		.amdhsa_exception_int_div_zero 0
	.end_amdhsa_kernel
	.section	.text._ZN9rocsparseL18bsrxmvn_3x3_kernelILj256ELj32EdllfddEEvT3_20rocsparse_direction_NS_24const_host_device_scalarIT1_EES1_PKS1_PKT2_SA_S7_PKT4_PKT5_S5_PT6_21rocsparse_index_base_b,"axG",@progbits,_ZN9rocsparseL18bsrxmvn_3x3_kernelILj256ELj32EdllfddEEvT3_20rocsparse_direction_NS_24const_host_device_scalarIT1_EES1_PKS1_PKT2_SA_S7_PKT4_PKT5_S5_PT6_21rocsparse_index_base_b,comdat
.Lfunc_end163:
	.size	_ZN9rocsparseL18bsrxmvn_3x3_kernelILj256ELj32EdllfddEEvT3_20rocsparse_direction_NS_24const_host_device_scalarIT1_EES1_PKS1_PKT2_SA_S7_PKT4_PKT5_S5_PT6_21rocsparse_index_base_b, .Lfunc_end163-_ZN9rocsparseL18bsrxmvn_3x3_kernelILj256ELj32EdllfddEEvT3_20rocsparse_direction_NS_24const_host_device_scalarIT1_EES1_PKS1_PKT2_SA_S7_PKT4_PKT5_S5_PT6_21rocsparse_index_base_b
                                        ; -- End function
	.set _ZN9rocsparseL18bsrxmvn_3x3_kernelILj256ELj32EdllfddEEvT3_20rocsparse_direction_NS_24const_host_device_scalarIT1_EES1_PKS1_PKT2_SA_S7_PKT4_PKT5_S5_PT6_21rocsparse_index_base_b.num_vgpr, 49
	.set _ZN9rocsparseL18bsrxmvn_3x3_kernelILj256ELj32EdllfddEEvT3_20rocsparse_direction_NS_24const_host_device_scalarIT1_EES1_PKS1_PKT2_SA_S7_PKT4_PKT5_S5_PT6_21rocsparse_index_base_b.num_agpr, 0
	.set _ZN9rocsparseL18bsrxmvn_3x3_kernelILj256ELj32EdllfddEEvT3_20rocsparse_direction_NS_24const_host_device_scalarIT1_EES1_PKS1_PKT2_SA_S7_PKT4_PKT5_S5_PT6_21rocsparse_index_base_b.numbered_sgpr, 12
	.set _ZN9rocsparseL18bsrxmvn_3x3_kernelILj256ELj32EdllfddEEvT3_20rocsparse_direction_NS_24const_host_device_scalarIT1_EES1_PKS1_PKT2_SA_S7_PKT4_PKT5_S5_PT6_21rocsparse_index_base_b.num_named_barrier, 0
	.set _ZN9rocsparseL18bsrxmvn_3x3_kernelILj256ELj32EdllfddEEvT3_20rocsparse_direction_NS_24const_host_device_scalarIT1_EES1_PKS1_PKT2_SA_S7_PKT4_PKT5_S5_PT6_21rocsparse_index_base_b.private_seg_size, 0
	.set _ZN9rocsparseL18bsrxmvn_3x3_kernelILj256ELj32EdllfddEEvT3_20rocsparse_direction_NS_24const_host_device_scalarIT1_EES1_PKS1_PKT2_SA_S7_PKT4_PKT5_S5_PT6_21rocsparse_index_base_b.uses_vcc, 1
	.set _ZN9rocsparseL18bsrxmvn_3x3_kernelILj256ELj32EdllfddEEvT3_20rocsparse_direction_NS_24const_host_device_scalarIT1_EES1_PKS1_PKT2_SA_S7_PKT4_PKT5_S5_PT6_21rocsparse_index_base_b.uses_flat_scratch, 0
	.set _ZN9rocsparseL18bsrxmvn_3x3_kernelILj256ELj32EdllfddEEvT3_20rocsparse_direction_NS_24const_host_device_scalarIT1_EES1_PKS1_PKT2_SA_S7_PKT4_PKT5_S5_PT6_21rocsparse_index_base_b.has_dyn_sized_stack, 0
	.set _ZN9rocsparseL18bsrxmvn_3x3_kernelILj256ELj32EdllfddEEvT3_20rocsparse_direction_NS_24const_host_device_scalarIT1_EES1_PKS1_PKT2_SA_S7_PKT4_PKT5_S5_PT6_21rocsparse_index_base_b.has_recursion, 0
	.set _ZN9rocsparseL18bsrxmvn_3x3_kernelILj256ELj32EdllfddEEvT3_20rocsparse_direction_NS_24const_host_device_scalarIT1_EES1_PKS1_PKT2_SA_S7_PKT4_PKT5_S5_PT6_21rocsparse_index_base_b.has_indirect_call, 0
	.section	.AMDGPU.csdata,"",@progbits
; Kernel info:
; codeLenInByte = 2372
; TotalNumSgprs: 14
; NumVgprs: 49
; ScratchSize: 0
; MemoryBound: 0
; FloatMode: 240
; IeeeMode: 1
; LDSByteSize: 0 bytes/workgroup (compile time only)
; SGPRBlocks: 0
; VGPRBlocks: 6
; NumSGPRsForWavesPerEU: 14
; NumVGPRsForWavesPerEU: 49
; Occupancy: 16
; WaveLimiterHint : 1
; COMPUTE_PGM_RSRC2:SCRATCH_EN: 0
; COMPUTE_PGM_RSRC2:USER_SGPR: 2
; COMPUTE_PGM_RSRC2:TRAP_HANDLER: 0
; COMPUTE_PGM_RSRC2:TGID_X_EN: 1
; COMPUTE_PGM_RSRC2:TGID_Y_EN: 0
; COMPUTE_PGM_RSRC2:TGID_Z_EN: 0
; COMPUTE_PGM_RSRC2:TIDIG_COMP_CNT: 0
	.section	.text._ZN9rocsparseL18bsrxmvn_3x3_kernelILj256ELj64EdllfddEEvT3_20rocsparse_direction_NS_24const_host_device_scalarIT1_EES1_PKS1_PKT2_SA_S7_PKT4_PKT5_S5_PT6_21rocsparse_index_base_b,"axG",@progbits,_ZN9rocsparseL18bsrxmvn_3x3_kernelILj256ELj64EdllfddEEvT3_20rocsparse_direction_NS_24const_host_device_scalarIT1_EES1_PKS1_PKT2_SA_S7_PKT4_PKT5_S5_PT6_21rocsparse_index_base_b,comdat
	.globl	_ZN9rocsparseL18bsrxmvn_3x3_kernelILj256ELj64EdllfddEEvT3_20rocsparse_direction_NS_24const_host_device_scalarIT1_EES1_PKS1_PKT2_SA_S7_PKT4_PKT5_S5_PT6_21rocsparse_index_base_b ; -- Begin function _ZN9rocsparseL18bsrxmvn_3x3_kernelILj256ELj64EdllfddEEvT3_20rocsparse_direction_NS_24const_host_device_scalarIT1_EES1_PKS1_PKT2_SA_S7_PKT4_PKT5_S5_PT6_21rocsparse_index_base_b
	.p2align	8
	.type	_ZN9rocsparseL18bsrxmvn_3x3_kernelILj256ELj64EdllfddEEvT3_20rocsparse_direction_NS_24const_host_device_scalarIT1_EES1_PKS1_PKT2_SA_S7_PKT4_PKT5_S5_PT6_21rocsparse_index_base_b,@function
_ZN9rocsparseL18bsrxmvn_3x3_kernelILj256ELj64EdllfddEEvT3_20rocsparse_direction_NS_24const_host_device_scalarIT1_EES1_PKS1_PKT2_SA_S7_PKT4_PKT5_S5_PT6_21rocsparse_index_base_b: ; @_ZN9rocsparseL18bsrxmvn_3x3_kernelILj256ELj64EdllfddEEvT3_20rocsparse_direction_NS_24const_host_device_scalarIT1_EES1_PKS1_PKT2_SA_S7_PKT4_PKT5_S5_PT6_21rocsparse_index_base_b
; %bb.0:
	s_clause 0x2
	s_load_b64 s[8:9], s[0:1], 0x60
	s_load_b128 s[4:7], s[0:1], 0x10
	s_load_b64 s[2:3], s[0:1], 0x50
	s_wait_kmcnt 0x0
	s_bitcmp1_b32 s9, 0
	v_dual_mov_b32 v7, s5 :: v_dual_mov_b32 v6, s4
	s_cselect_b32 s9, -1, 0
	s_delay_alu instid0(SALU_CYCLE_1)
	s_and_b32 vcc_lo, exec_lo, s9
	s_xor_b32 s9, s9, -1
	s_cbranch_vccnz .LBB164_2
; %bb.1:
	v_dual_mov_b32 v1, s4 :: v_dual_mov_b32 v2, s5
	flat_load_b64 v[6:7], v[1:2]
.LBB164_2:
	v_dual_mov_b32 v5, s3 :: v_dual_mov_b32 v4, s2
	s_and_not1_b32 vcc_lo, exec_lo, s9
	s_cbranch_vccnz .LBB164_4
; %bb.3:
	v_dual_mov_b32 v1, s2 :: v_dual_mov_b32 v2, s3
	flat_load_b64 v[4:5], v[1:2]
.LBB164_4:
	s_wait_loadcnt_dscnt 0x0
	v_cmp_neq_f64_e32 vcc_lo, 0, v[6:7]
	v_cmp_neq_f64_e64 s2, 1.0, v[4:5]
	s_or_b32 s2, vcc_lo, s2
	s_wait_alu 0xfffe
	s_and_saveexec_b32 s3, s2
	s_cbranch_execz .LBB164_10
; %bb.5:
	s_load_b64 s[2:3], s[0:1], 0x20
	v_lshrrev_b32_e32 v1, 6, v0
	v_mov_b32_e32 v11, 0
	s_delay_alu instid0(VALU_DEP_2)
	v_lshl_or_b32 v10, ttmp9, 2, v1
	s_wait_kmcnt 0x0
	s_cmp_lg_u64 s[2:3], 0
	s_cbranch_scc0 .LBB164_11
; %bb.6:
	s_delay_alu instid0(VALU_DEP_1)
	v_cmp_gt_i64_e32 vcc_lo, s[6:7], v[10:11]
	s_mov_b32 s5, 0
	s_mov_b32 s4, 0
                                        ; implicit-def: $vgpr8_vgpr9
                                        ; implicit-def: $vgpr1_vgpr2
	s_and_saveexec_b32 s6, vcc_lo
	s_wait_alu 0xfffe
	s_xor_b32 s6, exec_lo, s6
	s_cbranch_execz .LBB164_8
; %bb.7:
	v_lshlrev_b64_e32 v[1:2], 3, v[10:11]
	s_mov_b32 s9, 0
	s_mov_b32 s4, exec_lo
	s_delay_alu instid0(VALU_DEP_1) | instskip(NEXT) | instid1(VALU_DEP_1)
	v_add_co_u32 v1, vcc_lo, s2, v1
	v_add_co_ci_u32_e64 v2, null, s3, v2, vcc_lo
	global_load_b64 v[1:2], v[1:2], off
	s_wait_loadcnt 0x0
	v_sub_co_u32 v8, vcc_lo, v1, s8
	s_wait_alu 0xfffd
	v_subrev_co_ci_u32_e64 v9, null, 0, v2, vcc_lo
	v_dual_mov_b32 v1, s8 :: v_dual_mov_b32 v2, s9
.LBB164_8:
	s_wait_alu 0xfffe
	s_or_b32 exec_lo, exec_lo, s6
	s_delay_alu instid0(SALU_CYCLE_1)
	s_and_b32 vcc_lo, exec_lo, s5
	s_wait_alu 0xfffe
	s_cbranch_vccnz .LBB164_12
.LBB164_9:
	s_wait_alu 0xfffe
	s_and_b32 exec_lo, exec_lo, s4
	s_cbranch_execnz .LBB164_15
.LBB164_10:
	s_endpgm
.LBB164_11:
	s_mov_b32 s4, 0
                                        ; implicit-def: $vgpr8_vgpr9
                                        ; implicit-def: $vgpr1_vgpr2
	s_cbranch_execz .LBB164_9
.LBB164_12:
	s_load_b64 s[2:3], s[0:1], 0x0
	s_wait_kmcnt 0x0
	v_cmp_gt_i64_e32 vcc_lo, s[2:3], v[10:11]
	s_and_saveexec_b32 s2, vcc_lo
; %bb.13:
	s_mov_b32 s9, 0
	s_or_b32 s4, s4, exec_lo
; %bb.14:
	s_wait_alu 0xfffe
	s_or_b32 exec_lo, exec_lo, s2
	v_dual_mov_b32 v1, s8 :: v_dual_mov_b32 v2, s9
	v_dual_mov_b32 v8, v10 :: v_dual_mov_b32 v9, v11
	s_and_b32 exec_lo, exec_lo, s4
	s_cbranch_execz .LBB164_10
.LBB164_15:
	s_load_b256 s[4:11], s[0:1], 0x28
	s_delay_alu instid0(VALU_DEP_1) | instskip(SKIP_2) | instid1(VALU_DEP_2)
	v_lshlrev_b64_e32 v[10:11], 3, v[8:9]
	v_and_b32_e32 v28, 63, v0
	s_wait_kmcnt 0x0
	v_add_co_u32 v12, vcc_lo, s4, v10
	s_wait_alu 0xfffd
	s_delay_alu instid0(VALU_DEP_3)
	v_add_co_ci_u32_e64 v13, null, s5, v11, vcc_lo
	v_add_co_u32 v3, vcc_lo, s6, v10
	s_wait_alu 0xfffd
	v_add_co_ci_u32_e64 v10, null, s7, v11, vcc_lo
	global_load_b64 v[14:15], v[12:13], off
	v_add_co_u32 v12, vcc_lo, v12, 8
	s_wait_alu 0xfffd
	v_add_co_ci_u32_e64 v11, null, 0, v13, vcc_lo
	s_cmp_eq_u64 s[6:7], 0
	s_cselect_b32 vcc_lo, -1, 0
	s_wait_alu 0xfffe
	v_dual_cndmask_b32 v11, v10, v11 :: v_dual_cndmask_b32 v10, v3, v12
	global_load_b64 v[10:11], v[10:11], off
	s_clause 0x1
	s_load_b32 s3, s[0:1], 0x8
	s_load_b64 s[4:5], s[0:1], 0x48
	s_wait_kmcnt 0x0
	s_cmp_eq_u32 s3, 1
	s_wait_loadcnt 0x1
	v_sub_co_u32 v0, vcc_lo, v14, v1
	s_wait_alu 0xfffd
	v_sub_co_ci_u32_e64 v3, null, v15, v2, vcc_lo
	s_delay_alu instid0(VALU_DEP_2) | instskip(SKIP_1) | instid1(VALU_DEP_2)
	v_add_co_u32 v16, vcc_lo, v0, v28
	s_wait_alu 0xfffd
	v_add_co_ci_u32_e64 v17, null, 0, v3, vcc_lo
	s_delay_alu instid0(VALU_DEP_2) | instskip(SKIP_4) | instid1(VALU_DEP_3)
	v_mad_co_u64_u32 v[18:19], null, v16, 36, s[10:11]
	s_wait_loadcnt 0x0
	v_sub_co_u32 v20, vcc_lo, v10, v1
	s_wait_alu 0xfffd
	v_sub_co_ci_u32_e64 v21, null, v11, v2, vcc_lo
	v_mov_b32_e32 v0, v19
	s_delay_alu instid0(VALU_DEP_2) | instskip(NEXT) | instid1(VALU_DEP_2)
	v_cmp_lt_i64_e64 s2, v[16:17], v[20:21]
	v_mad_co_u64_u32 v[12:13], null, v17, 36, v[0:1]
	s_delay_alu instid0(VALU_DEP_1)
	v_mov_b32_e32 v19, v12
	s_cbranch_scc1 .LBB164_21
; %bb.16:
	v_mov_b32_e32 v10, 0
	v_dual_mov_b32 v11, 0 :: v_dual_mov_b32 v12, 0
	v_dual_mov_b32 v14, 0 :: v_dual_mov_b32 v13, 0
	v_mov_b32_e32 v15, 0
	s_and_saveexec_b32 s6, s2
	s_cbranch_execz .LBB164_20
; %bb.17:
	v_lshlrev_b64_e32 v[12:13], 3, v[16:17]
	v_dual_mov_b32 v10, 0 :: v_dual_mov_b32 v23, v19
	v_dual_mov_b32 v11, 0 :: v_dual_mov_b32 v22, v18
	;; [unrolled: 1-line block ×3, first 2 shown]
	s_delay_alu instid0(VALU_DEP_4)
	v_add_co_u32 v24, vcc_lo, s8, v12
	s_wait_alu 0xfffd
	v_add_co_ci_u32_e64 v25, null, s9, v13, vcc_lo
	v_mov_b32_e32 v12, 0
	v_dual_mov_b32 v13, 0 :: v_dual_mov_b32 v14, 0
	v_mov_b32_e32 v15, 0
	s_mov_b32 s7, 0
.LBB164_18:                             ; =>This Inner Loop Header: Depth=1
	global_load_b64 v[37:38], v[24:25], off
	s_clause 0x1
	global_load_b128 v[29:32], v[22:23], off
	global_load_b128 v[33:36], v[22:23], off offset:16
	v_add_co_u32 v24, s3, 0x200, v24
	s_wait_alu 0xf1ff
	v_add_co_ci_u32_e64 v25, null, 0, v25, s3
	s_wait_loadcnt 0x2
	v_sub_co_u32 v0, vcc_lo, v37, v1
	s_wait_alu 0xfffd
	v_sub_co_ci_u32_e64 v3, null, v38, v2, vcc_lo
	s_wait_loadcnt 0x1
	v_cvt_f64_f32_e32 v[43:44], v29
	v_mad_co_u64_u32 v[41:42], null, v0, 24, s[4:5]
	v_cvt_f64_f32_e32 v[45:46], v32
	s_wait_loadcnt 0x0
	v_cvt_f64_f32_e32 v[47:48], v35
	v_cvt_f64_f32_e32 v[29:30], v30
	;; [unrolled: 1-line block ×4, first 2 shown]
	v_add_co_u32 v26, vcc_lo, v26, 64
	v_mov_b32_e32 v0, v42
	s_wait_alu 0xfffd
	v_add_co_ci_u32_e64 v27, null, 0, v27, vcc_lo
	s_delay_alu instid0(VALU_DEP_2) | instskip(NEXT) | instid1(VALU_DEP_1)
	v_mad_co_u64_u32 v[37:38], null, v3, 24, v[0:1]
	v_mov_b32_e32 v42, v37
	s_clause 0x1
	global_load_b128 v[37:40], v[41:42], off
	global_load_b64 v[41:42], v[41:42], off offset:16
	global_load_b32 v0, v[22:23], off offset:32
	v_add_co_u32 v22, vcc_lo, 0x900, v22
	s_wait_alu 0xfffd
	v_add_co_ci_u32_e64 v23, null, 0, v23, vcc_lo
	v_cmp_ge_i64_e32 vcc_lo, v[26:27], v[20:21]
	s_wait_alu 0xfffe
	s_or_b32 s7, vcc_lo, s7
	s_wait_loadcnt 0x2
	v_fma_f64 v[14:15], v[43:44], v[37:38], v[14:15]
	v_fma_f64 v[12:13], v[45:46], v[37:38], v[12:13]
	;; [unrolled: 1-line block ×3, first 2 shown]
	v_cvt_f64_f32_e32 v[37:38], v31
	v_cvt_f64_f32_e32 v[43:44], v34
	s_wait_loadcnt 0x0
	v_cvt_f64_f32_e32 v[45:46], v0
	v_fma_f64 v[14:15], v[29:30], v[39:40], v[14:15]
	v_fma_f64 v[12:13], v[32:33], v[39:40], v[12:13]
	;; [unrolled: 1-line block ×3, first 2 shown]
	s_delay_alu instid0(VALU_DEP_3) | instskip(NEXT) | instid1(VALU_DEP_3)
	v_fma_f64 v[14:15], v[37:38], v[41:42], v[14:15]
	v_fma_f64 v[12:13], v[43:44], v[41:42], v[12:13]
	s_delay_alu instid0(VALU_DEP_3)
	v_fma_f64 v[10:11], v[45:46], v[41:42], v[10:11]
	s_wait_alu 0xfffe
	s_and_not1_b32 exec_lo, exec_lo, s7
	s_cbranch_execnz .LBB164_18
; %bb.19:
	s_or_b32 exec_lo, exec_lo, s7
.LBB164_20:
	s_wait_alu 0xfffe
	s_or_b32 exec_lo, exec_lo, s6
	s_cbranch_execz .LBB164_22
	s_branch .LBB164_27
.LBB164_21:
                                        ; implicit-def: $vgpr10_vgpr11
                                        ; implicit-def: $vgpr12_vgpr13
                                        ; implicit-def: $vgpr14_vgpr15
.LBB164_22:
	v_mov_b32_e32 v10, 0
	v_dual_mov_b32 v11, 0 :: v_dual_mov_b32 v12, 0
	v_dual_mov_b32 v14, 0 :: v_dual_mov_b32 v13, 0
	v_mov_b32_e32 v15, 0
	s_and_saveexec_b32 s3, s2
	s_cbranch_execz .LBB164_26
; %bb.23:
	v_lshlrev_b64_e32 v[22:23], 3, v[16:17]
	v_mov_b32_e32 v10, 0
	v_dual_mov_b32 v11, 0 :: v_dual_mov_b32 v12, 0
	v_dual_mov_b32 v14, 0 :: v_dual_mov_b32 v13, 0
	s_delay_alu instid0(VALU_DEP_4)
	v_add_co_u32 v22, vcc_lo, s8, v22
	v_mov_b32_e32 v15, 0
	s_wait_alu 0xfffd
	v_add_co_ci_u32_e64 v23, null, s9, v23, vcc_lo
	s_mov_b32 s6, 0
.LBB164_24:                             ; =>This Inner Loop Header: Depth=1
	global_load_b64 v[33:34], v[22:23], off
	s_clause 0x1
	global_load_b128 v[24:27], v[18:19], off
	global_load_b128 v[29:32], v[18:19], off offset:16
	v_add_co_u32 v22, s2, 0x200, v22
	s_wait_alu 0xf1ff
	v_add_co_ci_u32_e64 v23, null, 0, v23, s2
	s_wait_loadcnt 0x2
	v_sub_co_u32 v0, vcc_lo, v33, v1
	s_wait_alu 0xfffd
	v_sub_co_ci_u32_e64 v3, null, v34, v2, vcc_lo
	s_wait_loadcnt 0x1
	v_cvt_f64_f32_e32 v[39:40], v24
	v_mad_co_u64_u32 v[37:38], null, v0, 24, s[4:5]
	v_cvt_f64_f32_e32 v[24:25], v25
	v_cvt_f64_f32_e32 v[41:42], v26
	;; [unrolled: 1-line block ×3, first 2 shown]
	s_wait_loadcnt 0x0
	v_cvt_f64_f32_e32 v[43:44], v29
	v_cvt_f64_f32_e32 v[29:30], v30
	v_add_co_u32 v16, vcc_lo, v16, 64
	v_mov_b32_e32 v0, v38
	s_wait_alu 0xfffd
	v_add_co_ci_u32_e64 v17, null, 0, v17, vcc_lo
	s_delay_alu instid0(VALU_DEP_2) | instskip(NEXT) | instid1(VALU_DEP_1)
	v_mad_co_u64_u32 v[33:34], null, v3, 24, v[0:1]
	v_mov_b32_e32 v38, v33
	s_clause 0x1
	global_load_b128 v[33:36], v[37:38], off
	global_load_b64 v[37:38], v[37:38], off offset:16
	global_load_b32 v0, v[18:19], off offset:32
	v_add_co_u32 v18, vcc_lo, 0x900, v18
	s_wait_alu 0xfffd
	v_add_co_ci_u32_e64 v19, null, 0, v19, vcc_lo
	v_cmp_ge_i64_e32 vcc_lo, v[16:17], v[20:21]
	s_wait_alu 0xfffe
	s_or_b32 s6, vcc_lo, s6
	s_wait_loadcnt 0x2
	v_fma_f64 v[14:15], v[39:40], v[33:34], v[14:15]
	v_fma_f64 v[12:13], v[24:25], v[33:34], v[12:13]
	;; [unrolled: 1-line block ×3, first 2 shown]
	v_cvt_f64_f32_e32 v[24:25], v31
	v_cvt_f64_f32_e32 v[31:32], v32
	s_wait_loadcnt 0x0
	v_cvt_f64_f32_e32 v[33:34], v0
	v_fma_f64 v[14:15], v[26:27], v[35:36], v[14:15]
	v_fma_f64 v[12:13], v[43:44], v[35:36], v[12:13]
	;; [unrolled: 1-line block ×3, first 2 shown]
	s_delay_alu instid0(VALU_DEP_3) | instskip(NEXT) | instid1(VALU_DEP_3)
	v_fma_f64 v[14:15], v[24:25], v[37:38], v[14:15]
	v_fma_f64 v[12:13], v[31:32], v[37:38], v[12:13]
	s_delay_alu instid0(VALU_DEP_3)
	v_fma_f64 v[10:11], v[33:34], v[37:38], v[10:11]
	s_wait_alu 0xfffe
	s_and_not1_b32 exec_lo, exec_lo, s6
	s_cbranch_execnz .LBB164_24
; %bb.25:
	s_or_b32 exec_lo, exec_lo, s6
.LBB164_26:
	s_wait_alu 0xfffe
	s_or_b32 exec_lo, exec_lo, s3
.LBB164_27:
	v_mbcnt_lo_u32_b32 v18, -1, 0
	s_delay_alu instid0(VALU_DEP_1) | instskip(NEXT) | instid1(VALU_DEP_1)
	v_or_b32_e32 v0, 32, v18
	v_cmp_gt_i32_e32 vcc_lo, 32, v0
	s_wait_alu 0xfffd
	v_cndmask_b32_e32 v0, v18, v0, vcc_lo
	s_delay_alu instid0(VALU_DEP_1)
	v_lshlrev_b32_e32 v17, 2, v0
	ds_bpermute_b32 v0, v17, v14
	ds_bpermute_b32 v1, v17, v15
	;; [unrolled: 1-line block ×6, first 2 shown]
	s_wait_dscnt 0x4
	v_add_f64_e32 v[0:1], v[14:15], v[0:1]
	s_wait_dscnt 0x2
	v_add_f64_e32 v[2:3], v[12:13], v[2:3]
	v_xor_b32_e32 v12, 16, v18
	s_wait_dscnt 0x0
	v_add_f64_e32 v[10:11], v[10:11], v[16:17]
	s_delay_alu instid0(VALU_DEP_2) | instskip(SKIP_2) | instid1(VALU_DEP_1)
	v_cmp_gt_i32_e32 vcc_lo, 32, v12
	s_wait_alu 0xfffd
	v_cndmask_b32_e32 v12, v18, v12, vcc_lo
	v_lshlrev_b32_e32 v17, 2, v12
	ds_bpermute_b32 v12, v17, v0
	ds_bpermute_b32 v13, v17, v1
	;; [unrolled: 1-line block ×6, first 2 shown]
	s_wait_dscnt 0x4
	v_add_f64_e32 v[0:1], v[0:1], v[12:13]
	v_xor_b32_e32 v12, 8, v18
	s_wait_dscnt 0x2
	v_add_f64_e32 v[2:3], v[2:3], v[14:15]
	s_wait_dscnt 0x0
	v_add_f64_e32 v[10:11], v[10:11], v[16:17]
	v_cmp_gt_i32_e32 vcc_lo, 32, v12
	s_wait_alu 0xfffd
	v_cndmask_b32_e32 v12, v18, v12, vcc_lo
	s_delay_alu instid0(VALU_DEP_1)
	v_lshlrev_b32_e32 v17, 2, v12
	ds_bpermute_b32 v12, v17, v0
	ds_bpermute_b32 v13, v17, v1
	;; [unrolled: 1-line block ×6, first 2 shown]
	s_wait_dscnt 0x4
	v_add_f64_e32 v[0:1], v[0:1], v[12:13]
	v_xor_b32_e32 v12, 4, v18
	s_wait_dscnt 0x2
	v_add_f64_e32 v[2:3], v[2:3], v[14:15]
	s_wait_dscnt 0x0
	v_add_f64_e32 v[10:11], v[10:11], v[16:17]
	v_cmp_gt_i32_e32 vcc_lo, 32, v12
	s_wait_alu 0xfffd
	v_cndmask_b32_e32 v12, v18, v12, vcc_lo
	s_delay_alu instid0(VALU_DEP_1)
	v_lshlrev_b32_e32 v17, 2, v12
	ds_bpermute_b32 v12, v17, v0
	ds_bpermute_b32 v13, v17, v1
	;; [unrolled: 1-line block ×6, first 2 shown]
	s_wait_dscnt 0x4
	v_add_f64_e32 v[0:1], v[0:1], v[12:13]
	s_wait_dscnt 0x2
	v_add_f64_e32 v[2:3], v[2:3], v[14:15]
	;; [unrolled: 2-line block ×3, first 2 shown]
	v_xor_b32_e32 v10, 2, v18
	s_delay_alu instid0(VALU_DEP_1) | instskip(SKIP_2) | instid1(VALU_DEP_1)
	v_cmp_gt_i32_e32 vcc_lo, 32, v10
	s_wait_alu 0xfffd
	v_cndmask_b32_e32 v10, v18, v10, vcc_lo
	v_lshlrev_b32_e32 v17, 2, v10
	ds_bpermute_b32 v10, v17, v0
	ds_bpermute_b32 v11, v17, v1
	ds_bpermute_b32 v14, v17, v2
	ds_bpermute_b32 v15, v17, v3
	ds_bpermute_b32 v16, v17, v12
	ds_bpermute_b32 v17, v17, v13
	s_wait_dscnt 0x4
	v_add_f64_e32 v[10:11], v[0:1], v[10:11]
	s_wait_dscnt 0x2
	v_add_f64_e32 v[0:1], v[2:3], v[14:15]
	;; [unrolled: 2-line block ×3, first 2 shown]
	v_xor_b32_e32 v12, 1, v18
	s_delay_alu instid0(VALU_DEP_1) | instskip(SKIP_3) | instid1(VALU_DEP_2)
	v_cmp_gt_i32_e32 vcc_lo, 32, v12
	s_wait_alu 0xfffd
	v_cndmask_b32_e32 v12, v18, v12, vcc_lo
	v_cmp_eq_u32_e32 vcc_lo, 63, v28
	v_lshlrev_b32_e32 v13, 2, v12
	ds_bpermute_b32 v16, v13, v10
	ds_bpermute_b32 v17, v13, v11
	;; [unrolled: 1-line block ×6, first 2 shown]
	s_and_b32 exec_lo, exec_lo, vcc_lo
	s_cbranch_execz .LBB164_10
; %bb.28:
	s_wait_dscnt 0x4
	v_add_f64_e32 v[10:11], v[10:11], v[16:17]
	s_wait_dscnt 0x2
	v_add_f64_e32 v[14:15], v[0:1], v[14:15]
	;; [unrolled: 2-line block ×3, first 2 shown]
	s_load_b64 s[0:1], s[0:1], 0x58
	s_mov_b32 s2, exec_lo
	s_delay_alu instid0(VALU_DEP_3) | instskip(NEXT) | instid1(VALU_DEP_3)
	v_mul_f64_e32 v[0:1], v[6:7], v[10:11]
	v_mul_f64_e32 v[2:3], v[6:7], v[14:15]
	s_delay_alu instid0(VALU_DEP_3)
	v_mul_f64_e32 v[6:7], v[6:7], v[12:13]
	v_cmpx_eq_f64_e32 0, v[4:5]
	s_wait_alu 0xfffe
	s_xor_b32 s2, exec_lo, s2
	s_cbranch_execz .LBB164_30
; %bb.29:
	s_wait_kmcnt 0x0
	v_mad_co_u64_u32 v[4:5], null, v8, 24, s[0:1]
	s_delay_alu instid0(VALU_DEP_1) | instskip(NEXT) | instid1(VALU_DEP_1)
	v_mad_co_u64_u32 v[8:9], null, v9, 24, v[5:6]
	v_mov_b32_e32 v5, v8
                                        ; implicit-def: $vgpr8_vgpr9
	s_clause 0x1
	global_store_b128 v[4:5], v[0:3], off
	global_store_b64 v[4:5], v[6:7], off offset:16
                                        ; implicit-def: $vgpr4_vgpr5
                                        ; implicit-def: $vgpr0_vgpr1
                                        ; implicit-def: $vgpr6_vgpr7
.LBB164_30:
	s_wait_alu 0xfffe
	s_and_not1_saveexec_b32 s2, s2
	s_cbranch_execz .LBB164_10
; %bb.31:
	s_wait_kmcnt 0x0
	v_mad_co_u64_u32 v[12:13], null, v8, 24, s[0:1]
	s_delay_alu instid0(VALU_DEP_1) | instskip(NEXT) | instid1(VALU_DEP_1)
	v_mov_b32_e32 v8, v13
	v_mad_co_u64_u32 v[8:9], null, v9, 24, v[8:9]
	s_delay_alu instid0(VALU_DEP_1)
	v_mov_b32_e32 v13, v8
	s_clause 0x1
	global_load_b128 v[8:11], v[12:13], off
	global_load_b64 v[14:15], v[12:13], off offset:16
	s_wait_loadcnt 0x1
	v_fma_f64 v[0:1], v[4:5], v[8:9], v[0:1]
	v_fma_f64 v[2:3], v[4:5], v[10:11], v[2:3]
	s_wait_loadcnt 0x0
	v_fma_f64 v[4:5], v[4:5], v[14:15], v[6:7]
	s_clause 0x1
	global_store_b128 v[12:13], v[0:3], off
	global_store_b64 v[12:13], v[4:5], off offset:16
	s_endpgm
	.section	.rodata,"a",@progbits
	.p2align	6, 0x0
	.amdhsa_kernel _ZN9rocsparseL18bsrxmvn_3x3_kernelILj256ELj64EdllfddEEvT3_20rocsparse_direction_NS_24const_host_device_scalarIT1_EES1_PKS1_PKT2_SA_S7_PKT4_PKT5_S5_PT6_21rocsparse_index_base_b
		.amdhsa_group_segment_fixed_size 0
		.amdhsa_private_segment_fixed_size 0
		.amdhsa_kernarg_size 104
		.amdhsa_user_sgpr_count 2
		.amdhsa_user_sgpr_dispatch_ptr 0
		.amdhsa_user_sgpr_queue_ptr 0
		.amdhsa_user_sgpr_kernarg_segment_ptr 1
		.amdhsa_user_sgpr_dispatch_id 0
		.amdhsa_user_sgpr_private_segment_size 0
		.amdhsa_wavefront_size32 1
		.amdhsa_uses_dynamic_stack 0
		.amdhsa_enable_private_segment 0
		.amdhsa_system_sgpr_workgroup_id_x 1
		.amdhsa_system_sgpr_workgroup_id_y 0
		.amdhsa_system_sgpr_workgroup_id_z 0
		.amdhsa_system_sgpr_workgroup_info 0
		.amdhsa_system_vgpr_workitem_id 0
		.amdhsa_next_free_vgpr 49
		.amdhsa_next_free_sgpr 12
		.amdhsa_reserve_vcc 1
		.amdhsa_float_round_mode_32 0
		.amdhsa_float_round_mode_16_64 0
		.amdhsa_float_denorm_mode_32 3
		.amdhsa_float_denorm_mode_16_64 3
		.amdhsa_fp16_overflow 0
		.amdhsa_workgroup_processor_mode 1
		.amdhsa_memory_ordered 1
		.amdhsa_forward_progress 1
		.amdhsa_inst_pref_size 20
		.amdhsa_round_robin_scheduling 0
		.amdhsa_exception_fp_ieee_invalid_op 0
		.amdhsa_exception_fp_denorm_src 0
		.amdhsa_exception_fp_ieee_div_zero 0
		.amdhsa_exception_fp_ieee_overflow 0
		.amdhsa_exception_fp_ieee_underflow 0
		.amdhsa_exception_fp_ieee_inexact 0
		.amdhsa_exception_int_div_zero 0
	.end_amdhsa_kernel
	.section	.text._ZN9rocsparseL18bsrxmvn_3x3_kernelILj256ELj64EdllfddEEvT3_20rocsparse_direction_NS_24const_host_device_scalarIT1_EES1_PKS1_PKT2_SA_S7_PKT4_PKT5_S5_PT6_21rocsparse_index_base_b,"axG",@progbits,_ZN9rocsparseL18bsrxmvn_3x3_kernelILj256ELj64EdllfddEEvT3_20rocsparse_direction_NS_24const_host_device_scalarIT1_EES1_PKS1_PKT2_SA_S7_PKT4_PKT5_S5_PT6_21rocsparse_index_base_b,comdat
.Lfunc_end164:
	.size	_ZN9rocsparseL18bsrxmvn_3x3_kernelILj256ELj64EdllfddEEvT3_20rocsparse_direction_NS_24const_host_device_scalarIT1_EES1_PKS1_PKT2_SA_S7_PKT4_PKT5_S5_PT6_21rocsparse_index_base_b, .Lfunc_end164-_ZN9rocsparseL18bsrxmvn_3x3_kernelILj256ELj64EdllfddEEvT3_20rocsparse_direction_NS_24const_host_device_scalarIT1_EES1_PKS1_PKT2_SA_S7_PKT4_PKT5_S5_PT6_21rocsparse_index_base_b
                                        ; -- End function
	.set _ZN9rocsparseL18bsrxmvn_3x3_kernelILj256ELj64EdllfddEEvT3_20rocsparse_direction_NS_24const_host_device_scalarIT1_EES1_PKS1_PKT2_SA_S7_PKT4_PKT5_S5_PT6_21rocsparse_index_base_b.num_vgpr, 49
	.set _ZN9rocsparseL18bsrxmvn_3x3_kernelILj256ELj64EdllfddEEvT3_20rocsparse_direction_NS_24const_host_device_scalarIT1_EES1_PKS1_PKT2_SA_S7_PKT4_PKT5_S5_PT6_21rocsparse_index_base_b.num_agpr, 0
	.set _ZN9rocsparseL18bsrxmvn_3x3_kernelILj256ELj64EdllfddEEvT3_20rocsparse_direction_NS_24const_host_device_scalarIT1_EES1_PKS1_PKT2_SA_S7_PKT4_PKT5_S5_PT6_21rocsparse_index_base_b.numbered_sgpr, 12
	.set _ZN9rocsparseL18bsrxmvn_3x3_kernelILj256ELj64EdllfddEEvT3_20rocsparse_direction_NS_24const_host_device_scalarIT1_EES1_PKS1_PKT2_SA_S7_PKT4_PKT5_S5_PT6_21rocsparse_index_base_b.num_named_barrier, 0
	.set _ZN9rocsparseL18bsrxmvn_3x3_kernelILj256ELj64EdllfddEEvT3_20rocsparse_direction_NS_24const_host_device_scalarIT1_EES1_PKS1_PKT2_SA_S7_PKT4_PKT5_S5_PT6_21rocsparse_index_base_b.private_seg_size, 0
	.set _ZN9rocsparseL18bsrxmvn_3x3_kernelILj256ELj64EdllfddEEvT3_20rocsparse_direction_NS_24const_host_device_scalarIT1_EES1_PKS1_PKT2_SA_S7_PKT4_PKT5_S5_PT6_21rocsparse_index_base_b.uses_vcc, 1
	.set _ZN9rocsparseL18bsrxmvn_3x3_kernelILj256ELj64EdllfddEEvT3_20rocsparse_direction_NS_24const_host_device_scalarIT1_EES1_PKS1_PKT2_SA_S7_PKT4_PKT5_S5_PT6_21rocsparse_index_base_b.uses_flat_scratch, 0
	.set _ZN9rocsparseL18bsrxmvn_3x3_kernelILj256ELj64EdllfddEEvT3_20rocsparse_direction_NS_24const_host_device_scalarIT1_EES1_PKS1_PKT2_SA_S7_PKT4_PKT5_S5_PT6_21rocsparse_index_base_b.has_dyn_sized_stack, 0
	.set _ZN9rocsparseL18bsrxmvn_3x3_kernelILj256ELj64EdllfddEEvT3_20rocsparse_direction_NS_24const_host_device_scalarIT1_EES1_PKS1_PKT2_SA_S7_PKT4_PKT5_S5_PT6_21rocsparse_index_base_b.has_recursion, 0
	.set _ZN9rocsparseL18bsrxmvn_3x3_kernelILj256ELj64EdllfddEEvT3_20rocsparse_direction_NS_24const_host_device_scalarIT1_EES1_PKS1_PKT2_SA_S7_PKT4_PKT5_S5_PT6_21rocsparse_index_base_b.has_indirect_call, 0
	.section	.AMDGPU.csdata,"",@progbits
; Kernel info:
; codeLenInByte = 2468
; TotalNumSgprs: 14
; NumVgprs: 49
; ScratchSize: 0
; MemoryBound: 0
; FloatMode: 240
; IeeeMode: 1
; LDSByteSize: 0 bytes/workgroup (compile time only)
; SGPRBlocks: 0
; VGPRBlocks: 6
; NumSGPRsForWavesPerEU: 14
; NumVGPRsForWavesPerEU: 49
; Occupancy: 16
; WaveLimiterHint : 1
; COMPUTE_PGM_RSRC2:SCRATCH_EN: 0
; COMPUTE_PGM_RSRC2:USER_SGPR: 2
; COMPUTE_PGM_RSRC2:TRAP_HANDLER: 0
; COMPUTE_PGM_RSRC2:TGID_X_EN: 1
; COMPUTE_PGM_RSRC2:TGID_Y_EN: 0
; COMPUTE_PGM_RSRC2:TGID_Z_EN: 0
; COMPUTE_PGM_RSRC2:TIDIG_COMP_CNT: 0
	.section	.text._ZN9rocsparseL18bsrxmvn_3x3_kernelILj256ELj4E21rocsparse_complex_numIdEiiS1_IfES2_S2_EEvT3_20rocsparse_direction_NS_24const_host_device_scalarIT1_EES4_PKS4_PKT2_SD_SA_PKT4_PKT5_S8_PT6_21rocsparse_index_base_b,"axG",@progbits,_ZN9rocsparseL18bsrxmvn_3x3_kernelILj256ELj4E21rocsparse_complex_numIdEiiS1_IfES2_S2_EEvT3_20rocsparse_direction_NS_24const_host_device_scalarIT1_EES4_PKS4_PKT2_SD_SA_PKT4_PKT5_S8_PT6_21rocsparse_index_base_b,comdat
	.globl	_ZN9rocsparseL18bsrxmvn_3x3_kernelILj256ELj4E21rocsparse_complex_numIdEiiS1_IfES2_S2_EEvT3_20rocsparse_direction_NS_24const_host_device_scalarIT1_EES4_PKS4_PKT2_SD_SA_PKT4_PKT5_S8_PT6_21rocsparse_index_base_b ; -- Begin function _ZN9rocsparseL18bsrxmvn_3x3_kernelILj256ELj4E21rocsparse_complex_numIdEiiS1_IfES2_S2_EEvT3_20rocsparse_direction_NS_24const_host_device_scalarIT1_EES4_PKS4_PKT2_SD_SA_PKT4_PKT5_S8_PT6_21rocsparse_index_base_b
	.p2align	8
	.type	_ZN9rocsparseL18bsrxmvn_3x3_kernelILj256ELj4E21rocsparse_complex_numIdEiiS1_IfES2_S2_EEvT3_20rocsparse_direction_NS_24const_host_device_scalarIT1_EES4_PKS4_PKT2_SD_SA_PKT4_PKT5_S8_PT6_21rocsparse_index_base_b,@function
_ZN9rocsparseL18bsrxmvn_3x3_kernelILj256ELj4E21rocsparse_complex_numIdEiiS1_IfES2_S2_EEvT3_20rocsparse_direction_NS_24const_host_device_scalarIT1_EES4_PKS4_PKT2_SD_SA_PKT4_PKT5_S8_PT6_21rocsparse_index_base_b: ; @_ZN9rocsparseL18bsrxmvn_3x3_kernelILj256ELj4E21rocsparse_complex_numIdEiiS1_IfES2_S2_EEvT3_20rocsparse_direction_NS_24const_host_device_scalarIT1_EES4_PKS4_PKT2_SD_SA_PKT4_PKT5_S8_PT6_21rocsparse_index_base_b
; %bb.0:
	s_clause 0x1
	s_load_b64 s[12:13], s[0:1], 0x68
	s_load_b64 s[2:3], s[0:1], 0x8
	s_add_nc_u64 s[4:5], s[0:1], 8
	s_load_b64 s[6:7], s[0:1], 0x50
	s_wait_kmcnt 0x0
	s_bitcmp1_b32 s13, 0
	s_cselect_b32 s2, s4, s2
	s_cselect_b32 s3, s5, s3
	s_delay_alu instid0(SALU_CYCLE_1)
	v_dual_mov_b32 v1, s2 :: v_dual_mov_b32 v2, s3
	s_add_nc_u64 s[2:3], s[0:1], 0x50
	s_wait_alu 0xfffe
	s_cselect_b32 s2, s2, s6
	s_cselect_b32 s3, s3, s7
	flat_load_b128 v[5:8], v[1:2]
	s_wait_alu 0xfffe
	v_dual_mov_b32 v1, s2 :: v_dual_mov_b32 v2, s3
	flat_load_b128 v[1:4], v[1:2]
	s_wait_loadcnt_dscnt 0x101
	v_cmp_eq_f64_e32 vcc_lo, 0, v[5:6]
	v_cmp_eq_f64_e64 s2, 0, v[7:8]
	s_and_b32 s4, vcc_lo, s2
	s_mov_b32 s2, -1
	s_and_saveexec_b32 s3, s4
	s_cbranch_execz .LBB165_2
; %bb.1:
	s_wait_loadcnt_dscnt 0x0
	v_cmp_neq_f64_e32 vcc_lo, 1.0, v[1:2]
	v_cmp_neq_f64_e64 s2, 0, v[3:4]
	s_wait_alu 0xfffe
	s_or_b32 s2, vcc_lo, s2
	s_wait_alu 0xfffe
	s_or_not1_b32 s2, s2, exec_lo
.LBB165_2:
	s_wait_alu 0xfffe
	s_or_b32 exec_lo, exec_lo, s3
	s_and_saveexec_b32 s3, s2
	s_cbranch_execz .LBB165_8
; %bb.3:
	s_clause 0x1
	s_load_b64 s[4:5], s[0:1], 0x20
	s_load_b64 s[2:3], s[0:1], 0x0
	v_lshrrev_b32_e32 v9, 2, v0
	s_delay_alu instid0(VALU_DEP_1)
	v_lshl_or_b32 v17, ttmp9, 6, v9
	s_wait_kmcnt 0x0
	s_cmp_lg_u64 s[4:5], 0
	s_cbranch_scc0 .LBB165_9
; %bb.4:
	s_load_b32 s6, s[0:1], 0x18
	s_mov_b32 s7, 0
                                        ; implicit-def: $vgpr9
	s_wait_kmcnt 0x0
	v_cmp_gt_i32_e32 vcc_lo, s6, v17
	s_mov_b32 s6, 0
	s_and_saveexec_b32 s8, vcc_lo
	s_delay_alu instid0(SALU_CYCLE_1)
	s_xor_b32 s8, exec_lo, s8
	s_cbranch_execz .LBB165_6
; %bb.5:
	v_ashrrev_i32_e32 v18, 31, v17
	s_mov_b32 s6, exec_lo
	s_delay_alu instid0(VALU_DEP_1) | instskip(NEXT) | instid1(VALU_DEP_1)
	v_lshlrev_b64_e32 v[9:10], 2, v[17:18]
	v_add_co_u32 v9, vcc_lo, s4, v9
	s_delay_alu instid0(VALU_DEP_1)
	v_add_co_ci_u32_e64 v10, null, s5, v10, vcc_lo
	global_load_b32 v9, v[9:10], off
	s_wait_loadcnt 0x0
	v_subrev_nc_u32_e32 v9, s12, v9
.LBB165_6:
	s_or_b32 exec_lo, exec_lo, s8
	s_delay_alu instid0(SALU_CYCLE_1)
	s_and_b32 vcc_lo, exec_lo, s7
	s_wait_alu 0xfffe
	s_cbranch_vccz .LBB165_10
.LBB165_7:
	v_cmp_gt_i32_e32 vcc_lo, s2, v17
	s_and_not1_b32 s2, s6, exec_lo
	s_and_b32 s4, vcc_lo, exec_lo
	s_wait_alu 0xfffe
	s_or_b32 s6, s2, s4
	s_wait_alu 0xfffe
	s_and_b32 exec_lo, exec_lo, s6
	s_cbranch_execnz .LBB165_11
.LBB165_8:
	s_endpgm
.LBB165_9:
	s_mov_b32 s6, 0
                                        ; implicit-def: $vgpr9
	s_cbranch_execnz .LBB165_7
.LBB165_10:
	v_mov_b32_e32 v17, v9
	s_and_b32 exec_lo, exec_lo, s6
	s_cbranch_execz .LBB165_8
.LBB165_11:
	s_load_b256 s[4:11], s[0:1], 0x28
	s_delay_alu instid0(VALU_DEP_1) | instskip(SKIP_1) | instid1(VALU_DEP_2)
	v_ashrrev_i32_e32 v18, 31, v17
	v_and_b32_e32 v0, 3, v0
	v_lshlrev_b64_e32 v[9:10], 2, v[17:18]
	s_wait_kmcnt 0x0
	s_delay_alu instid0(VALU_DEP_1) | instskip(SKIP_1) | instid1(VALU_DEP_2)
	v_add_co_u32 v11, vcc_lo, s4, v9
	s_wait_alu 0xfffd
	v_add_co_ci_u32_e64 v12, null, s5, v10, vcc_lo
	v_add_co_u32 v9, vcc_lo, s6, v9
	s_wait_alu 0xfffd
	v_add_co_ci_u32_e64 v10, null, s7, v10, vcc_lo
	;; [unrolled: 3-line block ×3, first 2 shown]
	s_cmp_eq_u64 s[6:7], 0
	global_load_b32 v11, v[11:12], off
	s_cselect_b32 vcc_lo, -1, 0
	s_load_b64 s[4:5], s[0:1], 0x48
	v_dual_cndmask_b32 v10, v10, v14 :: v_dual_cndmask_b32 v9, v9, v13
	s_cmp_eq_u32 s3, 1
	global_load_b32 v10, v[9:10], off
	s_wait_loadcnt 0x1
	v_subrev_nc_u32_e32 v9, s12, v11
	s_delay_alu instid0(VALU_DEP_1) | instskip(SKIP_2) | instid1(VALU_DEP_2)
	v_add_nc_u32_e32 v9, v9, v0
	s_wait_loadcnt 0x0
	v_subrev_nc_u32_e32 v30, s12, v10
	v_mad_co_i64_i32 v[11:12], null, 0x48, v9, s[10:11]
	s_delay_alu instid0(VALU_DEP_2)
	v_cmp_lt_i32_e64 s2, v9, v30
	s_cbranch_scc1 .LBB165_17
; %bb.12:
	v_dual_mov_b32 v13, 0 :: v_dual_mov_b32 v18, 0
	v_mov_b32_e32 v22, 0
	v_dual_mov_b32 v14, 0 :: v_dual_mov_b32 v15, 0
	v_dual_mov_b32 v19, 0 :: v_dual_mov_b32 v20, 0
	;; [unrolled: 1-line block ×4, first 2 shown]
	v_mov_b32_e32 v25, 0
	s_and_saveexec_b32 s6, s2
	s_cbranch_execz .LBB165_16
; %bb.13:
	v_dual_mov_b32 v13, 0 :: v_dual_mov_b32 v26, v9
	v_dual_mov_b32 v14, 0 :: v_dual_mov_b32 v15, 0
	v_mov_b32_e32 v18, 0
	v_mov_b32_e32 v20, 0
	;; [unrolled: 1-line block ×3, first 2 shown]
	v_dual_mov_b32 v24, 0 :: v_dual_mov_b32 v29, v12
	v_dual_mov_b32 v16, 0 :: v_dual_mov_b32 v19, 0
	v_mov_b32_e32 v21, 0
	v_mov_b32_e32 v23, 0
	v_dual_mov_b32 v25, 0 :: v_dual_mov_b32 v28, v11
	s_mov_b32 s7, 0
.LBB165_14:                             ; =>This Inner Loop Header: Depth=1
	v_ashrrev_i32_e32 v27, 31, v26
	s_delay_alu instid0(VALU_DEP_1) | instskip(SKIP_1) | instid1(VALU_DEP_2)
	v_lshlrev_b64_e32 v[31:32], 2, v[26:27]
	v_add_nc_u32_e32 v26, 4, v26
	v_add_co_u32 v31, vcc_lo, s8, v31
	s_wait_alu 0xfffd
	s_delay_alu instid0(VALU_DEP_3)
	v_add_co_ci_u32_e64 v32, null, s9, v32, vcc_lo
	global_load_b32 v10, v[31:32], off
	s_clause 0x2
	global_load_b128 v[31:34], v[28:29], off
	global_load_b128 v[35:38], v[28:29], off offset:16
	global_load_b128 v[39:42], v[28:29], off offset:48
	s_wait_loadcnt 0x3
	v_subrev_nc_u32_e32 v10, s12, v10
	s_wait_loadcnt 0x2
	v_cvt_f64_f32_e32 v[61:62], v31
	v_cvt_f64_f32_e32 v[31:32], v32
	s_wait_loadcnt 0x1
	v_cvt_f64_f32_e32 v[63:64], v37
	v_cvt_f64_f32_e32 v[37:38], v38
	v_lshl_add_u32 v43, v10, 1, v10
	s_wait_loadcnt 0x0
	v_cvt_f64_f32_e32 v[65:66], v39
	v_cvt_f64_f32_e32 v[39:40], v40
	;; [unrolled: 1-line block ×4, first 2 shown]
	v_ashrrev_i32_e32 v44, 31, v43
	s_delay_alu instid0(VALU_DEP_1) | instskip(SKIP_1) | instid1(VALU_DEP_1)
	v_lshlrev_b64_e32 v[43:44], 4, v[43:44]
	s_wait_kmcnt 0x0
	v_add_co_u32 v55, vcc_lo, s4, v43
	s_wait_alu 0xfffd
	s_delay_alu instid0(VALU_DEP_2)
	v_add_co_ci_u32_e64 v56, null, s5, v44, vcc_lo
	v_cmp_ge_i32_e32 vcc_lo, v26, v30
	s_clause 0x1
	global_load_b128 v[43:46], v[55:56], off
	global_load_b128 v[47:50], v[55:56], off offset:16
	s_clause 0x1
	global_load_b128 v[51:54], v[28:29], off offset:32
	global_load_b64 v[59:60], v[28:29], off offset:64
	global_load_b128 v[55:58], v[55:56], off offset:32
	v_add_co_u32 v28, s3, 0x120, v28
	s_wait_alu 0xf1ff
	v_add_co_ci_u32_e64 v29, null, 0, v29, s3
	s_wait_alu 0xfffe
	s_or_b32 s7, vcc_lo, s7
	s_wait_loadcnt 0x4
	v_fma_f64 v[15:16], v[61:62], v[43:44], v[15:16]
	v_fma_f64 v[13:14], v[31:32], v[43:44], v[13:14]
	;; [unrolled: 1-line block ×6, first 2 shown]
	v_cvt_f64_f32_e32 v[43:44], v33
	v_cvt_f64_f32_e32 v[33:34], v34
	s_wait_loadcnt 0x2
	v_cvt_f64_f32_e32 v[67:68], v51
	v_cvt_f64_f32_e32 v[51:52], v52
	v_fma_f64 v[15:16], -v[31:32], v[45:46], v[15:16]
	v_fma_f64 v[13:14], v[61:62], v[45:46], v[13:14]
	v_fma_f64 v[20:21], -v[37:38], v[45:46], v[20:21]
	v_fma_f64 v[18:19], v[63:64], v[45:46], v[18:19]
	;; [unrolled: 2-line block ×3, first 2 shown]
	v_cvt_f64_f32_e32 v[31:32], v35
	v_cvt_f64_f32_e32 v[35:36], v36
	;; [unrolled: 1-line block ×4, first 2 shown]
	s_wait_loadcnt 0x1
	v_cvt_f64_f32_e32 v[45:46], v59
	v_fma_f64 v[15:16], v[43:44], v[47:48], v[15:16]
	v_fma_f64 v[13:14], v[33:34], v[47:48], v[13:14]
	;; [unrolled: 1-line block ×6, first 2 shown]
	v_cvt_f64_f32_e32 v[47:48], v60
	v_fma_f64 v[15:16], -v[33:34], v[49:50], v[15:16]
	v_fma_f64 v[13:14], v[43:44], v[49:50], v[13:14]
	v_fma_f64 v[20:21], -v[51:52], v[49:50], v[20:21]
	v_fma_f64 v[18:19], v[67:68], v[49:50], v[18:19]
	v_fma_f64 v[24:25], -v[41:42], v[49:50], v[24:25]
	v_fma_f64 v[22:23], v[69:70], v[49:50], v[22:23]
	s_wait_loadcnt 0x0
	v_fma_f64 v[15:16], v[31:32], v[55:56], v[15:16]
	v_fma_f64 v[13:14], v[35:36], v[55:56], v[13:14]
	;; [unrolled: 1-line block ×6, first 2 shown]
	v_fma_f64 v[15:16], -v[35:36], v[57:58], v[15:16]
	v_fma_f64 v[13:14], v[31:32], v[57:58], v[13:14]
	v_fma_f64 v[20:21], -v[39:40], v[57:58], v[20:21]
	v_fma_f64 v[18:19], v[37:38], v[57:58], v[18:19]
	;; [unrolled: 2-line block ×3, first 2 shown]
	s_wait_alu 0xfffe
	s_and_not1_b32 exec_lo, exec_lo, s7
	s_cbranch_execnz .LBB165_14
; %bb.15:
	s_or_b32 exec_lo, exec_lo, s7
.LBB165_16:
	s_wait_alu 0xfffe
	s_or_b32 exec_lo, exec_lo, s6
	s_cbranch_execz .LBB165_18
	s_branch .LBB165_23
.LBB165_17:
                                        ; implicit-def: $vgpr13_vgpr14
                                        ; implicit-def: $vgpr15_vgpr16
                                        ; implicit-def: $vgpr18_vgpr19
                                        ; implicit-def: $vgpr20_vgpr21
                                        ; implicit-def: $vgpr22_vgpr23
                                        ; implicit-def: $vgpr24_vgpr25
.LBB165_18:
	v_dual_mov_b32 v13, 0 :: v_dual_mov_b32 v18, 0
	v_mov_b32_e32 v22, 0
	v_dual_mov_b32 v14, 0 :: v_dual_mov_b32 v15, 0
	v_dual_mov_b32 v19, 0 :: v_dual_mov_b32 v20, 0
	v_dual_mov_b32 v23, 0 :: v_dual_mov_b32 v24, 0
	v_dual_mov_b32 v16, 0 :: v_dual_mov_b32 v21, 0
	v_mov_b32_e32 v25, 0
	s_and_saveexec_b32 s3, s2
	s_cbranch_execz .LBB165_22
; %bb.19:
	v_dual_mov_b32 v13, 0 :: v_dual_mov_b32 v18, 0
	v_mov_b32_e32 v22, 0
	v_dual_mov_b32 v14, 0 :: v_dual_mov_b32 v15, 0
	v_dual_mov_b32 v19, 0 :: v_dual_mov_b32 v20, 0
	;; [unrolled: 1-line block ×4, first 2 shown]
	v_mov_b32_e32 v25, 0
	s_mov_b32 s6, 0
.LBB165_20:                             ; =>This Inner Loop Header: Depth=1
	v_ashrrev_i32_e32 v10, 31, v9
	s_delay_alu instid0(VALU_DEP_1) | instskip(SKIP_1) | instid1(VALU_DEP_2)
	v_lshlrev_b64_e32 v[26:27], 2, v[9:10]
	v_add_nc_u32_e32 v9, 4, v9
	v_add_co_u32 v26, vcc_lo, s8, v26
	s_wait_alu 0xfffd
	s_delay_alu instid0(VALU_DEP_3)
	v_add_co_ci_u32_e64 v27, null, s9, v27, vcc_lo
	global_load_b32 v10, v[26:27], off
	s_clause 0x1
	global_load_b128 v[26:29], v[11:12], off
	global_load_b128 v[31:34], v[11:12], off offset:16
	s_wait_loadcnt 0x2
	v_subrev_nc_u32_e32 v10, s12, v10
	s_wait_loadcnt 0x1
	v_cvt_f64_f32_e32 v[57:58], v26
	v_cvt_f64_f32_e32 v[26:27], v27
	v_cvt_f64_f32_e32 v[59:60], v28
	v_cvt_f64_f32_e32 v[28:29], v29
	v_lshl_add_u32 v35, v10, 1, v10
	s_wait_loadcnt 0x0
	v_cvt_f64_f32_e32 v[61:62], v31
	v_cvt_f64_f32_e32 v[31:32], v32
	s_delay_alu instid0(VALU_DEP_3) | instskip(NEXT) | instid1(VALU_DEP_1)
	v_ashrrev_i32_e32 v36, 31, v35
	v_lshlrev_b64_e32 v[35:36], 4, v[35:36]
	s_wait_kmcnt 0x0
	s_delay_alu instid0(VALU_DEP_1) | instskip(SKIP_1) | instid1(VALU_DEP_2)
	v_add_co_u32 v51, vcc_lo, s4, v35
	s_wait_alu 0xfffd
	v_add_co_ci_u32_e64 v52, null, s5, v36, vcc_lo
	v_cmp_ge_i32_e32 vcc_lo, v9, v30
	s_clause 0x1
	global_load_b128 v[35:38], v[51:52], off
	global_load_b128 v[39:42], v[51:52], off offset:16
	s_clause 0x2
	global_load_b128 v[43:46], v[11:12], off offset:32
	global_load_b128 v[47:50], v[11:12], off offset:48
	global_load_b64 v[55:56], v[11:12], off offset:64
	global_load_b128 v[51:54], v[51:52], off offset:32
	v_add_co_u32 v11, s2, 0x120, v11
	s_wait_alu 0xf1ff
	v_add_co_ci_u32_e64 v12, null, 0, v12, s2
	s_wait_alu 0xfffe
	s_or_b32 s6, vcc_lo, s6
	s_wait_loadcnt 0x5
	v_fma_f64 v[15:16], v[57:58], v[35:36], v[15:16]
	v_fma_f64 v[13:14], v[26:27], v[35:36], v[13:14]
	;; [unrolled: 1-line block ×6, first 2 shown]
	v_cvt_f64_f32_e32 v[35:36], v33
	v_cvt_f64_f32_e32 v[33:34], v34
	s_wait_loadcnt 0x3
	v_cvt_f64_f32_e32 v[63:64], v43
	v_cvt_f64_f32_e32 v[43:44], v44
	;; [unrolled: 1-line block ×4, first 2 shown]
	v_fma_f64 v[15:16], -v[26:27], v[37:38], v[15:16]
	v_fma_f64 v[13:14], v[57:58], v[37:38], v[13:14]
	v_fma_f64 v[20:21], -v[28:29], v[37:38], v[20:21]
	v_fma_f64 v[18:19], v[59:60], v[37:38], v[18:19]
	;; [unrolled: 2-line block ×3, first 2 shown]
	s_wait_loadcnt 0x2
	v_cvt_f64_f32_e32 v[26:27], v47
	v_cvt_f64_f32_e32 v[28:29], v48
	;; [unrolled: 1-line block ×4, first 2 shown]
	s_wait_loadcnt 0x1
	v_cvt_f64_f32_e32 v[47:48], v56
	v_fma_f64 v[15:16], v[35:36], v[39:40], v[15:16]
	v_fma_f64 v[13:14], v[33:34], v[39:40], v[13:14]
	;; [unrolled: 1-line block ×6, first 2 shown]
	v_cvt_f64_f32_e32 v[39:40], v55
	v_fma_f64 v[15:16], -v[33:34], v[41:42], v[15:16]
	v_fma_f64 v[13:14], v[35:36], v[41:42], v[13:14]
	v_fma_f64 v[20:21], -v[43:44], v[41:42], v[20:21]
	v_fma_f64 v[18:19], v[63:64], v[41:42], v[18:19]
	;; [unrolled: 2-line block ×3, first 2 shown]
	s_wait_loadcnt 0x0
	v_fma_f64 v[15:16], v[26:27], v[51:52], v[15:16]
	v_fma_f64 v[13:14], v[28:29], v[51:52], v[13:14]
	;; [unrolled: 1-line block ×6, first 2 shown]
	v_fma_f64 v[15:16], -v[28:29], v[53:54], v[15:16]
	v_fma_f64 v[13:14], v[26:27], v[53:54], v[13:14]
	v_fma_f64 v[20:21], -v[37:38], v[53:54], v[20:21]
	v_fma_f64 v[18:19], v[31:32], v[53:54], v[18:19]
	;; [unrolled: 2-line block ×3, first 2 shown]
	s_wait_alu 0xfffe
	s_and_not1_b32 exec_lo, exec_lo, s6
	s_cbranch_execnz .LBB165_20
; %bb.21:
	s_or_b32 exec_lo, exec_lo, s6
.LBB165_22:
	s_wait_alu 0xfffe
	s_or_b32 exec_lo, exec_lo, s3
.LBB165_23:
	v_mbcnt_lo_u32_b32 v36, -1, 0
	s_delay_alu instid0(VALU_DEP_1) | instskip(NEXT) | instid1(VALU_DEP_1)
	v_xor_b32_e32 v9, 2, v36
	v_cmp_gt_i32_e32 vcc_lo, 32, v9
	s_wait_alu 0xfffd
	v_cndmask_b32_e32 v9, v36, v9, vcc_lo
	s_delay_alu instid0(VALU_DEP_1)
	v_lshlrev_b32_e32 v26, 2, v9
	ds_bpermute_b32 v9, v26, v15
	ds_bpermute_b32 v10, v26, v16
	;; [unrolled: 1-line block ×12, first 2 shown]
	s_wait_dscnt 0xa
	v_add_f64_e32 v[9:10], v[15:16], v[9:10]
	s_wait_dscnt 0x8
	v_add_f64_e32 v[26:27], v[13:14], v[11:12]
	;; [unrolled: 2-line block ×3, first 2 shown]
	v_xor_b32_e32 v20, 1, v36
	s_wait_dscnt 0x4
	v_add_f64_e32 v[18:19], v[18:19], v[30:31]
	s_wait_dscnt 0x2
	v_add_f64_e32 v[13:14], v[24:25], v[32:33]
	;; [unrolled: 2-line block ×3, first 2 shown]
	v_cmp_gt_i32_e32 vcc_lo, 32, v20
	s_wait_alu 0xfffd
	v_cndmask_b32_e32 v20, v36, v20, vcc_lo
	v_cmp_eq_u32_e32 vcc_lo, 3, v0
	s_delay_alu instid0(VALU_DEP_2)
	v_lshlrev_b32_e32 v29, 2, v20
	ds_bpermute_b32 v20, v29, v9
	ds_bpermute_b32 v21, v29, v10
	ds_bpermute_b32 v32, v29, v26
	ds_bpermute_b32 v33, v29, v27
	ds_bpermute_b32 v22, v29, v11
	ds_bpermute_b32 v23, v29, v12
	ds_bpermute_b32 v30, v29, v18
	ds_bpermute_b32 v31, v29, v19
	ds_bpermute_b32 v24, v29, v13
	ds_bpermute_b32 v25, v29, v14
	ds_bpermute_b32 v28, v29, v15
	ds_bpermute_b32 v29, v29, v16
	s_and_b32 exec_lo, exec_lo, vcc_lo
	s_cbranch_execz .LBB165_8
; %bb.24:
	s_wait_dscnt 0x8
	v_add_f64_e32 v[26:27], v[26:27], v[32:33]
	s_wait_dscnt 0x4
	v_add_f64_e32 v[18:19], v[18:19], v[30:31]
	;; [unrolled: 2-line block ×3, first 2 shown]
	v_add_f64_e32 v[9:10], v[9:10], v[20:21]
	v_add_f64_e32 v[11:12], v[11:12], v[22:23]
	;; [unrolled: 1-line block ×3, first 2 shown]
	v_cmp_eq_f64_e32 vcc_lo, 0, v[1:2]
	v_cmp_eq_f64_e64 s2, 0, v[3:4]
	s_load_b64 s[0:1], s[0:1], 0x60
	v_lshl_add_u32 v17, v17, 1, v17
	v_mul_f64_e64 v[13:14], v[26:27], -v[7:8]
	v_mul_f64_e32 v[22:23], v[5:6], v[26:27]
	v_mul_f64_e64 v[24:25], v[18:19], -v[7:8]
	v_mul_f64_e32 v[18:19], v[5:6], v[18:19]
	;; [unrolled: 2-line block ×3, first 2 shown]
	s_and_b32 s2, vcc_lo, s2
	v_fma_f64 v[13:14], v[5:6], v[9:10], v[13:14]
	v_fma_f64 v[15:16], v[7:8], v[9:10], v[22:23]
	;; [unrolled: 1-line block ×6, first 2 shown]
	v_ashrrev_i32_e32 v18, 31, v17
	s_wait_alu 0xfffe
	s_and_saveexec_b32 s3, s2
	s_wait_alu 0xfffe
	s_xor_b32 s2, exec_lo, s3
	s_cbranch_execz .LBB165_26
; %bb.25:
	v_lshlrev_b64_e32 v[0:1], 4, v[17:18]
                                        ; implicit-def: $vgpr17
	s_wait_kmcnt 0x0
	s_delay_alu instid0(VALU_DEP_1) | instskip(SKIP_1) | instid1(VALU_DEP_2)
	v_add_co_u32 v0, vcc_lo, s0, v0
	s_wait_alu 0xfffd
	v_add_co_ci_u32_e64 v1, null, s1, v1, vcc_lo
	s_clause 0x2
	global_store_b128 v[0:1], v[13:16], off
	global_store_b128 v[0:1], v[9:12], off offset:16
	global_store_b128 v[0:1], v[5:8], off offset:32
                                        ; implicit-def: $vgpr3_vgpr4
                                        ; implicit-def: $vgpr13_vgpr14
                                        ; implicit-def: $vgpr9_vgpr10
                                        ; implicit-def: $vgpr5_vgpr6
.LBB165_26:
	s_wait_alu 0xfffe
	s_and_not1_saveexec_b32 s2, s2
	s_cbranch_execz .LBB165_8
; %bb.27:
	v_lshlrev_b64_e32 v[17:18], 4, v[17:18]
	s_wait_kmcnt 0x0
	s_delay_alu instid0(VALU_DEP_1) | instskip(SKIP_1) | instid1(VALU_DEP_2)
	v_add_co_u32 v29, vcc_lo, s0, v17
	s_wait_alu 0xfffd
	v_add_co_ci_u32_e64 v30, null, s1, v18, vcc_lo
	s_clause 0x2
	global_load_b128 v[17:20], v[29:30], off
	global_load_b128 v[21:24], v[29:30], off offset:16
	global_load_b128 v[25:28], v[29:30], off offset:32
	s_wait_loadcnt 0x2
	v_fma_f64 v[13:14], v[1:2], v[17:18], v[13:14]
	v_fma_f64 v[15:16], v[3:4], v[17:18], v[15:16]
	s_wait_loadcnt 0x1
	v_fma_f64 v[9:10], v[1:2], v[21:22], v[9:10]
	v_fma_f64 v[11:12], v[3:4], v[21:22], v[11:12]
	;; [unrolled: 3-line block ×3, first 2 shown]
	v_fma_f64 v[5:6], -v[3:4], v[19:20], v[13:14]
	v_fma_f64 v[7:8], v[1:2], v[19:20], v[15:16]
	v_fma_f64 v[9:10], -v[3:4], v[23:24], v[9:10]
	v_fma_f64 v[11:12], v[1:2], v[23:24], v[11:12]
	;; [unrolled: 2-line block ×3, first 2 shown]
	s_clause 0x2
	global_store_b128 v[29:30], v[5:8], off
	global_store_b128 v[29:30], v[9:12], off offset:16
	global_store_b128 v[29:30], v[13:16], off offset:32
	s_endpgm
	.section	.rodata,"a",@progbits
	.p2align	6, 0x0
	.amdhsa_kernel _ZN9rocsparseL18bsrxmvn_3x3_kernelILj256ELj4E21rocsparse_complex_numIdEiiS1_IfES2_S2_EEvT3_20rocsparse_direction_NS_24const_host_device_scalarIT1_EES4_PKS4_PKT2_SD_SA_PKT4_PKT5_S8_PT6_21rocsparse_index_base_b
		.amdhsa_group_segment_fixed_size 0
		.amdhsa_private_segment_fixed_size 0
		.amdhsa_kernarg_size 112
		.amdhsa_user_sgpr_count 2
		.amdhsa_user_sgpr_dispatch_ptr 0
		.amdhsa_user_sgpr_queue_ptr 0
		.amdhsa_user_sgpr_kernarg_segment_ptr 1
		.amdhsa_user_sgpr_dispatch_id 0
		.amdhsa_user_sgpr_private_segment_size 0
		.amdhsa_wavefront_size32 1
		.amdhsa_uses_dynamic_stack 0
		.amdhsa_enable_private_segment 0
		.amdhsa_system_sgpr_workgroup_id_x 1
		.amdhsa_system_sgpr_workgroup_id_y 0
		.amdhsa_system_sgpr_workgroup_id_z 0
		.amdhsa_system_sgpr_workgroup_info 0
		.amdhsa_system_vgpr_workitem_id 0
		.amdhsa_next_free_vgpr 71
		.amdhsa_next_free_sgpr 14
		.amdhsa_reserve_vcc 1
		.amdhsa_float_round_mode_32 0
		.amdhsa_float_round_mode_16_64 0
		.amdhsa_float_denorm_mode_32 3
		.amdhsa_float_denorm_mode_16_64 3
		.amdhsa_fp16_overflow 0
		.amdhsa_workgroup_processor_mode 1
		.amdhsa_memory_ordered 1
		.amdhsa_forward_progress 1
		.amdhsa_inst_pref_size 24
		.amdhsa_round_robin_scheduling 0
		.amdhsa_exception_fp_ieee_invalid_op 0
		.amdhsa_exception_fp_denorm_src 0
		.amdhsa_exception_fp_ieee_div_zero 0
		.amdhsa_exception_fp_ieee_overflow 0
		.amdhsa_exception_fp_ieee_underflow 0
		.amdhsa_exception_fp_ieee_inexact 0
		.amdhsa_exception_int_div_zero 0
	.end_amdhsa_kernel
	.section	.text._ZN9rocsparseL18bsrxmvn_3x3_kernelILj256ELj4E21rocsparse_complex_numIdEiiS1_IfES2_S2_EEvT3_20rocsparse_direction_NS_24const_host_device_scalarIT1_EES4_PKS4_PKT2_SD_SA_PKT4_PKT5_S8_PT6_21rocsparse_index_base_b,"axG",@progbits,_ZN9rocsparseL18bsrxmvn_3x3_kernelILj256ELj4E21rocsparse_complex_numIdEiiS1_IfES2_S2_EEvT3_20rocsparse_direction_NS_24const_host_device_scalarIT1_EES4_PKS4_PKT2_SD_SA_PKT4_PKT5_S8_PT6_21rocsparse_index_base_b,comdat
.Lfunc_end165:
	.size	_ZN9rocsparseL18bsrxmvn_3x3_kernelILj256ELj4E21rocsparse_complex_numIdEiiS1_IfES2_S2_EEvT3_20rocsparse_direction_NS_24const_host_device_scalarIT1_EES4_PKS4_PKT2_SD_SA_PKT4_PKT5_S8_PT6_21rocsparse_index_base_b, .Lfunc_end165-_ZN9rocsparseL18bsrxmvn_3x3_kernelILj256ELj4E21rocsparse_complex_numIdEiiS1_IfES2_S2_EEvT3_20rocsparse_direction_NS_24const_host_device_scalarIT1_EES4_PKS4_PKT2_SD_SA_PKT4_PKT5_S8_PT6_21rocsparse_index_base_b
                                        ; -- End function
	.set _ZN9rocsparseL18bsrxmvn_3x3_kernelILj256ELj4E21rocsparse_complex_numIdEiiS1_IfES2_S2_EEvT3_20rocsparse_direction_NS_24const_host_device_scalarIT1_EES4_PKS4_PKT2_SD_SA_PKT4_PKT5_S8_PT6_21rocsparse_index_base_b.num_vgpr, 71
	.set _ZN9rocsparseL18bsrxmvn_3x3_kernelILj256ELj4E21rocsparse_complex_numIdEiiS1_IfES2_S2_EEvT3_20rocsparse_direction_NS_24const_host_device_scalarIT1_EES4_PKS4_PKT2_SD_SA_PKT4_PKT5_S8_PT6_21rocsparse_index_base_b.num_agpr, 0
	.set _ZN9rocsparseL18bsrxmvn_3x3_kernelILj256ELj4E21rocsparse_complex_numIdEiiS1_IfES2_S2_EEvT3_20rocsparse_direction_NS_24const_host_device_scalarIT1_EES4_PKS4_PKT2_SD_SA_PKT4_PKT5_S8_PT6_21rocsparse_index_base_b.numbered_sgpr, 14
	.set _ZN9rocsparseL18bsrxmvn_3x3_kernelILj256ELj4E21rocsparse_complex_numIdEiiS1_IfES2_S2_EEvT3_20rocsparse_direction_NS_24const_host_device_scalarIT1_EES4_PKS4_PKT2_SD_SA_PKT4_PKT5_S8_PT6_21rocsparse_index_base_b.num_named_barrier, 0
	.set _ZN9rocsparseL18bsrxmvn_3x3_kernelILj256ELj4E21rocsparse_complex_numIdEiiS1_IfES2_S2_EEvT3_20rocsparse_direction_NS_24const_host_device_scalarIT1_EES4_PKS4_PKT2_SD_SA_PKT4_PKT5_S8_PT6_21rocsparse_index_base_b.private_seg_size, 0
	.set _ZN9rocsparseL18bsrxmvn_3x3_kernelILj256ELj4E21rocsparse_complex_numIdEiiS1_IfES2_S2_EEvT3_20rocsparse_direction_NS_24const_host_device_scalarIT1_EES4_PKS4_PKT2_SD_SA_PKT4_PKT5_S8_PT6_21rocsparse_index_base_b.uses_vcc, 1
	.set _ZN9rocsparseL18bsrxmvn_3x3_kernelILj256ELj4E21rocsparse_complex_numIdEiiS1_IfES2_S2_EEvT3_20rocsparse_direction_NS_24const_host_device_scalarIT1_EES4_PKS4_PKT2_SD_SA_PKT4_PKT5_S8_PT6_21rocsparse_index_base_b.uses_flat_scratch, 0
	.set _ZN9rocsparseL18bsrxmvn_3x3_kernelILj256ELj4E21rocsparse_complex_numIdEiiS1_IfES2_S2_EEvT3_20rocsparse_direction_NS_24const_host_device_scalarIT1_EES4_PKS4_PKT2_SD_SA_PKT4_PKT5_S8_PT6_21rocsparse_index_base_b.has_dyn_sized_stack, 0
	.set _ZN9rocsparseL18bsrxmvn_3x3_kernelILj256ELj4E21rocsparse_complex_numIdEiiS1_IfES2_S2_EEvT3_20rocsparse_direction_NS_24const_host_device_scalarIT1_EES4_PKS4_PKT2_SD_SA_PKT4_PKT5_S8_PT6_21rocsparse_index_base_b.has_recursion, 0
	.set _ZN9rocsparseL18bsrxmvn_3x3_kernelILj256ELj4E21rocsparse_complex_numIdEiiS1_IfES2_S2_EEvT3_20rocsparse_direction_NS_24const_host_device_scalarIT1_EES4_PKS4_PKT2_SD_SA_PKT4_PKT5_S8_PT6_21rocsparse_index_base_b.has_indirect_call, 0
	.section	.AMDGPU.csdata,"",@progbits
; Kernel info:
; codeLenInByte = 2972
; TotalNumSgprs: 16
; NumVgprs: 71
; ScratchSize: 0
; MemoryBound: 0
; FloatMode: 240
; IeeeMode: 1
; LDSByteSize: 0 bytes/workgroup (compile time only)
; SGPRBlocks: 0
; VGPRBlocks: 8
; NumSGPRsForWavesPerEU: 16
; NumVGPRsForWavesPerEU: 71
; Occupancy: 16
; WaveLimiterHint : 1
; COMPUTE_PGM_RSRC2:SCRATCH_EN: 0
; COMPUTE_PGM_RSRC2:USER_SGPR: 2
; COMPUTE_PGM_RSRC2:TRAP_HANDLER: 0
; COMPUTE_PGM_RSRC2:TGID_X_EN: 1
; COMPUTE_PGM_RSRC2:TGID_Y_EN: 0
; COMPUTE_PGM_RSRC2:TGID_Z_EN: 0
; COMPUTE_PGM_RSRC2:TIDIG_COMP_CNT: 0
	.section	.text._ZN9rocsparseL18bsrxmvn_3x3_kernelILj256ELj8E21rocsparse_complex_numIdEiiS1_IfES2_S2_EEvT3_20rocsparse_direction_NS_24const_host_device_scalarIT1_EES4_PKS4_PKT2_SD_SA_PKT4_PKT5_S8_PT6_21rocsparse_index_base_b,"axG",@progbits,_ZN9rocsparseL18bsrxmvn_3x3_kernelILj256ELj8E21rocsparse_complex_numIdEiiS1_IfES2_S2_EEvT3_20rocsparse_direction_NS_24const_host_device_scalarIT1_EES4_PKS4_PKT2_SD_SA_PKT4_PKT5_S8_PT6_21rocsparse_index_base_b,comdat
	.globl	_ZN9rocsparseL18bsrxmvn_3x3_kernelILj256ELj8E21rocsparse_complex_numIdEiiS1_IfES2_S2_EEvT3_20rocsparse_direction_NS_24const_host_device_scalarIT1_EES4_PKS4_PKT2_SD_SA_PKT4_PKT5_S8_PT6_21rocsparse_index_base_b ; -- Begin function _ZN9rocsparseL18bsrxmvn_3x3_kernelILj256ELj8E21rocsparse_complex_numIdEiiS1_IfES2_S2_EEvT3_20rocsparse_direction_NS_24const_host_device_scalarIT1_EES4_PKS4_PKT2_SD_SA_PKT4_PKT5_S8_PT6_21rocsparse_index_base_b
	.p2align	8
	.type	_ZN9rocsparseL18bsrxmvn_3x3_kernelILj256ELj8E21rocsparse_complex_numIdEiiS1_IfES2_S2_EEvT3_20rocsparse_direction_NS_24const_host_device_scalarIT1_EES4_PKS4_PKT2_SD_SA_PKT4_PKT5_S8_PT6_21rocsparse_index_base_b,@function
_ZN9rocsparseL18bsrxmvn_3x3_kernelILj256ELj8E21rocsparse_complex_numIdEiiS1_IfES2_S2_EEvT3_20rocsparse_direction_NS_24const_host_device_scalarIT1_EES4_PKS4_PKT2_SD_SA_PKT4_PKT5_S8_PT6_21rocsparse_index_base_b: ; @_ZN9rocsparseL18bsrxmvn_3x3_kernelILj256ELj8E21rocsparse_complex_numIdEiiS1_IfES2_S2_EEvT3_20rocsparse_direction_NS_24const_host_device_scalarIT1_EES4_PKS4_PKT2_SD_SA_PKT4_PKT5_S8_PT6_21rocsparse_index_base_b
; %bb.0:
	s_clause 0x1
	s_load_b64 s[12:13], s[0:1], 0x68
	s_load_b64 s[2:3], s[0:1], 0x8
	s_add_nc_u64 s[4:5], s[0:1], 8
	s_load_b64 s[6:7], s[0:1], 0x50
	s_wait_kmcnt 0x0
	s_bitcmp1_b32 s13, 0
	s_cselect_b32 s2, s4, s2
	s_cselect_b32 s3, s5, s3
	s_delay_alu instid0(SALU_CYCLE_1)
	v_dual_mov_b32 v1, s2 :: v_dual_mov_b32 v2, s3
	s_add_nc_u64 s[2:3], s[0:1], 0x50
	s_wait_alu 0xfffe
	s_cselect_b32 s2, s2, s6
	s_cselect_b32 s3, s3, s7
	flat_load_b128 v[5:8], v[1:2]
	s_wait_alu 0xfffe
	v_dual_mov_b32 v1, s2 :: v_dual_mov_b32 v2, s3
	flat_load_b128 v[1:4], v[1:2]
	s_wait_loadcnt_dscnt 0x101
	v_cmp_eq_f64_e32 vcc_lo, 0, v[5:6]
	v_cmp_eq_f64_e64 s2, 0, v[7:8]
	s_and_b32 s4, vcc_lo, s2
	s_mov_b32 s2, -1
	s_and_saveexec_b32 s3, s4
	s_cbranch_execz .LBB166_2
; %bb.1:
	s_wait_loadcnt_dscnt 0x0
	v_cmp_neq_f64_e32 vcc_lo, 1.0, v[1:2]
	v_cmp_neq_f64_e64 s2, 0, v[3:4]
	s_wait_alu 0xfffe
	s_or_b32 s2, vcc_lo, s2
	s_wait_alu 0xfffe
	s_or_not1_b32 s2, s2, exec_lo
.LBB166_2:
	s_wait_alu 0xfffe
	s_or_b32 exec_lo, exec_lo, s3
	s_and_saveexec_b32 s3, s2
	s_cbranch_execz .LBB166_8
; %bb.3:
	s_clause 0x1
	s_load_b64 s[4:5], s[0:1], 0x20
	s_load_b64 s[2:3], s[0:1], 0x0
	v_lshrrev_b32_e32 v9, 3, v0
	s_delay_alu instid0(VALU_DEP_1)
	v_lshl_or_b32 v17, ttmp9, 5, v9
	s_wait_kmcnt 0x0
	s_cmp_lg_u64 s[4:5], 0
	s_cbranch_scc0 .LBB166_9
; %bb.4:
	s_load_b32 s6, s[0:1], 0x18
	s_mov_b32 s7, 0
                                        ; implicit-def: $vgpr9
	s_wait_kmcnt 0x0
	v_cmp_gt_i32_e32 vcc_lo, s6, v17
	s_mov_b32 s6, 0
	s_and_saveexec_b32 s8, vcc_lo
	s_delay_alu instid0(SALU_CYCLE_1)
	s_xor_b32 s8, exec_lo, s8
	s_cbranch_execz .LBB166_6
; %bb.5:
	v_ashrrev_i32_e32 v18, 31, v17
	s_mov_b32 s6, exec_lo
	s_delay_alu instid0(VALU_DEP_1) | instskip(NEXT) | instid1(VALU_DEP_1)
	v_lshlrev_b64_e32 v[9:10], 2, v[17:18]
	v_add_co_u32 v9, vcc_lo, s4, v9
	s_delay_alu instid0(VALU_DEP_1)
	v_add_co_ci_u32_e64 v10, null, s5, v10, vcc_lo
	global_load_b32 v9, v[9:10], off
	s_wait_loadcnt 0x0
	v_subrev_nc_u32_e32 v9, s12, v9
.LBB166_6:
	s_or_b32 exec_lo, exec_lo, s8
	s_delay_alu instid0(SALU_CYCLE_1)
	s_and_b32 vcc_lo, exec_lo, s7
	s_wait_alu 0xfffe
	s_cbranch_vccz .LBB166_10
.LBB166_7:
	v_cmp_gt_i32_e32 vcc_lo, s2, v17
	s_and_not1_b32 s2, s6, exec_lo
	s_and_b32 s4, vcc_lo, exec_lo
	s_wait_alu 0xfffe
	s_or_b32 s6, s2, s4
	s_wait_alu 0xfffe
	s_and_b32 exec_lo, exec_lo, s6
	s_cbranch_execnz .LBB166_11
.LBB166_8:
	s_endpgm
.LBB166_9:
	s_mov_b32 s6, 0
                                        ; implicit-def: $vgpr9
	s_cbranch_execnz .LBB166_7
.LBB166_10:
	v_mov_b32_e32 v17, v9
	s_and_b32 exec_lo, exec_lo, s6
	s_cbranch_execz .LBB166_8
.LBB166_11:
	s_load_b256 s[4:11], s[0:1], 0x28
	s_delay_alu instid0(VALU_DEP_1) | instskip(SKIP_1) | instid1(VALU_DEP_2)
	v_ashrrev_i32_e32 v18, 31, v17
	v_and_b32_e32 v0, 7, v0
	v_lshlrev_b64_e32 v[9:10], 2, v[17:18]
	s_wait_kmcnt 0x0
	s_delay_alu instid0(VALU_DEP_1) | instskip(SKIP_1) | instid1(VALU_DEP_2)
	v_add_co_u32 v11, vcc_lo, s4, v9
	s_wait_alu 0xfffd
	v_add_co_ci_u32_e64 v12, null, s5, v10, vcc_lo
	v_add_co_u32 v9, vcc_lo, s6, v9
	s_wait_alu 0xfffd
	v_add_co_ci_u32_e64 v10, null, s7, v10, vcc_lo
	;; [unrolled: 3-line block ×3, first 2 shown]
	s_cmp_eq_u64 s[6:7], 0
	global_load_b32 v11, v[11:12], off
	s_cselect_b32 vcc_lo, -1, 0
	s_load_b64 s[4:5], s[0:1], 0x48
	v_dual_cndmask_b32 v10, v10, v14 :: v_dual_cndmask_b32 v9, v9, v13
	s_cmp_eq_u32 s3, 1
	global_load_b32 v9, v[9:10], off
	s_wait_loadcnt 0x1
	v_subrev_nc_u32_e32 v10, s12, v11
	s_delay_alu instid0(VALU_DEP_1) | instskip(SKIP_2) | instid1(VALU_DEP_2)
	v_add_nc_u32_e32 v11, v10, v0
	s_wait_loadcnt 0x0
	v_subrev_nc_u32_e32 v30, s12, v9
	v_mad_co_i64_i32 v[13:14], null, 0x48, v11, s[10:11]
	s_delay_alu instid0(VALU_DEP_2)
	v_cmp_lt_i32_e64 s2, v11, v30
	s_cbranch_scc1 .LBB166_17
; %bb.12:
	v_dual_mov_b32 v9, 0 :: v_dual_mov_b32 v18, 0
	v_mov_b32_e32 v22, 0
	v_dual_mov_b32 v10, 0 :: v_dual_mov_b32 v15, 0
	v_dual_mov_b32 v19, 0 :: v_dual_mov_b32 v20, 0
	;; [unrolled: 1-line block ×4, first 2 shown]
	v_mov_b32_e32 v25, 0
	s_and_saveexec_b32 s6, s2
	s_cbranch_execz .LBB166_16
; %bb.13:
	v_dual_mov_b32 v9, 0 :: v_dual_mov_b32 v26, v11
	v_dual_mov_b32 v10, 0 :: v_dual_mov_b32 v15, 0
	v_mov_b32_e32 v18, 0
	v_mov_b32_e32 v20, 0
	;; [unrolled: 1-line block ×3, first 2 shown]
	v_dual_mov_b32 v24, 0 :: v_dual_mov_b32 v29, v14
	v_dual_mov_b32 v16, 0 :: v_dual_mov_b32 v19, 0
	v_mov_b32_e32 v21, 0
	v_mov_b32_e32 v23, 0
	v_dual_mov_b32 v25, 0 :: v_dual_mov_b32 v28, v13
	s_mov_b32 s7, 0
.LBB166_14:                             ; =>This Inner Loop Header: Depth=1
	v_ashrrev_i32_e32 v27, 31, v26
	s_delay_alu instid0(VALU_DEP_1) | instskip(SKIP_1) | instid1(VALU_DEP_2)
	v_lshlrev_b64_e32 v[31:32], 2, v[26:27]
	v_add_nc_u32_e32 v26, 8, v26
	v_add_co_u32 v31, vcc_lo, s8, v31
	s_wait_alu 0xfffd
	s_delay_alu instid0(VALU_DEP_3)
	v_add_co_ci_u32_e64 v32, null, s9, v32, vcc_lo
	global_load_b32 v12, v[31:32], off
	s_clause 0x2
	global_load_b128 v[31:34], v[28:29], off
	global_load_b128 v[35:38], v[28:29], off offset:16
	global_load_b128 v[39:42], v[28:29], off offset:48
	s_wait_loadcnt 0x3
	v_subrev_nc_u32_e32 v12, s12, v12
	s_wait_loadcnt 0x2
	v_cvt_f64_f32_e32 v[61:62], v31
	v_cvt_f64_f32_e32 v[31:32], v32
	s_wait_loadcnt 0x1
	v_cvt_f64_f32_e32 v[63:64], v37
	v_cvt_f64_f32_e32 v[37:38], v38
	v_lshl_add_u32 v43, v12, 1, v12
	s_wait_loadcnt 0x0
	v_cvt_f64_f32_e32 v[65:66], v39
	v_cvt_f64_f32_e32 v[39:40], v40
	;; [unrolled: 1-line block ×4, first 2 shown]
	v_ashrrev_i32_e32 v44, 31, v43
	s_delay_alu instid0(VALU_DEP_1) | instskip(SKIP_1) | instid1(VALU_DEP_1)
	v_lshlrev_b64_e32 v[43:44], 4, v[43:44]
	s_wait_kmcnt 0x0
	v_add_co_u32 v55, vcc_lo, s4, v43
	s_wait_alu 0xfffd
	s_delay_alu instid0(VALU_DEP_2)
	v_add_co_ci_u32_e64 v56, null, s5, v44, vcc_lo
	v_cmp_ge_i32_e32 vcc_lo, v26, v30
	s_clause 0x1
	global_load_b128 v[43:46], v[55:56], off
	global_load_b128 v[47:50], v[55:56], off offset:16
	s_clause 0x1
	global_load_b128 v[51:54], v[28:29], off offset:32
	global_load_b64 v[59:60], v[28:29], off offset:64
	global_load_b128 v[55:58], v[55:56], off offset:32
	v_add_co_u32 v28, s3, 0x240, v28
	s_wait_alu 0xf1ff
	v_add_co_ci_u32_e64 v29, null, 0, v29, s3
	s_wait_alu 0xfffe
	s_or_b32 s7, vcc_lo, s7
	s_wait_loadcnt 0x4
	v_fma_f64 v[15:16], v[61:62], v[43:44], v[15:16]
	v_fma_f64 v[9:10], v[31:32], v[43:44], v[9:10]
	;; [unrolled: 1-line block ×6, first 2 shown]
	v_cvt_f64_f32_e32 v[43:44], v33
	v_cvt_f64_f32_e32 v[33:34], v34
	s_wait_loadcnt 0x2
	v_cvt_f64_f32_e32 v[67:68], v51
	v_cvt_f64_f32_e32 v[51:52], v52
	v_fma_f64 v[15:16], -v[31:32], v[45:46], v[15:16]
	v_fma_f64 v[9:10], v[61:62], v[45:46], v[9:10]
	v_fma_f64 v[20:21], -v[37:38], v[45:46], v[20:21]
	v_fma_f64 v[18:19], v[63:64], v[45:46], v[18:19]
	;; [unrolled: 2-line block ×3, first 2 shown]
	v_cvt_f64_f32_e32 v[31:32], v35
	v_cvt_f64_f32_e32 v[35:36], v36
	;; [unrolled: 1-line block ×4, first 2 shown]
	s_wait_loadcnt 0x1
	v_cvt_f64_f32_e32 v[45:46], v59
	v_fma_f64 v[15:16], v[43:44], v[47:48], v[15:16]
	v_fma_f64 v[9:10], v[33:34], v[47:48], v[9:10]
	;; [unrolled: 1-line block ×6, first 2 shown]
	v_cvt_f64_f32_e32 v[47:48], v60
	v_fma_f64 v[15:16], -v[33:34], v[49:50], v[15:16]
	v_fma_f64 v[9:10], v[43:44], v[49:50], v[9:10]
	v_fma_f64 v[20:21], -v[51:52], v[49:50], v[20:21]
	v_fma_f64 v[18:19], v[67:68], v[49:50], v[18:19]
	;; [unrolled: 2-line block ×3, first 2 shown]
	s_wait_loadcnt 0x0
	v_fma_f64 v[15:16], v[31:32], v[55:56], v[15:16]
	v_fma_f64 v[9:10], v[35:36], v[55:56], v[9:10]
	;; [unrolled: 1-line block ×6, first 2 shown]
	v_fma_f64 v[15:16], -v[35:36], v[57:58], v[15:16]
	v_fma_f64 v[9:10], v[31:32], v[57:58], v[9:10]
	v_fma_f64 v[20:21], -v[39:40], v[57:58], v[20:21]
	v_fma_f64 v[18:19], v[37:38], v[57:58], v[18:19]
	;; [unrolled: 2-line block ×3, first 2 shown]
	s_wait_alu 0xfffe
	s_and_not1_b32 exec_lo, exec_lo, s7
	s_cbranch_execnz .LBB166_14
; %bb.15:
	s_or_b32 exec_lo, exec_lo, s7
.LBB166_16:
	s_wait_alu 0xfffe
	s_or_b32 exec_lo, exec_lo, s6
	s_cbranch_execz .LBB166_18
	s_branch .LBB166_23
.LBB166_17:
                                        ; implicit-def: $vgpr9_vgpr10
                                        ; implicit-def: $vgpr15_vgpr16
                                        ; implicit-def: $vgpr18_vgpr19
                                        ; implicit-def: $vgpr20_vgpr21
                                        ; implicit-def: $vgpr22_vgpr23
                                        ; implicit-def: $vgpr24_vgpr25
.LBB166_18:
	v_dual_mov_b32 v9, 0 :: v_dual_mov_b32 v18, 0
	v_mov_b32_e32 v22, 0
	v_dual_mov_b32 v10, 0 :: v_dual_mov_b32 v15, 0
	v_dual_mov_b32 v19, 0 :: v_dual_mov_b32 v20, 0
	;; [unrolled: 1-line block ×4, first 2 shown]
	v_mov_b32_e32 v25, 0
	s_and_saveexec_b32 s3, s2
	s_cbranch_execz .LBB166_22
; %bb.19:
	v_dual_mov_b32 v9, 0 :: v_dual_mov_b32 v18, 0
	v_mov_b32_e32 v22, 0
	v_dual_mov_b32 v10, 0 :: v_dual_mov_b32 v15, 0
	v_dual_mov_b32 v19, 0 :: v_dual_mov_b32 v20, 0
	;; [unrolled: 1-line block ×4, first 2 shown]
	v_mov_b32_e32 v25, 0
	s_mov_b32 s6, 0
.LBB166_20:                             ; =>This Inner Loop Header: Depth=1
	v_ashrrev_i32_e32 v12, 31, v11
	s_delay_alu instid0(VALU_DEP_1) | instskip(SKIP_1) | instid1(VALU_DEP_2)
	v_lshlrev_b64_e32 v[26:27], 2, v[11:12]
	v_add_nc_u32_e32 v11, 8, v11
	v_add_co_u32 v26, vcc_lo, s8, v26
	s_wait_alu 0xfffd
	s_delay_alu instid0(VALU_DEP_3)
	v_add_co_ci_u32_e64 v27, null, s9, v27, vcc_lo
	global_load_b32 v12, v[26:27], off
	s_clause 0x1
	global_load_b128 v[26:29], v[13:14], off
	global_load_b128 v[31:34], v[13:14], off offset:16
	s_wait_loadcnt 0x2
	v_subrev_nc_u32_e32 v12, s12, v12
	s_wait_loadcnt 0x1
	v_cvt_f64_f32_e32 v[57:58], v26
	v_cvt_f64_f32_e32 v[26:27], v27
	;; [unrolled: 1-line block ×4, first 2 shown]
	v_lshl_add_u32 v35, v12, 1, v12
	s_wait_loadcnt 0x0
	v_cvt_f64_f32_e32 v[61:62], v31
	v_cvt_f64_f32_e32 v[31:32], v32
	s_delay_alu instid0(VALU_DEP_3) | instskip(NEXT) | instid1(VALU_DEP_1)
	v_ashrrev_i32_e32 v36, 31, v35
	v_lshlrev_b64_e32 v[35:36], 4, v[35:36]
	s_wait_kmcnt 0x0
	s_delay_alu instid0(VALU_DEP_1) | instskip(SKIP_1) | instid1(VALU_DEP_2)
	v_add_co_u32 v51, vcc_lo, s4, v35
	s_wait_alu 0xfffd
	v_add_co_ci_u32_e64 v52, null, s5, v36, vcc_lo
	v_cmp_ge_i32_e32 vcc_lo, v11, v30
	s_clause 0x1
	global_load_b128 v[35:38], v[51:52], off
	global_load_b128 v[39:42], v[51:52], off offset:16
	s_clause 0x2
	global_load_b128 v[43:46], v[13:14], off offset:32
	global_load_b128 v[47:50], v[13:14], off offset:48
	global_load_b64 v[55:56], v[13:14], off offset:64
	global_load_b128 v[51:54], v[51:52], off offset:32
	v_add_co_u32 v13, s2, 0x240, v13
	s_wait_alu 0xf1ff
	v_add_co_ci_u32_e64 v14, null, 0, v14, s2
	s_wait_alu 0xfffe
	s_or_b32 s6, vcc_lo, s6
	s_wait_loadcnt 0x5
	v_fma_f64 v[15:16], v[57:58], v[35:36], v[15:16]
	v_fma_f64 v[9:10], v[26:27], v[35:36], v[9:10]
	;; [unrolled: 1-line block ×6, first 2 shown]
	v_cvt_f64_f32_e32 v[35:36], v33
	v_cvt_f64_f32_e32 v[33:34], v34
	s_wait_loadcnt 0x3
	v_cvt_f64_f32_e32 v[63:64], v43
	v_cvt_f64_f32_e32 v[43:44], v44
	;; [unrolled: 1-line block ×4, first 2 shown]
	v_fma_f64 v[15:16], -v[26:27], v[37:38], v[15:16]
	v_fma_f64 v[9:10], v[57:58], v[37:38], v[9:10]
	v_fma_f64 v[20:21], -v[28:29], v[37:38], v[20:21]
	v_fma_f64 v[18:19], v[59:60], v[37:38], v[18:19]
	v_fma_f64 v[24:25], -v[31:32], v[37:38], v[24:25]
	v_fma_f64 v[22:23], v[61:62], v[37:38], v[22:23]
	s_wait_loadcnt 0x2
	v_cvt_f64_f32_e32 v[26:27], v47
	v_cvt_f64_f32_e32 v[28:29], v48
	;; [unrolled: 1-line block ×4, first 2 shown]
	s_wait_loadcnt 0x1
	v_cvt_f64_f32_e32 v[47:48], v56
	v_fma_f64 v[15:16], v[35:36], v[39:40], v[15:16]
	v_fma_f64 v[9:10], v[33:34], v[39:40], v[9:10]
	;; [unrolled: 1-line block ×6, first 2 shown]
	v_cvt_f64_f32_e32 v[39:40], v55
	v_fma_f64 v[15:16], -v[33:34], v[41:42], v[15:16]
	v_fma_f64 v[9:10], v[35:36], v[41:42], v[9:10]
	v_fma_f64 v[20:21], -v[43:44], v[41:42], v[20:21]
	v_fma_f64 v[18:19], v[63:64], v[41:42], v[18:19]
	;; [unrolled: 2-line block ×3, first 2 shown]
	s_wait_loadcnt 0x0
	v_fma_f64 v[15:16], v[26:27], v[51:52], v[15:16]
	v_fma_f64 v[9:10], v[28:29], v[51:52], v[9:10]
	;; [unrolled: 1-line block ×6, first 2 shown]
	v_fma_f64 v[15:16], -v[28:29], v[53:54], v[15:16]
	v_fma_f64 v[9:10], v[26:27], v[53:54], v[9:10]
	v_fma_f64 v[20:21], -v[37:38], v[53:54], v[20:21]
	v_fma_f64 v[18:19], v[31:32], v[53:54], v[18:19]
	;; [unrolled: 2-line block ×3, first 2 shown]
	s_wait_alu 0xfffe
	s_and_not1_b32 exec_lo, exec_lo, s6
	s_cbranch_execnz .LBB166_20
; %bb.21:
	s_or_b32 exec_lo, exec_lo, s6
.LBB166_22:
	s_wait_alu 0xfffe
	s_or_b32 exec_lo, exec_lo, s3
.LBB166_23:
	v_mbcnt_lo_u32_b32 v34, -1, 0
	s_delay_alu instid0(VALU_DEP_1) | instskip(NEXT) | instid1(VALU_DEP_1)
	v_xor_b32_e32 v11, 4, v34
	v_cmp_gt_i32_e32 vcc_lo, 32, v11
	s_wait_alu 0xfffd
	v_cndmask_b32_e32 v11, v34, v11, vcc_lo
	s_delay_alu instid0(VALU_DEP_1)
	v_lshlrev_b32_e32 v33, 2, v11
	ds_bpermute_b32 v11, v33, v15
	ds_bpermute_b32 v12, v33, v16
	;; [unrolled: 1-line block ×12, first 2 shown]
	s_wait_dscnt 0xa
	v_add_f64_e32 v[11:12], v[15:16], v[11:12]
	s_wait_dscnt 0x8
	v_add_f64_e32 v[13:14], v[9:10], v[13:14]
	v_xor_b32_e32 v9, 2, v34
	s_wait_dscnt 0x6
	v_add_f64_e32 v[15:16], v[20:21], v[26:27]
	s_wait_dscnt 0x4
	v_add_f64_e32 v[18:19], v[18:19], v[28:29]
	;; [unrolled: 2-line block ×3, first 2 shown]
	v_cmp_gt_i32_e32 vcc_lo, 32, v9
	s_wait_dscnt 0x0
	v_add_f64_e32 v[24:25], v[22:23], v[32:33]
	s_wait_alu 0xfffd
	v_cndmask_b32_e32 v9, v34, v9, vcc_lo
	s_delay_alu instid0(VALU_DEP_1)
	v_lshlrev_b32_e32 v33, 2, v9
	ds_bpermute_b32 v9, v33, v11
	ds_bpermute_b32 v10, v33, v12
	;; [unrolled: 1-line block ×12, first 2 shown]
	s_wait_dscnt 0xa
	v_add_f64_e32 v[9:10], v[11:12], v[9:10]
	s_wait_dscnt 0x8
	v_add_f64_e32 v[22:23], v[13:14], v[22:23]
	;; [unrolled: 2-line block ×5, first 2 shown]
	v_xor_b32_e32 v20, 1, v34
	s_wait_dscnt 0x0
	v_add_f64_e32 v[15:16], v[24:25], v[32:33]
	s_delay_alu instid0(VALU_DEP_2) | instskip(SKIP_3) | instid1(VALU_DEP_2)
	v_cmp_gt_i32_e32 vcc_lo, 32, v20
	s_wait_alu 0xfffd
	v_cndmask_b32_e32 v20, v34, v20, vcc_lo
	v_cmp_eq_u32_e32 vcc_lo, 7, v0
	v_lshlrev_b32_e32 v29, 2, v20
	ds_bpermute_b32 v20, v29, v9
	ds_bpermute_b32 v21, v29, v10
	;; [unrolled: 1-line block ×12, first 2 shown]
	s_and_b32 exec_lo, exec_lo, vcc_lo
	s_cbranch_execz .LBB166_8
; %bb.24:
	s_wait_dscnt 0x8
	v_add_f64_e32 v[22:23], v[22:23], v[32:33]
	s_wait_dscnt 0x4
	v_add_f64_e32 v[18:19], v[18:19], v[30:31]
	s_wait_dscnt 0x0
	v_add_f64_e32 v[15:16], v[15:16], v[28:29]
	v_add_f64_e32 v[9:10], v[9:10], v[20:21]
	v_add_f64_e32 v[11:12], v[11:12], v[24:25]
	v_add_f64_e32 v[20:21], v[13:14], v[26:27]
	v_cmp_eq_f64_e32 vcc_lo, 0, v[1:2]
	v_cmp_eq_f64_e64 s2, 0, v[3:4]
	s_load_b64 s[0:1], s[0:1], 0x60
	v_lshl_add_u32 v17, v17, 1, v17
	v_mul_f64_e64 v[13:14], v[22:23], -v[7:8]
	v_mul_f64_e32 v[22:23], v[5:6], v[22:23]
	v_mul_f64_e64 v[24:25], v[18:19], -v[7:8]
	v_mul_f64_e32 v[18:19], v[5:6], v[18:19]
	v_mul_f64_e64 v[26:27], v[15:16], -v[7:8]
	v_mul_f64_e32 v[28:29], v[5:6], v[15:16]
	s_and_b32 s2, vcc_lo, s2
	v_fma_f64 v[13:14], v[5:6], v[9:10], v[13:14]
	v_fma_f64 v[15:16], v[7:8], v[9:10], v[22:23]
	;; [unrolled: 1-line block ×6, first 2 shown]
	v_ashrrev_i32_e32 v18, 31, v17
	s_wait_alu 0xfffe
	s_and_saveexec_b32 s3, s2
	s_wait_alu 0xfffe
	s_xor_b32 s2, exec_lo, s3
	s_cbranch_execz .LBB166_26
; %bb.25:
	v_lshlrev_b64_e32 v[0:1], 4, v[17:18]
                                        ; implicit-def: $vgpr17
	s_wait_kmcnt 0x0
	s_delay_alu instid0(VALU_DEP_1) | instskip(SKIP_1) | instid1(VALU_DEP_2)
	v_add_co_u32 v0, vcc_lo, s0, v0
	s_wait_alu 0xfffd
	v_add_co_ci_u32_e64 v1, null, s1, v1, vcc_lo
	s_clause 0x2
	global_store_b128 v[0:1], v[13:16], off
	global_store_b128 v[0:1], v[9:12], off offset:16
	global_store_b128 v[0:1], v[5:8], off offset:32
                                        ; implicit-def: $vgpr3_vgpr4
                                        ; implicit-def: $vgpr13_vgpr14
                                        ; implicit-def: $vgpr9_vgpr10
                                        ; implicit-def: $vgpr5_vgpr6
.LBB166_26:
	s_wait_alu 0xfffe
	s_and_not1_saveexec_b32 s2, s2
	s_cbranch_execz .LBB166_8
; %bb.27:
	v_lshlrev_b64_e32 v[17:18], 4, v[17:18]
	s_wait_kmcnt 0x0
	s_delay_alu instid0(VALU_DEP_1) | instskip(SKIP_1) | instid1(VALU_DEP_2)
	v_add_co_u32 v29, vcc_lo, s0, v17
	s_wait_alu 0xfffd
	v_add_co_ci_u32_e64 v30, null, s1, v18, vcc_lo
	s_clause 0x2
	global_load_b128 v[17:20], v[29:30], off
	global_load_b128 v[21:24], v[29:30], off offset:16
	global_load_b128 v[25:28], v[29:30], off offset:32
	s_wait_loadcnt 0x2
	v_fma_f64 v[13:14], v[1:2], v[17:18], v[13:14]
	v_fma_f64 v[15:16], v[3:4], v[17:18], v[15:16]
	s_wait_loadcnt 0x1
	v_fma_f64 v[9:10], v[1:2], v[21:22], v[9:10]
	v_fma_f64 v[11:12], v[3:4], v[21:22], v[11:12]
	;; [unrolled: 3-line block ×3, first 2 shown]
	v_fma_f64 v[5:6], -v[3:4], v[19:20], v[13:14]
	v_fma_f64 v[7:8], v[1:2], v[19:20], v[15:16]
	v_fma_f64 v[9:10], -v[3:4], v[23:24], v[9:10]
	v_fma_f64 v[11:12], v[1:2], v[23:24], v[11:12]
	;; [unrolled: 2-line block ×3, first 2 shown]
	s_clause 0x2
	global_store_b128 v[29:30], v[5:8], off
	global_store_b128 v[29:30], v[9:12], off offset:16
	global_store_b128 v[29:30], v[13:16], off offset:32
	s_endpgm
	.section	.rodata,"a",@progbits
	.p2align	6, 0x0
	.amdhsa_kernel _ZN9rocsparseL18bsrxmvn_3x3_kernelILj256ELj8E21rocsparse_complex_numIdEiiS1_IfES2_S2_EEvT3_20rocsparse_direction_NS_24const_host_device_scalarIT1_EES4_PKS4_PKT2_SD_SA_PKT4_PKT5_S8_PT6_21rocsparse_index_base_b
		.amdhsa_group_segment_fixed_size 0
		.amdhsa_private_segment_fixed_size 0
		.amdhsa_kernarg_size 112
		.amdhsa_user_sgpr_count 2
		.amdhsa_user_sgpr_dispatch_ptr 0
		.amdhsa_user_sgpr_queue_ptr 0
		.amdhsa_user_sgpr_kernarg_segment_ptr 1
		.amdhsa_user_sgpr_dispatch_id 0
		.amdhsa_user_sgpr_private_segment_size 0
		.amdhsa_wavefront_size32 1
		.amdhsa_uses_dynamic_stack 0
		.amdhsa_enable_private_segment 0
		.amdhsa_system_sgpr_workgroup_id_x 1
		.amdhsa_system_sgpr_workgroup_id_y 0
		.amdhsa_system_sgpr_workgroup_id_z 0
		.amdhsa_system_sgpr_workgroup_info 0
		.amdhsa_system_vgpr_workitem_id 0
		.amdhsa_next_free_vgpr 71
		.amdhsa_next_free_sgpr 14
		.amdhsa_reserve_vcc 1
		.amdhsa_float_round_mode_32 0
		.amdhsa_float_round_mode_16_64 0
		.amdhsa_float_denorm_mode_32 3
		.amdhsa_float_denorm_mode_16_64 3
		.amdhsa_fp16_overflow 0
		.amdhsa_workgroup_processor_mode 1
		.amdhsa_memory_ordered 1
		.amdhsa_forward_progress 1
		.amdhsa_inst_pref_size 25
		.amdhsa_round_robin_scheduling 0
		.amdhsa_exception_fp_ieee_invalid_op 0
		.amdhsa_exception_fp_denorm_src 0
		.amdhsa_exception_fp_ieee_div_zero 0
		.amdhsa_exception_fp_ieee_overflow 0
		.amdhsa_exception_fp_ieee_underflow 0
		.amdhsa_exception_fp_ieee_inexact 0
		.amdhsa_exception_int_div_zero 0
	.end_amdhsa_kernel
	.section	.text._ZN9rocsparseL18bsrxmvn_3x3_kernelILj256ELj8E21rocsparse_complex_numIdEiiS1_IfES2_S2_EEvT3_20rocsparse_direction_NS_24const_host_device_scalarIT1_EES4_PKS4_PKT2_SD_SA_PKT4_PKT5_S8_PT6_21rocsparse_index_base_b,"axG",@progbits,_ZN9rocsparseL18bsrxmvn_3x3_kernelILj256ELj8E21rocsparse_complex_numIdEiiS1_IfES2_S2_EEvT3_20rocsparse_direction_NS_24const_host_device_scalarIT1_EES4_PKS4_PKT2_SD_SA_PKT4_PKT5_S8_PT6_21rocsparse_index_base_b,comdat
.Lfunc_end166:
	.size	_ZN9rocsparseL18bsrxmvn_3x3_kernelILj256ELj8E21rocsparse_complex_numIdEiiS1_IfES2_S2_EEvT3_20rocsparse_direction_NS_24const_host_device_scalarIT1_EES4_PKS4_PKT2_SD_SA_PKT4_PKT5_S8_PT6_21rocsparse_index_base_b, .Lfunc_end166-_ZN9rocsparseL18bsrxmvn_3x3_kernelILj256ELj8E21rocsparse_complex_numIdEiiS1_IfES2_S2_EEvT3_20rocsparse_direction_NS_24const_host_device_scalarIT1_EES4_PKS4_PKT2_SD_SA_PKT4_PKT5_S8_PT6_21rocsparse_index_base_b
                                        ; -- End function
	.set _ZN9rocsparseL18bsrxmvn_3x3_kernelILj256ELj8E21rocsparse_complex_numIdEiiS1_IfES2_S2_EEvT3_20rocsparse_direction_NS_24const_host_device_scalarIT1_EES4_PKS4_PKT2_SD_SA_PKT4_PKT5_S8_PT6_21rocsparse_index_base_b.num_vgpr, 71
	.set _ZN9rocsparseL18bsrxmvn_3x3_kernelILj256ELj8E21rocsparse_complex_numIdEiiS1_IfES2_S2_EEvT3_20rocsparse_direction_NS_24const_host_device_scalarIT1_EES4_PKS4_PKT2_SD_SA_PKT4_PKT5_S8_PT6_21rocsparse_index_base_b.num_agpr, 0
	.set _ZN9rocsparseL18bsrxmvn_3x3_kernelILj256ELj8E21rocsparse_complex_numIdEiiS1_IfES2_S2_EEvT3_20rocsparse_direction_NS_24const_host_device_scalarIT1_EES4_PKS4_PKT2_SD_SA_PKT4_PKT5_S8_PT6_21rocsparse_index_base_b.numbered_sgpr, 14
	.set _ZN9rocsparseL18bsrxmvn_3x3_kernelILj256ELj8E21rocsparse_complex_numIdEiiS1_IfES2_S2_EEvT3_20rocsparse_direction_NS_24const_host_device_scalarIT1_EES4_PKS4_PKT2_SD_SA_PKT4_PKT5_S8_PT6_21rocsparse_index_base_b.num_named_barrier, 0
	.set _ZN9rocsparseL18bsrxmvn_3x3_kernelILj256ELj8E21rocsparse_complex_numIdEiiS1_IfES2_S2_EEvT3_20rocsparse_direction_NS_24const_host_device_scalarIT1_EES4_PKS4_PKT2_SD_SA_PKT4_PKT5_S8_PT6_21rocsparse_index_base_b.private_seg_size, 0
	.set _ZN9rocsparseL18bsrxmvn_3x3_kernelILj256ELj8E21rocsparse_complex_numIdEiiS1_IfES2_S2_EEvT3_20rocsparse_direction_NS_24const_host_device_scalarIT1_EES4_PKS4_PKT2_SD_SA_PKT4_PKT5_S8_PT6_21rocsparse_index_base_b.uses_vcc, 1
	.set _ZN9rocsparseL18bsrxmvn_3x3_kernelILj256ELj8E21rocsparse_complex_numIdEiiS1_IfES2_S2_EEvT3_20rocsparse_direction_NS_24const_host_device_scalarIT1_EES4_PKS4_PKT2_SD_SA_PKT4_PKT5_S8_PT6_21rocsparse_index_base_b.uses_flat_scratch, 0
	.set _ZN9rocsparseL18bsrxmvn_3x3_kernelILj256ELj8E21rocsparse_complex_numIdEiiS1_IfES2_S2_EEvT3_20rocsparse_direction_NS_24const_host_device_scalarIT1_EES4_PKS4_PKT2_SD_SA_PKT4_PKT5_S8_PT6_21rocsparse_index_base_b.has_dyn_sized_stack, 0
	.set _ZN9rocsparseL18bsrxmvn_3x3_kernelILj256ELj8E21rocsparse_complex_numIdEiiS1_IfES2_S2_EEvT3_20rocsparse_direction_NS_24const_host_device_scalarIT1_EES4_PKS4_PKT2_SD_SA_PKT4_PKT5_S8_PT6_21rocsparse_index_base_b.has_recursion, 0
	.set _ZN9rocsparseL18bsrxmvn_3x3_kernelILj256ELj8E21rocsparse_complex_numIdEiiS1_IfES2_S2_EEvT3_20rocsparse_direction_NS_24const_host_device_scalarIT1_EES4_PKS4_PKT2_SD_SA_PKT4_PKT5_S8_PT6_21rocsparse_index_base_b.has_indirect_call, 0
	.section	.AMDGPU.csdata,"",@progbits
; Kernel info:
; codeLenInByte = 3140
; TotalNumSgprs: 16
; NumVgprs: 71
; ScratchSize: 0
; MemoryBound: 0
; FloatMode: 240
; IeeeMode: 1
; LDSByteSize: 0 bytes/workgroup (compile time only)
; SGPRBlocks: 0
; VGPRBlocks: 8
; NumSGPRsForWavesPerEU: 16
; NumVGPRsForWavesPerEU: 71
; Occupancy: 16
; WaveLimiterHint : 1
; COMPUTE_PGM_RSRC2:SCRATCH_EN: 0
; COMPUTE_PGM_RSRC2:USER_SGPR: 2
; COMPUTE_PGM_RSRC2:TRAP_HANDLER: 0
; COMPUTE_PGM_RSRC2:TGID_X_EN: 1
; COMPUTE_PGM_RSRC2:TGID_Y_EN: 0
; COMPUTE_PGM_RSRC2:TGID_Z_EN: 0
; COMPUTE_PGM_RSRC2:TIDIG_COMP_CNT: 0
	.section	.text._ZN9rocsparseL18bsrxmvn_3x3_kernelILj256ELj16E21rocsparse_complex_numIdEiiS1_IfES2_S2_EEvT3_20rocsparse_direction_NS_24const_host_device_scalarIT1_EES4_PKS4_PKT2_SD_SA_PKT4_PKT5_S8_PT6_21rocsparse_index_base_b,"axG",@progbits,_ZN9rocsparseL18bsrxmvn_3x3_kernelILj256ELj16E21rocsparse_complex_numIdEiiS1_IfES2_S2_EEvT3_20rocsparse_direction_NS_24const_host_device_scalarIT1_EES4_PKS4_PKT2_SD_SA_PKT4_PKT5_S8_PT6_21rocsparse_index_base_b,comdat
	.globl	_ZN9rocsparseL18bsrxmvn_3x3_kernelILj256ELj16E21rocsparse_complex_numIdEiiS1_IfES2_S2_EEvT3_20rocsparse_direction_NS_24const_host_device_scalarIT1_EES4_PKS4_PKT2_SD_SA_PKT4_PKT5_S8_PT6_21rocsparse_index_base_b ; -- Begin function _ZN9rocsparseL18bsrxmvn_3x3_kernelILj256ELj16E21rocsparse_complex_numIdEiiS1_IfES2_S2_EEvT3_20rocsparse_direction_NS_24const_host_device_scalarIT1_EES4_PKS4_PKT2_SD_SA_PKT4_PKT5_S8_PT6_21rocsparse_index_base_b
	.p2align	8
	.type	_ZN9rocsparseL18bsrxmvn_3x3_kernelILj256ELj16E21rocsparse_complex_numIdEiiS1_IfES2_S2_EEvT3_20rocsparse_direction_NS_24const_host_device_scalarIT1_EES4_PKS4_PKT2_SD_SA_PKT4_PKT5_S8_PT6_21rocsparse_index_base_b,@function
_ZN9rocsparseL18bsrxmvn_3x3_kernelILj256ELj16E21rocsparse_complex_numIdEiiS1_IfES2_S2_EEvT3_20rocsparse_direction_NS_24const_host_device_scalarIT1_EES4_PKS4_PKT2_SD_SA_PKT4_PKT5_S8_PT6_21rocsparse_index_base_b: ; @_ZN9rocsparseL18bsrxmvn_3x3_kernelILj256ELj16E21rocsparse_complex_numIdEiiS1_IfES2_S2_EEvT3_20rocsparse_direction_NS_24const_host_device_scalarIT1_EES4_PKS4_PKT2_SD_SA_PKT4_PKT5_S8_PT6_21rocsparse_index_base_b
; %bb.0:
	s_clause 0x1
	s_load_b64 s[12:13], s[0:1], 0x68
	s_load_b64 s[2:3], s[0:1], 0x8
	s_add_nc_u64 s[4:5], s[0:1], 8
	s_load_b64 s[6:7], s[0:1], 0x50
	s_wait_kmcnt 0x0
	s_bitcmp1_b32 s13, 0
	s_cselect_b32 s2, s4, s2
	s_cselect_b32 s3, s5, s3
	s_delay_alu instid0(SALU_CYCLE_1)
	v_dual_mov_b32 v1, s2 :: v_dual_mov_b32 v2, s3
	s_add_nc_u64 s[2:3], s[0:1], 0x50
	s_wait_alu 0xfffe
	s_cselect_b32 s2, s2, s6
	s_cselect_b32 s3, s3, s7
	flat_load_b128 v[5:8], v[1:2]
	s_wait_alu 0xfffe
	v_dual_mov_b32 v1, s2 :: v_dual_mov_b32 v2, s3
	flat_load_b128 v[1:4], v[1:2]
	s_wait_loadcnt_dscnt 0x101
	v_cmp_eq_f64_e32 vcc_lo, 0, v[5:6]
	v_cmp_eq_f64_e64 s2, 0, v[7:8]
	s_and_b32 s4, vcc_lo, s2
	s_mov_b32 s2, -1
	s_and_saveexec_b32 s3, s4
	s_cbranch_execz .LBB167_2
; %bb.1:
	s_wait_loadcnt_dscnt 0x0
	v_cmp_neq_f64_e32 vcc_lo, 1.0, v[1:2]
	v_cmp_neq_f64_e64 s2, 0, v[3:4]
	s_wait_alu 0xfffe
	s_or_b32 s2, vcc_lo, s2
	s_wait_alu 0xfffe
	s_or_not1_b32 s2, s2, exec_lo
.LBB167_2:
	s_wait_alu 0xfffe
	s_or_b32 exec_lo, exec_lo, s3
	s_and_saveexec_b32 s3, s2
	s_cbranch_execz .LBB167_8
; %bb.3:
	s_clause 0x1
	s_load_b64 s[4:5], s[0:1], 0x20
	s_load_b64 s[2:3], s[0:1], 0x0
	v_lshrrev_b32_e32 v9, 4, v0
	s_delay_alu instid0(VALU_DEP_1)
	v_lshl_or_b32 v17, ttmp9, 4, v9
	s_wait_kmcnt 0x0
	s_cmp_lg_u64 s[4:5], 0
	s_cbranch_scc0 .LBB167_9
; %bb.4:
	s_load_b32 s6, s[0:1], 0x18
	s_mov_b32 s7, 0
                                        ; implicit-def: $vgpr9
	s_wait_kmcnt 0x0
	v_cmp_gt_i32_e32 vcc_lo, s6, v17
	s_mov_b32 s6, 0
	s_and_saveexec_b32 s8, vcc_lo
	s_delay_alu instid0(SALU_CYCLE_1)
	s_xor_b32 s8, exec_lo, s8
	s_cbranch_execz .LBB167_6
; %bb.5:
	v_ashrrev_i32_e32 v18, 31, v17
	s_mov_b32 s6, exec_lo
	s_delay_alu instid0(VALU_DEP_1) | instskip(NEXT) | instid1(VALU_DEP_1)
	v_lshlrev_b64_e32 v[9:10], 2, v[17:18]
	v_add_co_u32 v9, vcc_lo, s4, v9
	s_delay_alu instid0(VALU_DEP_1)
	v_add_co_ci_u32_e64 v10, null, s5, v10, vcc_lo
	global_load_b32 v9, v[9:10], off
	s_wait_loadcnt 0x0
	v_subrev_nc_u32_e32 v9, s12, v9
.LBB167_6:
	s_or_b32 exec_lo, exec_lo, s8
	s_delay_alu instid0(SALU_CYCLE_1)
	s_and_b32 vcc_lo, exec_lo, s7
	s_wait_alu 0xfffe
	s_cbranch_vccz .LBB167_10
.LBB167_7:
	v_cmp_gt_i32_e32 vcc_lo, s2, v17
	s_and_not1_b32 s2, s6, exec_lo
	s_and_b32 s4, vcc_lo, exec_lo
	s_wait_alu 0xfffe
	s_or_b32 s6, s2, s4
	s_wait_alu 0xfffe
	s_and_b32 exec_lo, exec_lo, s6
	s_cbranch_execnz .LBB167_11
.LBB167_8:
	s_endpgm
.LBB167_9:
	s_mov_b32 s6, 0
                                        ; implicit-def: $vgpr9
	s_cbranch_execnz .LBB167_7
.LBB167_10:
	v_mov_b32_e32 v17, v9
	s_and_b32 exec_lo, exec_lo, s6
	s_cbranch_execz .LBB167_8
.LBB167_11:
	s_load_b256 s[4:11], s[0:1], 0x28
	s_delay_alu instid0(VALU_DEP_1) | instskip(SKIP_1) | instid1(VALU_DEP_2)
	v_ashrrev_i32_e32 v18, 31, v17
	v_and_b32_e32 v0, 15, v0
	v_lshlrev_b64_e32 v[9:10], 2, v[17:18]
	s_wait_kmcnt 0x0
	s_delay_alu instid0(VALU_DEP_1) | instskip(SKIP_1) | instid1(VALU_DEP_2)
	v_add_co_u32 v11, vcc_lo, s4, v9
	s_wait_alu 0xfffd
	v_add_co_ci_u32_e64 v12, null, s5, v10, vcc_lo
	v_add_co_u32 v9, vcc_lo, s6, v9
	s_wait_alu 0xfffd
	v_add_co_ci_u32_e64 v10, null, s7, v10, vcc_lo
	;; [unrolled: 3-line block ×3, first 2 shown]
	s_cmp_eq_u64 s[6:7], 0
	global_load_b32 v11, v[11:12], off
	s_cselect_b32 vcc_lo, -1, 0
	s_load_b64 s[4:5], s[0:1], 0x48
	v_dual_cndmask_b32 v10, v10, v14 :: v_dual_cndmask_b32 v9, v9, v13
	s_cmp_eq_u32 s3, 1
	global_load_b32 v9, v[9:10], off
	s_wait_loadcnt 0x1
	v_subrev_nc_u32_e32 v10, s12, v11
	s_delay_alu instid0(VALU_DEP_1) | instskip(SKIP_2) | instid1(VALU_DEP_2)
	v_add_nc_u32_e32 v22, v10, v0
	s_wait_loadcnt 0x0
	v_subrev_nc_u32_e32 v30, s12, v9
	v_mad_co_i64_i32 v[24:25], null, 0x48, v22, s[10:11]
	s_delay_alu instid0(VALU_DEP_2)
	v_cmp_lt_i32_e64 s2, v22, v30
	s_cbranch_scc1 .LBB167_17
; %bb.12:
	v_mov_b32_e32 v9, 0
	v_dual_mov_b32 v13, 0 :: v_dual_mov_b32 v18, 0
	v_dual_mov_b32 v10, 0 :: v_dual_mov_b32 v11, 0
	;; [unrolled: 1-line block ×4, first 2 shown]
	v_mov_b32_e32 v12, 0
	v_dual_mov_b32 v16, 0 :: v_dual_mov_b32 v21, 0
	s_and_saveexec_b32 s6, s2
	s_cbranch_execz .LBB167_16
; %bb.13:
	v_dual_mov_b32 v9, 0 :: v_dual_mov_b32 v26, v22
	v_dual_mov_b32 v10, 0 :: v_dual_mov_b32 v11, 0
	v_dual_mov_b32 v12, 0 :: v_dual_mov_b32 v13, 0
	v_dual_mov_b32 v14, 0 :: v_dual_mov_b32 v15, 0
	v_mov_b32_e32 v18, 0
	v_dual_mov_b32 v20, 0 :: v_dual_mov_b32 v29, v25
	v_dual_mov_b32 v16, 0 :: v_dual_mov_b32 v19, 0
	v_dual_mov_b32 v21, 0 :: v_dual_mov_b32 v28, v24
	s_mov_b32 s7, 0
.LBB167_14:                             ; =>This Inner Loop Header: Depth=1
	v_ashrrev_i32_e32 v27, 31, v26
	s_delay_alu instid0(VALU_DEP_1) | instskip(SKIP_1) | instid1(VALU_DEP_2)
	v_lshlrev_b64_e32 v[31:32], 2, v[26:27]
	v_add_nc_u32_e32 v26, 16, v26
	v_add_co_u32 v31, vcc_lo, s8, v31
	s_wait_alu 0xfffd
	s_delay_alu instid0(VALU_DEP_3)
	v_add_co_ci_u32_e64 v32, null, s9, v32, vcc_lo
	global_load_b32 v23, v[31:32], off
	s_clause 0x2
	global_load_b128 v[31:34], v[28:29], off
	global_load_b128 v[35:38], v[28:29], off offset:16
	global_load_b128 v[39:42], v[28:29], off offset:48
	s_wait_loadcnt 0x3
	v_subrev_nc_u32_e32 v23, s12, v23
	s_wait_loadcnt 0x2
	v_cvt_f64_f32_e32 v[61:62], v31
	v_cvt_f64_f32_e32 v[31:32], v32
	s_wait_loadcnt 0x1
	v_cvt_f64_f32_e32 v[63:64], v37
	v_cvt_f64_f32_e32 v[37:38], v38
	v_lshl_add_u32 v43, v23, 1, v23
	s_wait_loadcnt 0x0
	v_cvt_f64_f32_e32 v[65:66], v39
	v_cvt_f64_f32_e32 v[39:40], v40
	;; [unrolled: 1-line block ×4, first 2 shown]
	v_ashrrev_i32_e32 v44, 31, v43
	s_delay_alu instid0(VALU_DEP_1) | instskip(SKIP_1) | instid1(VALU_DEP_1)
	v_lshlrev_b64_e32 v[43:44], 4, v[43:44]
	s_wait_kmcnt 0x0
	v_add_co_u32 v55, vcc_lo, s4, v43
	s_wait_alu 0xfffd
	s_delay_alu instid0(VALU_DEP_2)
	v_add_co_ci_u32_e64 v56, null, s5, v44, vcc_lo
	v_cmp_ge_i32_e32 vcc_lo, v26, v30
	s_clause 0x1
	global_load_b128 v[43:46], v[55:56], off
	global_load_b128 v[47:50], v[55:56], off offset:16
	s_clause 0x1
	global_load_b128 v[51:54], v[28:29], off offset:32
	global_load_b64 v[59:60], v[28:29], off offset:64
	global_load_b128 v[55:58], v[55:56], off offset:32
	v_add_co_u32 v28, s3, 0x480, v28
	s_wait_alu 0xf1ff
	v_add_co_ci_u32_e64 v29, null, 0, v29, s3
	s_wait_alu 0xfffe
	s_or_b32 s7, vcc_lo, s7
	s_wait_loadcnt 0x4
	v_fma_f64 v[11:12], v[61:62], v[43:44], v[11:12]
	v_fma_f64 v[9:10], v[31:32], v[43:44], v[9:10]
	v_fma_f64 v[15:16], v[63:64], v[43:44], v[15:16]
	v_fma_f64 v[13:14], v[37:38], v[43:44], v[13:14]
	v_fma_f64 v[20:21], v[65:66], v[43:44], v[20:21]
	v_fma_f64 v[18:19], v[39:40], v[43:44], v[18:19]
	v_cvt_f64_f32_e32 v[43:44], v33
	v_cvt_f64_f32_e32 v[33:34], v34
	s_wait_loadcnt 0x2
	v_cvt_f64_f32_e32 v[67:68], v51
	v_cvt_f64_f32_e32 v[51:52], v52
	v_fma_f64 v[11:12], -v[31:32], v[45:46], v[11:12]
	v_fma_f64 v[9:10], v[61:62], v[45:46], v[9:10]
	v_fma_f64 v[15:16], -v[37:38], v[45:46], v[15:16]
	v_fma_f64 v[13:14], v[63:64], v[45:46], v[13:14]
	;; [unrolled: 2-line block ×3, first 2 shown]
	v_cvt_f64_f32_e32 v[31:32], v35
	v_cvt_f64_f32_e32 v[35:36], v36
	;; [unrolled: 1-line block ×4, first 2 shown]
	s_wait_loadcnt 0x1
	v_cvt_f64_f32_e32 v[45:46], v59
	v_fma_f64 v[11:12], v[43:44], v[47:48], v[11:12]
	v_fma_f64 v[9:10], v[33:34], v[47:48], v[9:10]
	;; [unrolled: 1-line block ×6, first 2 shown]
	v_cvt_f64_f32_e32 v[47:48], v60
	v_fma_f64 v[11:12], -v[33:34], v[49:50], v[11:12]
	v_fma_f64 v[9:10], v[43:44], v[49:50], v[9:10]
	v_fma_f64 v[15:16], -v[51:52], v[49:50], v[15:16]
	v_fma_f64 v[13:14], v[67:68], v[49:50], v[13:14]
	;; [unrolled: 2-line block ×3, first 2 shown]
	s_wait_loadcnt 0x0
	v_fma_f64 v[11:12], v[31:32], v[55:56], v[11:12]
	v_fma_f64 v[9:10], v[35:36], v[55:56], v[9:10]
	v_fma_f64 v[15:16], v[37:38], v[55:56], v[15:16]
	v_fma_f64 v[13:14], v[39:40], v[55:56], v[13:14]
	v_fma_f64 v[20:21], v[45:46], v[55:56], v[20:21]
	v_fma_f64 v[18:19], v[47:48], v[55:56], v[18:19]
	v_fma_f64 v[11:12], -v[35:36], v[57:58], v[11:12]
	v_fma_f64 v[9:10], v[31:32], v[57:58], v[9:10]
	v_fma_f64 v[15:16], -v[39:40], v[57:58], v[15:16]
	v_fma_f64 v[13:14], v[37:38], v[57:58], v[13:14]
	;; [unrolled: 2-line block ×3, first 2 shown]
	s_wait_alu 0xfffe
	s_and_not1_b32 exec_lo, exec_lo, s7
	s_cbranch_execnz .LBB167_14
; %bb.15:
	s_or_b32 exec_lo, exec_lo, s7
.LBB167_16:
	s_wait_alu 0xfffe
	s_or_b32 exec_lo, exec_lo, s6
	s_cbranch_execz .LBB167_18
	s_branch .LBB167_23
.LBB167_17:
                                        ; implicit-def: $vgpr9_vgpr10
                                        ; implicit-def: $vgpr11_vgpr12
                                        ; implicit-def: $vgpr13_vgpr14
                                        ; implicit-def: $vgpr15_vgpr16
                                        ; implicit-def: $vgpr18_vgpr19
                                        ; implicit-def: $vgpr20_vgpr21
.LBB167_18:
	v_mov_b32_e32 v9, 0
	v_dual_mov_b32 v13, 0 :: v_dual_mov_b32 v18, 0
	v_dual_mov_b32 v10, 0 :: v_dual_mov_b32 v11, 0
	v_dual_mov_b32 v14, 0 :: v_dual_mov_b32 v15, 0
	v_dual_mov_b32 v19, 0 :: v_dual_mov_b32 v20, 0
	v_mov_b32_e32 v12, 0
	v_dual_mov_b32 v16, 0 :: v_dual_mov_b32 v21, 0
	s_and_saveexec_b32 s3, s2
	s_cbranch_execz .LBB167_22
; %bb.19:
	v_mov_b32_e32 v9, 0
	v_dual_mov_b32 v13, 0 :: v_dual_mov_b32 v18, 0
	v_dual_mov_b32 v10, 0 :: v_dual_mov_b32 v11, 0
	;; [unrolled: 1-line block ×4, first 2 shown]
	v_mov_b32_e32 v12, 0
	v_dual_mov_b32 v16, 0 :: v_dual_mov_b32 v21, 0
	s_mov_b32 s6, 0
.LBB167_20:                             ; =>This Inner Loop Header: Depth=1
	v_ashrrev_i32_e32 v23, 31, v22
	s_delay_alu instid0(VALU_DEP_1) | instskip(SKIP_1) | instid1(VALU_DEP_2)
	v_lshlrev_b64_e32 v[26:27], 2, v[22:23]
	v_add_nc_u32_e32 v22, 16, v22
	v_add_co_u32 v26, vcc_lo, s8, v26
	s_wait_alu 0xfffd
	s_delay_alu instid0(VALU_DEP_3)
	v_add_co_ci_u32_e64 v27, null, s9, v27, vcc_lo
	global_load_b32 v23, v[26:27], off
	s_clause 0x1
	global_load_b128 v[26:29], v[24:25], off
	global_load_b128 v[31:34], v[24:25], off offset:16
	s_wait_loadcnt 0x2
	v_subrev_nc_u32_e32 v23, s12, v23
	s_wait_loadcnt 0x1
	v_cvt_f64_f32_e32 v[57:58], v26
	v_cvt_f64_f32_e32 v[26:27], v27
	;; [unrolled: 1-line block ×4, first 2 shown]
	v_lshl_add_u32 v35, v23, 1, v23
	s_wait_loadcnt 0x0
	v_cvt_f64_f32_e32 v[61:62], v31
	v_cvt_f64_f32_e32 v[31:32], v32
	s_delay_alu instid0(VALU_DEP_3) | instskip(NEXT) | instid1(VALU_DEP_1)
	v_ashrrev_i32_e32 v36, 31, v35
	v_lshlrev_b64_e32 v[35:36], 4, v[35:36]
	s_wait_kmcnt 0x0
	s_delay_alu instid0(VALU_DEP_1) | instskip(SKIP_1) | instid1(VALU_DEP_2)
	v_add_co_u32 v51, vcc_lo, s4, v35
	s_wait_alu 0xfffd
	v_add_co_ci_u32_e64 v52, null, s5, v36, vcc_lo
	v_cmp_ge_i32_e32 vcc_lo, v22, v30
	s_clause 0x1
	global_load_b128 v[35:38], v[51:52], off
	global_load_b128 v[39:42], v[51:52], off offset:16
	s_clause 0x2
	global_load_b128 v[43:46], v[24:25], off offset:32
	global_load_b128 v[47:50], v[24:25], off offset:48
	global_load_b64 v[55:56], v[24:25], off offset:64
	global_load_b128 v[51:54], v[51:52], off offset:32
	v_add_co_u32 v24, s2, 0x480, v24
	s_wait_alu 0xf1ff
	v_add_co_ci_u32_e64 v25, null, 0, v25, s2
	s_wait_alu 0xfffe
	s_or_b32 s6, vcc_lo, s6
	s_wait_loadcnt 0x5
	v_fma_f64 v[11:12], v[57:58], v[35:36], v[11:12]
	v_fma_f64 v[9:10], v[26:27], v[35:36], v[9:10]
	;; [unrolled: 1-line block ×6, first 2 shown]
	v_cvt_f64_f32_e32 v[35:36], v33
	v_cvt_f64_f32_e32 v[33:34], v34
	s_wait_loadcnt 0x3
	v_cvt_f64_f32_e32 v[63:64], v43
	v_cvt_f64_f32_e32 v[43:44], v44
	;; [unrolled: 1-line block ×4, first 2 shown]
	v_fma_f64 v[11:12], -v[26:27], v[37:38], v[11:12]
	v_fma_f64 v[9:10], v[57:58], v[37:38], v[9:10]
	v_fma_f64 v[15:16], -v[28:29], v[37:38], v[15:16]
	v_fma_f64 v[13:14], v[59:60], v[37:38], v[13:14]
	v_fma_f64 v[20:21], -v[31:32], v[37:38], v[20:21]
	v_fma_f64 v[18:19], v[61:62], v[37:38], v[18:19]
	s_wait_loadcnt 0x2
	v_cvt_f64_f32_e32 v[26:27], v47
	v_cvt_f64_f32_e32 v[28:29], v48
	;; [unrolled: 1-line block ×4, first 2 shown]
	s_wait_loadcnt 0x1
	v_cvt_f64_f32_e32 v[47:48], v56
	v_fma_f64 v[11:12], v[35:36], v[39:40], v[11:12]
	v_fma_f64 v[9:10], v[33:34], v[39:40], v[9:10]
	;; [unrolled: 1-line block ×6, first 2 shown]
	v_cvt_f64_f32_e32 v[39:40], v55
	v_fma_f64 v[11:12], -v[33:34], v[41:42], v[11:12]
	v_fma_f64 v[9:10], v[35:36], v[41:42], v[9:10]
	v_fma_f64 v[15:16], -v[43:44], v[41:42], v[15:16]
	v_fma_f64 v[13:14], v[63:64], v[41:42], v[13:14]
	;; [unrolled: 2-line block ×3, first 2 shown]
	s_wait_loadcnt 0x0
	v_fma_f64 v[11:12], v[26:27], v[51:52], v[11:12]
	v_fma_f64 v[9:10], v[28:29], v[51:52], v[9:10]
	;; [unrolled: 1-line block ×6, first 2 shown]
	v_fma_f64 v[11:12], -v[28:29], v[53:54], v[11:12]
	v_fma_f64 v[9:10], v[26:27], v[53:54], v[9:10]
	v_fma_f64 v[15:16], -v[37:38], v[53:54], v[15:16]
	v_fma_f64 v[13:14], v[31:32], v[53:54], v[13:14]
	;; [unrolled: 2-line block ×3, first 2 shown]
	s_wait_alu 0xfffe
	s_and_not1_b32 exec_lo, exec_lo, s6
	s_cbranch_execnz .LBB167_20
; %bb.21:
	s_or_b32 exec_lo, exec_lo, s6
.LBB167_22:
	s_wait_alu 0xfffe
	s_or_b32 exec_lo, exec_lo, s3
.LBB167_23:
	v_mbcnt_lo_u32_b32 v34, -1, 0
	s_delay_alu instid0(VALU_DEP_1) | instskip(NEXT) | instid1(VALU_DEP_1)
	v_xor_b32_e32 v22, 8, v34
	v_cmp_gt_i32_e32 vcc_lo, 32, v22
	s_wait_alu 0xfffd
	v_cndmask_b32_e32 v22, v34, v22, vcc_lo
	s_delay_alu instid0(VALU_DEP_1)
	v_lshlrev_b32_e32 v33, 2, v22
	ds_bpermute_b32 v22, v33, v11
	ds_bpermute_b32 v23, v33, v12
	;; [unrolled: 1-line block ×12, first 2 shown]
	s_wait_dscnt 0xa
	v_add_f64_e32 v[11:12], v[11:12], v[22:23]
	v_xor_b32_e32 v22, 4, v34
	s_wait_dscnt 0x8
	v_add_f64_e32 v[9:10], v[9:10], v[24:25]
	s_wait_dscnt 0x6
	v_add_f64_e32 v[15:16], v[15:16], v[26:27]
	s_wait_dscnt 0x4
	v_add_f64_e32 v[13:14], v[13:14], v[28:29]
	v_cmp_gt_i32_e32 vcc_lo, 32, v22
	s_wait_dscnt 0x2
	v_add_f64_e32 v[20:21], v[20:21], v[30:31]
	s_wait_dscnt 0x0
	v_add_f64_e32 v[18:19], v[18:19], v[32:33]
	s_wait_alu 0xfffd
	v_cndmask_b32_e32 v22, v34, v22, vcc_lo
	s_delay_alu instid0(VALU_DEP_1)
	v_lshlrev_b32_e32 v33, 2, v22
	ds_bpermute_b32 v22, v33, v11
	ds_bpermute_b32 v23, v33, v12
	;; [unrolled: 1-line block ×12, first 2 shown]
	s_wait_dscnt 0xa
	v_add_f64_e32 v[11:12], v[11:12], v[22:23]
	s_wait_dscnt 0x8
	v_add_f64_e32 v[22:23], v[9:10], v[24:25]
	v_xor_b32_e32 v9, 2, v34
	s_wait_dscnt 0x6
	v_add_f64_e32 v[15:16], v[15:16], v[26:27]
	s_wait_dscnt 0x4
	v_add_f64_e32 v[13:14], v[13:14], v[28:29]
	;; [unrolled: 2-line block ×3, first 2 shown]
	v_cmp_gt_i32_e32 vcc_lo, 32, v9
	s_wait_dscnt 0x0
	v_add_f64_e32 v[24:25], v[18:19], v[32:33]
	s_wait_alu 0xfffd
	v_cndmask_b32_e32 v9, v34, v9, vcc_lo
	s_delay_alu instid0(VALU_DEP_1)
	v_lshlrev_b32_e32 v33, 2, v9
	ds_bpermute_b32 v9, v33, v11
	ds_bpermute_b32 v10, v33, v12
	;; [unrolled: 1-line block ×12, first 2 shown]
	s_wait_dscnt 0xa
	v_add_f64_e32 v[9:10], v[11:12], v[9:10]
	s_wait_dscnt 0x8
	v_add_f64_e32 v[22:23], v[22:23], v[18:19]
	;; [unrolled: 2-line block ×5, first 2 shown]
	v_xor_b32_e32 v20, 1, v34
	s_wait_dscnt 0x0
	v_add_f64_e32 v[15:16], v[24:25], v[32:33]
	s_delay_alu instid0(VALU_DEP_2) | instskip(SKIP_3) | instid1(VALU_DEP_2)
	v_cmp_gt_i32_e32 vcc_lo, 32, v20
	s_wait_alu 0xfffd
	v_cndmask_b32_e32 v20, v34, v20, vcc_lo
	v_cmp_eq_u32_e32 vcc_lo, 15, v0
	v_lshlrev_b32_e32 v29, 2, v20
	ds_bpermute_b32 v20, v29, v9
	ds_bpermute_b32 v21, v29, v10
	;; [unrolled: 1-line block ×12, first 2 shown]
	s_and_b32 exec_lo, exec_lo, vcc_lo
	s_cbranch_execz .LBB167_8
; %bb.24:
	s_wait_dscnt 0x8
	v_add_f64_e32 v[22:23], v[22:23], v[32:33]
	s_wait_dscnt 0x4
	v_add_f64_e32 v[18:19], v[18:19], v[30:31]
	;; [unrolled: 2-line block ×3, first 2 shown]
	v_add_f64_e32 v[9:10], v[9:10], v[20:21]
	v_add_f64_e32 v[11:12], v[11:12], v[24:25]
	;; [unrolled: 1-line block ×3, first 2 shown]
	v_cmp_eq_f64_e32 vcc_lo, 0, v[1:2]
	v_cmp_eq_f64_e64 s2, 0, v[3:4]
	s_load_b64 s[0:1], s[0:1], 0x60
	v_lshl_add_u32 v17, v17, 1, v17
	v_mul_f64_e64 v[13:14], v[22:23], -v[7:8]
	v_mul_f64_e32 v[22:23], v[5:6], v[22:23]
	v_mul_f64_e64 v[24:25], v[18:19], -v[7:8]
	v_mul_f64_e32 v[18:19], v[5:6], v[18:19]
	;; [unrolled: 2-line block ×3, first 2 shown]
	s_and_b32 s2, vcc_lo, s2
	v_fma_f64 v[13:14], v[5:6], v[9:10], v[13:14]
	v_fma_f64 v[15:16], v[7:8], v[9:10], v[22:23]
	;; [unrolled: 1-line block ×6, first 2 shown]
	v_ashrrev_i32_e32 v18, 31, v17
	s_wait_alu 0xfffe
	s_and_saveexec_b32 s3, s2
	s_wait_alu 0xfffe
	s_xor_b32 s2, exec_lo, s3
	s_cbranch_execz .LBB167_26
; %bb.25:
	v_lshlrev_b64_e32 v[0:1], 4, v[17:18]
                                        ; implicit-def: $vgpr17
	s_wait_kmcnt 0x0
	s_delay_alu instid0(VALU_DEP_1) | instskip(SKIP_1) | instid1(VALU_DEP_2)
	v_add_co_u32 v0, vcc_lo, s0, v0
	s_wait_alu 0xfffd
	v_add_co_ci_u32_e64 v1, null, s1, v1, vcc_lo
	s_clause 0x2
	global_store_b128 v[0:1], v[13:16], off
	global_store_b128 v[0:1], v[9:12], off offset:16
	global_store_b128 v[0:1], v[5:8], off offset:32
                                        ; implicit-def: $vgpr3_vgpr4
                                        ; implicit-def: $vgpr13_vgpr14
                                        ; implicit-def: $vgpr9_vgpr10
                                        ; implicit-def: $vgpr5_vgpr6
.LBB167_26:
	s_wait_alu 0xfffe
	s_and_not1_saveexec_b32 s2, s2
	s_cbranch_execz .LBB167_8
; %bb.27:
	v_lshlrev_b64_e32 v[17:18], 4, v[17:18]
	s_wait_kmcnt 0x0
	s_delay_alu instid0(VALU_DEP_1) | instskip(SKIP_1) | instid1(VALU_DEP_2)
	v_add_co_u32 v29, vcc_lo, s0, v17
	s_wait_alu 0xfffd
	v_add_co_ci_u32_e64 v30, null, s1, v18, vcc_lo
	s_clause 0x2
	global_load_b128 v[17:20], v[29:30], off
	global_load_b128 v[21:24], v[29:30], off offset:16
	global_load_b128 v[25:28], v[29:30], off offset:32
	s_wait_loadcnt 0x2
	v_fma_f64 v[13:14], v[1:2], v[17:18], v[13:14]
	v_fma_f64 v[15:16], v[3:4], v[17:18], v[15:16]
	s_wait_loadcnt 0x1
	v_fma_f64 v[9:10], v[1:2], v[21:22], v[9:10]
	v_fma_f64 v[11:12], v[3:4], v[21:22], v[11:12]
	;; [unrolled: 3-line block ×3, first 2 shown]
	v_fma_f64 v[5:6], -v[3:4], v[19:20], v[13:14]
	v_fma_f64 v[7:8], v[1:2], v[19:20], v[15:16]
	v_fma_f64 v[9:10], -v[3:4], v[23:24], v[9:10]
	v_fma_f64 v[11:12], v[1:2], v[23:24], v[11:12]
	;; [unrolled: 2-line block ×3, first 2 shown]
	s_clause 0x2
	global_store_b128 v[29:30], v[5:8], off
	global_store_b128 v[29:30], v[9:12], off offset:16
	global_store_b128 v[29:30], v[13:16], off offset:32
	s_endpgm
	.section	.rodata,"a",@progbits
	.p2align	6, 0x0
	.amdhsa_kernel _ZN9rocsparseL18bsrxmvn_3x3_kernelILj256ELj16E21rocsparse_complex_numIdEiiS1_IfES2_S2_EEvT3_20rocsparse_direction_NS_24const_host_device_scalarIT1_EES4_PKS4_PKT2_SD_SA_PKT4_PKT5_S8_PT6_21rocsparse_index_base_b
		.amdhsa_group_segment_fixed_size 0
		.amdhsa_private_segment_fixed_size 0
		.amdhsa_kernarg_size 112
		.amdhsa_user_sgpr_count 2
		.amdhsa_user_sgpr_dispatch_ptr 0
		.amdhsa_user_sgpr_queue_ptr 0
		.amdhsa_user_sgpr_kernarg_segment_ptr 1
		.amdhsa_user_sgpr_dispatch_id 0
		.amdhsa_user_sgpr_private_segment_size 0
		.amdhsa_wavefront_size32 1
		.amdhsa_uses_dynamic_stack 0
		.amdhsa_enable_private_segment 0
		.amdhsa_system_sgpr_workgroup_id_x 1
		.amdhsa_system_sgpr_workgroup_id_y 0
		.amdhsa_system_sgpr_workgroup_id_z 0
		.amdhsa_system_sgpr_workgroup_info 0
		.amdhsa_system_vgpr_workitem_id 0
		.amdhsa_next_free_vgpr 71
		.amdhsa_next_free_sgpr 14
		.amdhsa_reserve_vcc 1
		.amdhsa_float_round_mode_32 0
		.amdhsa_float_round_mode_16_64 0
		.amdhsa_float_denorm_mode_32 3
		.amdhsa_float_denorm_mode_16_64 3
		.amdhsa_fp16_overflow 0
		.amdhsa_workgroup_processor_mode 1
		.amdhsa_memory_ordered 1
		.amdhsa_forward_progress 1
		.amdhsa_inst_pref_size 26
		.amdhsa_round_robin_scheduling 0
		.amdhsa_exception_fp_ieee_invalid_op 0
		.amdhsa_exception_fp_denorm_src 0
		.amdhsa_exception_fp_ieee_div_zero 0
		.amdhsa_exception_fp_ieee_overflow 0
		.amdhsa_exception_fp_ieee_underflow 0
		.amdhsa_exception_fp_ieee_inexact 0
		.amdhsa_exception_int_div_zero 0
	.end_amdhsa_kernel
	.section	.text._ZN9rocsparseL18bsrxmvn_3x3_kernelILj256ELj16E21rocsparse_complex_numIdEiiS1_IfES2_S2_EEvT3_20rocsparse_direction_NS_24const_host_device_scalarIT1_EES4_PKS4_PKT2_SD_SA_PKT4_PKT5_S8_PT6_21rocsparse_index_base_b,"axG",@progbits,_ZN9rocsparseL18bsrxmvn_3x3_kernelILj256ELj16E21rocsparse_complex_numIdEiiS1_IfES2_S2_EEvT3_20rocsparse_direction_NS_24const_host_device_scalarIT1_EES4_PKS4_PKT2_SD_SA_PKT4_PKT5_S8_PT6_21rocsparse_index_base_b,comdat
.Lfunc_end167:
	.size	_ZN9rocsparseL18bsrxmvn_3x3_kernelILj256ELj16E21rocsparse_complex_numIdEiiS1_IfES2_S2_EEvT3_20rocsparse_direction_NS_24const_host_device_scalarIT1_EES4_PKS4_PKT2_SD_SA_PKT4_PKT5_S8_PT6_21rocsparse_index_base_b, .Lfunc_end167-_ZN9rocsparseL18bsrxmvn_3x3_kernelILj256ELj16E21rocsparse_complex_numIdEiiS1_IfES2_S2_EEvT3_20rocsparse_direction_NS_24const_host_device_scalarIT1_EES4_PKS4_PKT2_SD_SA_PKT4_PKT5_S8_PT6_21rocsparse_index_base_b
                                        ; -- End function
	.set _ZN9rocsparseL18bsrxmvn_3x3_kernelILj256ELj16E21rocsparse_complex_numIdEiiS1_IfES2_S2_EEvT3_20rocsparse_direction_NS_24const_host_device_scalarIT1_EES4_PKS4_PKT2_SD_SA_PKT4_PKT5_S8_PT6_21rocsparse_index_base_b.num_vgpr, 71
	.set _ZN9rocsparseL18bsrxmvn_3x3_kernelILj256ELj16E21rocsparse_complex_numIdEiiS1_IfES2_S2_EEvT3_20rocsparse_direction_NS_24const_host_device_scalarIT1_EES4_PKS4_PKT2_SD_SA_PKT4_PKT5_S8_PT6_21rocsparse_index_base_b.num_agpr, 0
	.set _ZN9rocsparseL18bsrxmvn_3x3_kernelILj256ELj16E21rocsparse_complex_numIdEiiS1_IfES2_S2_EEvT3_20rocsparse_direction_NS_24const_host_device_scalarIT1_EES4_PKS4_PKT2_SD_SA_PKT4_PKT5_S8_PT6_21rocsparse_index_base_b.numbered_sgpr, 14
	.set _ZN9rocsparseL18bsrxmvn_3x3_kernelILj256ELj16E21rocsparse_complex_numIdEiiS1_IfES2_S2_EEvT3_20rocsparse_direction_NS_24const_host_device_scalarIT1_EES4_PKS4_PKT2_SD_SA_PKT4_PKT5_S8_PT6_21rocsparse_index_base_b.num_named_barrier, 0
	.set _ZN9rocsparseL18bsrxmvn_3x3_kernelILj256ELj16E21rocsparse_complex_numIdEiiS1_IfES2_S2_EEvT3_20rocsparse_direction_NS_24const_host_device_scalarIT1_EES4_PKS4_PKT2_SD_SA_PKT4_PKT5_S8_PT6_21rocsparse_index_base_b.private_seg_size, 0
	.set _ZN9rocsparseL18bsrxmvn_3x3_kernelILj256ELj16E21rocsparse_complex_numIdEiiS1_IfES2_S2_EEvT3_20rocsparse_direction_NS_24const_host_device_scalarIT1_EES4_PKS4_PKT2_SD_SA_PKT4_PKT5_S8_PT6_21rocsparse_index_base_b.uses_vcc, 1
	.set _ZN9rocsparseL18bsrxmvn_3x3_kernelILj256ELj16E21rocsparse_complex_numIdEiiS1_IfES2_S2_EEvT3_20rocsparse_direction_NS_24const_host_device_scalarIT1_EES4_PKS4_PKT2_SD_SA_PKT4_PKT5_S8_PT6_21rocsparse_index_base_b.uses_flat_scratch, 0
	.set _ZN9rocsparseL18bsrxmvn_3x3_kernelILj256ELj16E21rocsparse_complex_numIdEiiS1_IfES2_S2_EEvT3_20rocsparse_direction_NS_24const_host_device_scalarIT1_EES4_PKS4_PKT2_SD_SA_PKT4_PKT5_S8_PT6_21rocsparse_index_base_b.has_dyn_sized_stack, 0
	.set _ZN9rocsparseL18bsrxmvn_3x3_kernelILj256ELj16E21rocsparse_complex_numIdEiiS1_IfES2_S2_EEvT3_20rocsparse_direction_NS_24const_host_device_scalarIT1_EES4_PKS4_PKT2_SD_SA_PKT4_PKT5_S8_PT6_21rocsparse_index_base_b.has_recursion, 0
	.set _ZN9rocsparseL18bsrxmvn_3x3_kernelILj256ELj16E21rocsparse_complex_numIdEiiS1_IfES2_S2_EEvT3_20rocsparse_direction_NS_24const_host_device_scalarIT1_EES4_PKS4_PKT2_SD_SA_PKT4_PKT5_S8_PT6_21rocsparse_index_base_b.has_indirect_call, 0
	.section	.AMDGPU.csdata,"",@progbits
; Kernel info:
; codeLenInByte = 3308
; TotalNumSgprs: 16
; NumVgprs: 71
; ScratchSize: 0
; MemoryBound: 0
; FloatMode: 240
; IeeeMode: 1
; LDSByteSize: 0 bytes/workgroup (compile time only)
; SGPRBlocks: 0
; VGPRBlocks: 8
; NumSGPRsForWavesPerEU: 16
; NumVGPRsForWavesPerEU: 71
; Occupancy: 16
; WaveLimiterHint : 1
; COMPUTE_PGM_RSRC2:SCRATCH_EN: 0
; COMPUTE_PGM_RSRC2:USER_SGPR: 2
; COMPUTE_PGM_RSRC2:TRAP_HANDLER: 0
; COMPUTE_PGM_RSRC2:TGID_X_EN: 1
; COMPUTE_PGM_RSRC2:TGID_Y_EN: 0
; COMPUTE_PGM_RSRC2:TGID_Z_EN: 0
; COMPUTE_PGM_RSRC2:TIDIG_COMP_CNT: 0
	.section	.text._ZN9rocsparseL18bsrxmvn_3x3_kernelILj256ELj32E21rocsparse_complex_numIdEiiS1_IfES2_S2_EEvT3_20rocsparse_direction_NS_24const_host_device_scalarIT1_EES4_PKS4_PKT2_SD_SA_PKT4_PKT5_S8_PT6_21rocsparse_index_base_b,"axG",@progbits,_ZN9rocsparseL18bsrxmvn_3x3_kernelILj256ELj32E21rocsparse_complex_numIdEiiS1_IfES2_S2_EEvT3_20rocsparse_direction_NS_24const_host_device_scalarIT1_EES4_PKS4_PKT2_SD_SA_PKT4_PKT5_S8_PT6_21rocsparse_index_base_b,comdat
	.globl	_ZN9rocsparseL18bsrxmvn_3x3_kernelILj256ELj32E21rocsparse_complex_numIdEiiS1_IfES2_S2_EEvT3_20rocsparse_direction_NS_24const_host_device_scalarIT1_EES4_PKS4_PKT2_SD_SA_PKT4_PKT5_S8_PT6_21rocsparse_index_base_b ; -- Begin function _ZN9rocsparseL18bsrxmvn_3x3_kernelILj256ELj32E21rocsparse_complex_numIdEiiS1_IfES2_S2_EEvT3_20rocsparse_direction_NS_24const_host_device_scalarIT1_EES4_PKS4_PKT2_SD_SA_PKT4_PKT5_S8_PT6_21rocsparse_index_base_b
	.p2align	8
	.type	_ZN9rocsparseL18bsrxmvn_3x3_kernelILj256ELj32E21rocsparse_complex_numIdEiiS1_IfES2_S2_EEvT3_20rocsparse_direction_NS_24const_host_device_scalarIT1_EES4_PKS4_PKT2_SD_SA_PKT4_PKT5_S8_PT6_21rocsparse_index_base_b,@function
_ZN9rocsparseL18bsrxmvn_3x3_kernelILj256ELj32E21rocsparse_complex_numIdEiiS1_IfES2_S2_EEvT3_20rocsparse_direction_NS_24const_host_device_scalarIT1_EES4_PKS4_PKT2_SD_SA_PKT4_PKT5_S8_PT6_21rocsparse_index_base_b: ; @_ZN9rocsparseL18bsrxmvn_3x3_kernelILj256ELj32E21rocsparse_complex_numIdEiiS1_IfES2_S2_EEvT3_20rocsparse_direction_NS_24const_host_device_scalarIT1_EES4_PKS4_PKT2_SD_SA_PKT4_PKT5_S8_PT6_21rocsparse_index_base_b
; %bb.0:
	s_clause 0x1
	s_load_b64 s[12:13], s[0:1], 0x68
	s_load_b64 s[2:3], s[0:1], 0x8
	s_add_nc_u64 s[4:5], s[0:1], 8
	s_load_b64 s[6:7], s[0:1], 0x50
	s_wait_kmcnt 0x0
	s_bitcmp1_b32 s13, 0
	s_cselect_b32 s2, s4, s2
	s_cselect_b32 s3, s5, s3
	s_delay_alu instid0(SALU_CYCLE_1)
	v_dual_mov_b32 v1, s2 :: v_dual_mov_b32 v2, s3
	s_add_nc_u64 s[2:3], s[0:1], 0x50
	s_wait_alu 0xfffe
	s_cselect_b32 s2, s2, s6
	s_cselect_b32 s3, s3, s7
	flat_load_b128 v[5:8], v[1:2]
	s_wait_alu 0xfffe
	v_dual_mov_b32 v1, s2 :: v_dual_mov_b32 v2, s3
	flat_load_b128 v[1:4], v[1:2]
	s_wait_loadcnt_dscnt 0x101
	v_cmp_eq_f64_e32 vcc_lo, 0, v[5:6]
	v_cmp_eq_f64_e64 s2, 0, v[7:8]
	s_and_b32 s4, vcc_lo, s2
	s_mov_b32 s2, -1
	s_and_saveexec_b32 s3, s4
	s_cbranch_execz .LBB168_2
; %bb.1:
	s_wait_loadcnt_dscnt 0x0
	v_cmp_neq_f64_e32 vcc_lo, 1.0, v[1:2]
	v_cmp_neq_f64_e64 s2, 0, v[3:4]
	s_wait_alu 0xfffe
	s_or_b32 s2, vcc_lo, s2
	s_wait_alu 0xfffe
	s_or_not1_b32 s2, s2, exec_lo
.LBB168_2:
	s_wait_alu 0xfffe
	s_or_b32 exec_lo, exec_lo, s3
	s_and_saveexec_b32 s3, s2
	s_cbranch_execz .LBB168_8
; %bb.3:
	s_clause 0x1
	s_load_b64 s[4:5], s[0:1], 0x20
	s_load_b64 s[2:3], s[0:1], 0x0
	v_lshrrev_b32_e32 v9, 5, v0
	s_delay_alu instid0(VALU_DEP_1)
	v_lshl_or_b32 v17, ttmp9, 3, v9
	s_wait_kmcnt 0x0
	s_cmp_lg_u64 s[4:5], 0
	s_cbranch_scc0 .LBB168_9
; %bb.4:
	s_load_b32 s6, s[0:1], 0x18
	s_mov_b32 s7, 0
                                        ; implicit-def: $vgpr9
	s_wait_kmcnt 0x0
	v_cmp_gt_i32_e32 vcc_lo, s6, v17
	s_mov_b32 s6, 0
	s_and_saveexec_b32 s8, vcc_lo
	s_delay_alu instid0(SALU_CYCLE_1)
	s_xor_b32 s8, exec_lo, s8
	s_cbranch_execz .LBB168_6
; %bb.5:
	v_ashrrev_i32_e32 v18, 31, v17
	s_mov_b32 s6, exec_lo
	s_delay_alu instid0(VALU_DEP_1) | instskip(NEXT) | instid1(VALU_DEP_1)
	v_lshlrev_b64_e32 v[9:10], 2, v[17:18]
	v_add_co_u32 v9, vcc_lo, s4, v9
	s_delay_alu instid0(VALU_DEP_1)
	v_add_co_ci_u32_e64 v10, null, s5, v10, vcc_lo
	global_load_b32 v9, v[9:10], off
	s_wait_loadcnt 0x0
	v_subrev_nc_u32_e32 v9, s12, v9
.LBB168_6:
	s_or_b32 exec_lo, exec_lo, s8
	s_delay_alu instid0(SALU_CYCLE_1)
	s_and_b32 vcc_lo, exec_lo, s7
	s_wait_alu 0xfffe
	s_cbranch_vccz .LBB168_10
.LBB168_7:
	v_cmp_gt_i32_e32 vcc_lo, s2, v17
	s_and_not1_b32 s2, s6, exec_lo
	s_and_b32 s4, vcc_lo, exec_lo
	s_wait_alu 0xfffe
	s_or_b32 s6, s2, s4
	s_wait_alu 0xfffe
	s_and_b32 exec_lo, exec_lo, s6
	s_cbranch_execnz .LBB168_11
.LBB168_8:
	s_endpgm
.LBB168_9:
	s_mov_b32 s6, 0
                                        ; implicit-def: $vgpr9
	s_cbranch_execnz .LBB168_7
.LBB168_10:
	v_mov_b32_e32 v17, v9
	s_and_b32 exec_lo, exec_lo, s6
	s_cbranch_execz .LBB168_8
.LBB168_11:
	s_load_b256 s[4:11], s[0:1], 0x28
	s_delay_alu instid0(VALU_DEP_1) | instskip(SKIP_1) | instid1(VALU_DEP_2)
	v_ashrrev_i32_e32 v18, 31, v17
	v_and_b32_e32 v0, 31, v0
	v_lshlrev_b64_e32 v[9:10], 2, v[17:18]
	s_wait_kmcnt 0x0
	s_delay_alu instid0(VALU_DEP_1) | instskip(SKIP_1) | instid1(VALU_DEP_2)
	v_add_co_u32 v11, vcc_lo, s4, v9
	s_wait_alu 0xfffd
	v_add_co_ci_u32_e64 v12, null, s5, v10, vcc_lo
	v_add_co_u32 v9, vcc_lo, s6, v9
	s_wait_alu 0xfffd
	v_add_co_ci_u32_e64 v10, null, s7, v10, vcc_lo
	;; [unrolled: 3-line block ×3, first 2 shown]
	s_cmp_eq_u64 s[6:7], 0
	global_load_b32 v11, v[11:12], off
	s_cselect_b32 vcc_lo, -1, 0
	s_load_b64 s[4:5], s[0:1], 0x48
	v_dual_cndmask_b32 v10, v10, v14 :: v_dual_cndmask_b32 v9, v9, v13
	s_cmp_eq_u32 s3, 1
	global_load_b32 v9, v[9:10], off
	s_wait_loadcnt 0x1
	v_subrev_nc_u32_e32 v10, s12, v11
	s_delay_alu instid0(VALU_DEP_1) | instskip(SKIP_2) | instid1(VALU_DEP_2)
	v_add_nc_u32_e32 v22, v10, v0
	s_wait_loadcnt 0x0
	v_subrev_nc_u32_e32 v30, s12, v9
	v_mad_co_i64_i32 v[24:25], null, 0x48, v22, s[10:11]
	s_delay_alu instid0(VALU_DEP_2)
	v_cmp_lt_i32_e64 s2, v22, v30
	s_cbranch_scc1 .LBB168_17
; %bb.12:
	v_mov_b32_e32 v9, 0
	v_dual_mov_b32 v13, 0 :: v_dual_mov_b32 v18, 0
	v_dual_mov_b32 v10, 0 :: v_dual_mov_b32 v11, 0
	;; [unrolled: 1-line block ×4, first 2 shown]
	v_mov_b32_e32 v12, 0
	v_dual_mov_b32 v16, 0 :: v_dual_mov_b32 v21, 0
	s_and_saveexec_b32 s6, s2
	s_cbranch_execz .LBB168_16
; %bb.13:
	v_dual_mov_b32 v9, 0 :: v_dual_mov_b32 v26, v22
	v_dual_mov_b32 v10, 0 :: v_dual_mov_b32 v11, 0
	;; [unrolled: 1-line block ×4, first 2 shown]
	v_mov_b32_e32 v18, 0
	v_dual_mov_b32 v20, 0 :: v_dual_mov_b32 v29, v25
	v_dual_mov_b32 v16, 0 :: v_dual_mov_b32 v19, 0
	;; [unrolled: 1-line block ×3, first 2 shown]
	s_mov_b32 s7, 0
.LBB168_14:                             ; =>This Inner Loop Header: Depth=1
	v_ashrrev_i32_e32 v27, 31, v26
	s_delay_alu instid0(VALU_DEP_1) | instskip(SKIP_1) | instid1(VALU_DEP_2)
	v_lshlrev_b64_e32 v[31:32], 2, v[26:27]
	v_add_nc_u32_e32 v26, 32, v26
	v_add_co_u32 v31, vcc_lo, s8, v31
	s_wait_alu 0xfffd
	s_delay_alu instid0(VALU_DEP_3)
	v_add_co_ci_u32_e64 v32, null, s9, v32, vcc_lo
	global_load_b32 v23, v[31:32], off
	s_clause 0x2
	global_load_b128 v[31:34], v[28:29], off
	global_load_b128 v[35:38], v[28:29], off offset:16
	global_load_b128 v[39:42], v[28:29], off offset:48
	s_wait_loadcnt 0x3
	v_subrev_nc_u32_e32 v23, s12, v23
	s_wait_loadcnt 0x2
	v_cvt_f64_f32_e32 v[61:62], v31
	v_cvt_f64_f32_e32 v[31:32], v32
	s_wait_loadcnt 0x1
	v_cvt_f64_f32_e32 v[63:64], v37
	v_cvt_f64_f32_e32 v[37:38], v38
	v_lshl_add_u32 v43, v23, 1, v23
	s_wait_loadcnt 0x0
	v_cvt_f64_f32_e32 v[65:66], v39
	v_cvt_f64_f32_e32 v[39:40], v40
	;; [unrolled: 1-line block ×4, first 2 shown]
	v_ashrrev_i32_e32 v44, 31, v43
	s_delay_alu instid0(VALU_DEP_1) | instskip(SKIP_1) | instid1(VALU_DEP_1)
	v_lshlrev_b64_e32 v[43:44], 4, v[43:44]
	s_wait_kmcnt 0x0
	v_add_co_u32 v55, vcc_lo, s4, v43
	s_wait_alu 0xfffd
	s_delay_alu instid0(VALU_DEP_2)
	v_add_co_ci_u32_e64 v56, null, s5, v44, vcc_lo
	v_cmp_ge_i32_e32 vcc_lo, v26, v30
	s_clause 0x1
	global_load_b128 v[43:46], v[55:56], off
	global_load_b128 v[47:50], v[55:56], off offset:16
	s_clause 0x1
	global_load_b128 v[51:54], v[28:29], off offset:32
	global_load_b64 v[59:60], v[28:29], off offset:64
	global_load_b128 v[55:58], v[55:56], off offset:32
	v_add_co_u32 v28, s3, 0x900, v28
	s_wait_alu 0xf1ff
	v_add_co_ci_u32_e64 v29, null, 0, v29, s3
	s_wait_alu 0xfffe
	s_or_b32 s7, vcc_lo, s7
	s_wait_loadcnt 0x4
	v_fma_f64 v[11:12], v[61:62], v[43:44], v[11:12]
	v_fma_f64 v[9:10], v[31:32], v[43:44], v[9:10]
	;; [unrolled: 1-line block ×6, first 2 shown]
	v_cvt_f64_f32_e32 v[43:44], v33
	v_cvt_f64_f32_e32 v[33:34], v34
	s_wait_loadcnt 0x2
	v_cvt_f64_f32_e32 v[67:68], v51
	v_cvt_f64_f32_e32 v[51:52], v52
	v_fma_f64 v[11:12], -v[31:32], v[45:46], v[11:12]
	v_fma_f64 v[9:10], v[61:62], v[45:46], v[9:10]
	v_fma_f64 v[15:16], -v[37:38], v[45:46], v[15:16]
	v_fma_f64 v[13:14], v[63:64], v[45:46], v[13:14]
	;; [unrolled: 2-line block ×3, first 2 shown]
	v_cvt_f64_f32_e32 v[31:32], v35
	v_cvt_f64_f32_e32 v[35:36], v36
	v_cvt_f64_f32_e32 v[37:38], v53
	v_cvt_f64_f32_e32 v[39:40], v54
	s_wait_loadcnt 0x1
	v_cvt_f64_f32_e32 v[45:46], v59
	v_fma_f64 v[11:12], v[43:44], v[47:48], v[11:12]
	v_fma_f64 v[9:10], v[33:34], v[47:48], v[9:10]
	;; [unrolled: 1-line block ×6, first 2 shown]
	v_cvt_f64_f32_e32 v[47:48], v60
	v_fma_f64 v[11:12], -v[33:34], v[49:50], v[11:12]
	v_fma_f64 v[9:10], v[43:44], v[49:50], v[9:10]
	v_fma_f64 v[15:16], -v[51:52], v[49:50], v[15:16]
	v_fma_f64 v[13:14], v[67:68], v[49:50], v[13:14]
	v_fma_f64 v[20:21], -v[41:42], v[49:50], v[20:21]
	v_fma_f64 v[18:19], v[69:70], v[49:50], v[18:19]
	s_wait_loadcnt 0x0
	v_fma_f64 v[11:12], v[31:32], v[55:56], v[11:12]
	v_fma_f64 v[9:10], v[35:36], v[55:56], v[9:10]
	;; [unrolled: 1-line block ×6, first 2 shown]
	v_fma_f64 v[11:12], -v[35:36], v[57:58], v[11:12]
	v_fma_f64 v[9:10], v[31:32], v[57:58], v[9:10]
	v_fma_f64 v[15:16], -v[39:40], v[57:58], v[15:16]
	v_fma_f64 v[13:14], v[37:38], v[57:58], v[13:14]
	;; [unrolled: 2-line block ×3, first 2 shown]
	s_wait_alu 0xfffe
	s_and_not1_b32 exec_lo, exec_lo, s7
	s_cbranch_execnz .LBB168_14
; %bb.15:
	s_or_b32 exec_lo, exec_lo, s7
.LBB168_16:
	s_wait_alu 0xfffe
	s_or_b32 exec_lo, exec_lo, s6
	s_cbranch_execz .LBB168_18
	s_branch .LBB168_23
.LBB168_17:
                                        ; implicit-def: $vgpr9_vgpr10
                                        ; implicit-def: $vgpr11_vgpr12
                                        ; implicit-def: $vgpr13_vgpr14
                                        ; implicit-def: $vgpr15_vgpr16
                                        ; implicit-def: $vgpr18_vgpr19
                                        ; implicit-def: $vgpr20_vgpr21
.LBB168_18:
	v_mov_b32_e32 v9, 0
	v_dual_mov_b32 v13, 0 :: v_dual_mov_b32 v18, 0
	v_dual_mov_b32 v10, 0 :: v_dual_mov_b32 v11, 0
	;; [unrolled: 1-line block ×4, first 2 shown]
	v_mov_b32_e32 v12, 0
	v_dual_mov_b32 v16, 0 :: v_dual_mov_b32 v21, 0
	s_and_saveexec_b32 s3, s2
	s_cbranch_execz .LBB168_22
; %bb.19:
	v_mov_b32_e32 v9, 0
	v_dual_mov_b32 v13, 0 :: v_dual_mov_b32 v18, 0
	v_dual_mov_b32 v10, 0 :: v_dual_mov_b32 v11, 0
	;; [unrolled: 1-line block ×4, first 2 shown]
	v_mov_b32_e32 v12, 0
	v_dual_mov_b32 v16, 0 :: v_dual_mov_b32 v21, 0
	s_mov_b32 s6, 0
.LBB168_20:                             ; =>This Inner Loop Header: Depth=1
	v_ashrrev_i32_e32 v23, 31, v22
	s_delay_alu instid0(VALU_DEP_1) | instskip(SKIP_1) | instid1(VALU_DEP_2)
	v_lshlrev_b64_e32 v[26:27], 2, v[22:23]
	v_add_nc_u32_e32 v22, 32, v22
	v_add_co_u32 v26, vcc_lo, s8, v26
	s_wait_alu 0xfffd
	s_delay_alu instid0(VALU_DEP_3)
	v_add_co_ci_u32_e64 v27, null, s9, v27, vcc_lo
	global_load_b32 v23, v[26:27], off
	s_clause 0x1
	global_load_b128 v[26:29], v[24:25], off
	global_load_b128 v[31:34], v[24:25], off offset:16
	s_wait_loadcnt 0x2
	v_subrev_nc_u32_e32 v23, s12, v23
	s_wait_loadcnt 0x1
	v_cvt_f64_f32_e32 v[57:58], v26
	v_cvt_f64_f32_e32 v[26:27], v27
	;; [unrolled: 1-line block ×4, first 2 shown]
	v_lshl_add_u32 v35, v23, 1, v23
	s_wait_loadcnt 0x0
	v_cvt_f64_f32_e32 v[61:62], v31
	v_cvt_f64_f32_e32 v[31:32], v32
	s_delay_alu instid0(VALU_DEP_3) | instskip(NEXT) | instid1(VALU_DEP_1)
	v_ashrrev_i32_e32 v36, 31, v35
	v_lshlrev_b64_e32 v[35:36], 4, v[35:36]
	s_wait_kmcnt 0x0
	s_delay_alu instid0(VALU_DEP_1) | instskip(SKIP_1) | instid1(VALU_DEP_2)
	v_add_co_u32 v51, vcc_lo, s4, v35
	s_wait_alu 0xfffd
	v_add_co_ci_u32_e64 v52, null, s5, v36, vcc_lo
	v_cmp_ge_i32_e32 vcc_lo, v22, v30
	s_clause 0x1
	global_load_b128 v[35:38], v[51:52], off
	global_load_b128 v[39:42], v[51:52], off offset:16
	s_clause 0x2
	global_load_b128 v[43:46], v[24:25], off offset:32
	global_load_b128 v[47:50], v[24:25], off offset:48
	global_load_b64 v[55:56], v[24:25], off offset:64
	global_load_b128 v[51:54], v[51:52], off offset:32
	v_add_co_u32 v24, s2, 0x900, v24
	s_wait_alu 0xf1ff
	v_add_co_ci_u32_e64 v25, null, 0, v25, s2
	s_wait_alu 0xfffe
	s_or_b32 s6, vcc_lo, s6
	s_wait_loadcnt 0x5
	v_fma_f64 v[11:12], v[57:58], v[35:36], v[11:12]
	v_fma_f64 v[9:10], v[26:27], v[35:36], v[9:10]
	;; [unrolled: 1-line block ×6, first 2 shown]
	v_cvt_f64_f32_e32 v[35:36], v33
	v_cvt_f64_f32_e32 v[33:34], v34
	s_wait_loadcnt 0x3
	v_cvt_f64_f32_e32 v[63:64], v43
	v_cvt_f64_f32_e32 v[43:44], v44
	;; [unrolled: 1-line block ×4, first 2 shown]
	v_fma_f64 v[11:12], -v[26:27], v[37:38], v[11:12]
	v_fma_f64 v[9:10], v[57:58], v[37:38], v[9:10]
	v_fma_f64 v[15:16], -v[28:29], v[37:38], v[15:16]
	v_fma_f64 v[13:14], v[59:60], v[37:38], v[13:14]
	;; [unrolled: 2-line block ×3, first 2 shown]
	s_wait_loadcnt 0x2
	v_cvt_f64_f32_e32 v[26:27], v47
	v_cvt_f64_f32_e32 v[28:29], v48
	;; [unrolled: 1-line block ×4, first 2 shown]
	s_wait_loadcnt 0x1
	v_cvt_f64_f32_e32 v[47:48], v56
	v_fma_f64 v[11:12], v[35:36], v[39:40], v[11:12]
	v_fma_f64 v[9:10], v[33:34], v[39:40], v[9:10]
	;; [unrolled: 1-line block ×6, first 2 shown]
	v_cvt_f64_f32_e32 v[39:40], v55
	v_fma_f64 v[11:12], -v[33:34], v[41:42], v[11:12]
	v_fma_f64 v[9:10], v[35:36], v[41:42], v[9:10]
	v_fma_f64 v[15:16], -v[43:44], v[41:42], v[15:16]
	v_fma_f64 v[13:14], v[63:64], v[41:42], v[13:14]
	;; [unrolled: 2-line block ×3, first 2 shown]
	s_wait_loadcnt 0x0
	v_fma_f64 v[11:12], v[26:27], v[51:52], v[11:12]
	v_fma_f64 v[9:10], v[28:29], v[51:52], v[9:10]
	v_fma_f64 v[15:16], v[31:32], v[51:52], v[15:16]
	v_fma_f64 v[13:14], v[37:38], v[51:52], v[13:14]
	v_fma_f64 v[20:21], v[39:40], v[51:52], v[20:21]
	v_fma_f64 v[18:19], v[47:48], v[51:52], v[18:19]
	v_fma_f64 v[11:12], -v[28:29], v[53:54], v[11:12]
	v_fma_f64 v[9:10], v[26:27], v[53:54], v[9:10]
	v_fma_f64 v[15:16], -v[37:38], v[53:54], v[15:16]
	v_fma_f64 v[13:14], v[31:32], v[53:54], v[13:14]
	;; [unrolled: 2-line block ×3, first 2 shown]
	s_wait_alu 0xfffe
	s_and_not1_b32 exec_lo, exec_lo, s6
	s_cbranch_execnz .LBB168_20
; %bb.21:
	s_or_b32 exec_lo, exec_lo, s6
.LBB168_22:
	s_wait_alu 0xfffe
	s_or_b32 exec_lo, exec_lo, s3
.LBB168_23:
	v_mbcnt_lo_u32_b32 v34, -1, 0
	s_delay_alu instid0(VALU_DEP_1) | instskip(NEXT) | instid1(VALU_DEP_1)
	v_xor_b32_e32 v22, 16, v34
	v_cmp_gt_i32_e32 vcc_lo, 32, v22
	s_wait_alu 0xfffd
	v_cndmask_b32_e32 v22, v34, v22, vcc_lo
	s_delay_alu instid0(VALU_DEP_1)
	v_lshlrev_b32_e32 v33, 2, v22
	ds_bpermute_b32 v22, v33, v11
	ds_bpermute_b32 v23, v33, v12
	ds_bpermute_b32 v24, v33, v9
	ds_bpermute_b32 v25, v33, v10
	ds_bpermute_b32 v26, v33, v15
	ds_bpermute_b32 v27, v33, v16
	ds_bpermute_b32 v28, v33, v13
	ds_bpermute_b32 v29, v33, v14
	ds_bpermute_b32 v30, v33, v20
	ds_bpermute_b32 v31, v33, v21
	ds_bpermute_b32 v32, v33, v18
	ds_bpermute_b32 v33, v33, v19
	s_wait_dscnt 0xa
	v_add_f64_e32 v[11:12], v[11:12], v[22:23]
	v_xor_b32_e32 v22, 8, v34
	s_wait_dscnt 0x8
	v_add_f64_e32 v[9:10], v[9:10], v[24:25]
	s_wait_dscnt 0x6
	v_add_f64_e32 v[15:16], v[15:16], v[26:27]
	;; [unrolled: 2-line block ×3, first 2 shown]
	v_cmp_gt_i32_e32 vcc_lo, 32, v22
	s_wait_dscnt 0x2
	v_add_f64_e32 v[20:21], v[20:21], v[30:31]
	s_wait_dscnt 0x0
	v_add_f64_e32 v[18:19], v[18:19], v[32:33]
	s_wait_alu 0xfffd
	v_cndmask_b32_e32 v22, v34, v22, vcc_lo
	s_delay_alu instid0(VALU_DEP_1)
	v_lshlrev_b32_e32 v33, 2, v22
	ds_bpermute_b32 v22, v33, v11
	ds_bpermute_b32 v23, v33, v12
	;; [unrolled: 1-line block ×12, first 2 shown]
	s_wait_dscnt 0xa
	v_add_f64_e32 v[11:12], v[11:12], v[22:23]
	v_xor_b32_e32 v22, 4, v34
	s_wait_dscnt 0x8
	v_add_f64_e32 v[9:10], v[9:10], v[24:25]
	s_wait_dscnt 0x6
	v_add_f64_e32 v[15:16], v[15:16], v[26:27]
	;; [unrolled: 2-line block ×3, first 2 shown]
	v_cmp_gt_i32_e32 vcc_lo, 32, v22
	s_wait_dscnt 0x2
	v_add_f64_e32 v[20:21], v[20:21], v[30:31]
	s_wait_dscnt 0x0
	v_add_f64_e32 v[18:19], v[18:19], v[32:33]
	s_wait_alu 0xfffd
	v_cndmask_b32_e32 v22, v34, v22, vcc_lo
	s_delay_alu instid0(VALU_DEP_1)
	v_lshlrev_b32_e32 v33, 2, v22
	ds_bpermute_b32 v22, v33, v11
	ds_bpermute_b32 v23, v33, v12
	;; [unrolled: 1-line block ×12, first 2 shown]
	s_wait_dscnt 0xa
	v_add_f64_e32 v[11:12], v[11:12], v[22:23]
	s_wait_dscnt 0x8
	v_add_f64_e32 v[22:23], v[9:10], v[24:25]
	v_xor_b32_e32 v9, 2, v34
	s_wait_dscnt 0x6
	v_add_f64_e32 v[15:16], v[15:16], v[26:27]
	s_wait_dscnt 0x4
	v_add_f64_e32 v[13:14], v[13:14], v[28:29]
	s_wait_dscnt 0x2
	v_add_f64_e32 v[20:21], v[20:21], v[30:31]
	v_cmp_gt_i32_e32 vcc_lo, 32, v9
	s_wait_dscnt 0x0
	v_add_f64_e32 v[24:25], v[18:19], v[32:33]
	s_wait_alu 0xfffd
	v_cndmask_b32_e32 v9, v34, v9, vcc_lo
	s_delay_alu instid0(VALU_DEP_1)
	v_lshlrev_b32_e32 v33, 2, v9
	ds_bpermute_b32 v9, v33, v11
	ds_bpermute_b32 v10, v33, v12
	;; [unrolled: 1-line block ×12, first 2 shown]
	s_wait_dscnt 0xa
	v_add_f64_e32 v[9:10], v[11:12], v[9:10]
	s_wait_dscnt 0x8
	v_add_f64_e32 v[22:23], v[22:23], v[18:19]
	;; [unrolled: 2-line block ×5, first 2 shown]
	v_xor_b32_e32 v20, 1, v34
	s_wait_dscnt 0x0
	v_add_f64_e32 v[15:16], v[24:25], v[32:33]
	s_delay_alu instid0(VALU_DEP_2) | instskip(SKIP_3) | instid1(VALU_DEP_2)
	v_cmp_gt_i32_e32 vcc_lo, 32, v20
	s_wait_alu 0xfffd
	v_cndmask_b32_e32 v20, v34, v20, vcc_lo
	v_cmp_eq_u32_e32 vcc_lo, 31, v0
	v_lshlrev_b32_e32 v29, 2, v20
	ds_bpermute_b32 v20, v29, v9
	ds_bpermute_b32 v21, v29, v10
	;; [unrolled: 1-line block ×12, first 2 shown]
	s_and_b32 exec_lo, exec_lo, vcc_lo
	s_cbranch_execz .LBB168_8
; %bb.24:
	s_wait_dscnt 0x8
	v_add_f64_e32 v[22:23], v[22:23], v[32:33]
	s_wait_dscnt 0x4
	v_add_f64_e32 v[18:19], v[18:19], v[30:31]
	;; [unrolled: 2-line block ×3, first 2 shown]
	v_add_f64_e32 v[9:10], v[9:10], v[20:21]
	v_add_f64_e32 v[11:12], v[11:12], v[24:25]
	;; [unrolled: 1-line block ×3, first 2 shown]
	v_cmp_eq_f64_e32 vcc_lo, 0, v[1:2]
	v_cmp_eq_f64_e64 s2, 0, v[3:4]
	s_load_b64 s[0:1], s[0:1], 0x60
	v_lshl_add_u32 v17, v17, 1, v17
	v_mul_f64_e64 v[13:14], v[22:23], -v[7:8]
	v_mul_f64_e32 v[22:23], v[5:6], v[22:23]
	v_mul_f64_e64 v[24:25], v[18:19], -v[7:8]
	v_mul_f64_e32 v[18:19], v[5:6], v[18:19]
	;; [unrolled: 2-line block ×3, first 2 shown]
	s_and_b32 s2, vcc_lo, s2
	v_fma_f64 v[13:14], v[5:6], v[9:10], v[13:14]
	v_fma_f64 v[15:16], v[7:8], v[9:10], v[22:23]
	;; [unrolled: 1-line block ×6, first 2 shown]
	v_ashrrev_i32_e32 v18, 31, v17
	s_wait_alu 0xfffe
	s_and_saveexec_b32 s3, s2
	s_wait_alu 0xfffe
	s_xor_b32 s2, exec_lo, s3
	s_cbranch_execz .LBB168_26
; %bb.25:
	v_lshlrev_b64_e32 v[0:1], 4, v[17:18]
                                        ; implicit-def: $vgpr17
	s_wait_kmcnt 0x0
	s_delay_alu instid0(VALU_DEP_1) | instskip(SKIP_1) | instid1(VALU_DEP_2)
	v_add_co_u32 v0, vcc_lo, s0, v0
	s_wait_alu 0xfffd
	v_add_co_ci_u32_e64 v1, null, s1, v1, vcc_lo
	s_clause 0x2
	global_store_b128 v[0:1], v[13:16], off
	global_store_b128 v[0:1], v[9:12], off offset:16
	global_store_b128 v[0:1], v[5:8], off offset:32
                                        ; implicit-def: $vgpr3_vgpr4
                                        ; implicit-def: $vgpr13_vgpr14
                                        ; implicit-def: $vgpr9_vgpr10
                                        ; implicit-def: $vgpr5_vgpr6
.LBB168_26:
	s_wait_alu 0xfffe
	s_and_not1_saveexec_b32 s2, s2
	s_cbranch_execz .LBB168_8
; %bb.27:
	v_lshlrev_b64_e32 v[17:18], 4, v[17:18]
	s_wait_kmcnt 0x0
	s_delay_alu instid0(VALU_DEP_1) | instskip(SKIP_1) | instid1(VALU_DEP_2)
	v_add_co_u32 v29, vcc_lo, s0, v17
	s_wait_alu 0xfffd
	v_add_co_ci_u32_e64 v30, null, s1, v18, vcc_lo
	s_clause 0x2
	global_load_b128 v[17:20], v[29:30], off
	global_load_b128 v[21:24], v[29:30], off offset:16
	global_load_b128 v[25:28], v[29:30], off offset:32
	s_wait_loadcnt 0x2
	v_fma_f64 v[13:14], v[1:2], v[17:18], v[13:14]
	v_fma_f64 v[15:16], v[3:4], v[17:18], v[15:16]
	s_wait_loadcnt 0x1
	v_fma_f64 v[9:10], v[1:2], v[21:22], v[9:10]
	v_fma_f64 v[11:12], v[3:4], v[21:22], v[11:12]
	;; [unrolled: 3-line block ×3, first 2 shown]
	v_fma_f64 v[5:6], -v[3:4], v[19:20], v[13:14]
	v_fma_f64 v[7:8], v[1:2], v[19:20], v[15:16]
	v_fma_f64 v[9:10], -v[3:4], v[23:24], v[9:10]
	v_fma_f64 v[11:12], v[1:2], v[23:24], v[11:12]
	;; [unrolled: 2-line block ×3, first 2 shown]
	s_clause 0x2
	global_store_b128 v[29:30], v[5:8], off
	global_store_b128 v[29:30], v[9:12], off offset:16
	global_store_b128 v[29:30], v[13:16], off offset:32
	s_endpgm
	.section	.rodata,"a",@progbits
	.p2align	6, 0x0
	.amdhsa_kernel _ZN9rocsparseL18bsrxmvn_3x3_kernelILj256ELj32E21rocsparse_complex_numIdEiiS1_IfES2_S2_EEvT3_20rocsparse_direction_NS_24const_host_device_scalarIT1_EES4_PKS4_PKT2_SD_SA_PKT4_PKT5_S8_PT6_21rocsparse_index_base_b
		.amdhsa_group_segment_fixed_size 0
		.amdhsa_private_segment_fixed_size 0
		.amdhsa_kernarg_size 112
		.amdhsa_user_sgpr_count 2
		.amdhsa_user_sgpr_dispatch_ptr 0
		.amdhsa_user_sgpr_queue_ptr 0
		.amdhsa_user_sgpr_kernarg_segment_ptr 1
		.amdhsa_user_sgpr_dispatch_id 0
		.amdhsa_user_sgpr_private_segment_size 0
		.amdhsa_wavefront_size32 1
		.amdhsa_uses_dynamic_stack 0
		.amdhsa_enable_private_segment 0
		.amdhsa_system_sgpr_workgroup_id_x 1
		.amdhsa_system_sgpr_workgroup_id_y 0
		.amdhsa_system_sgpr_workgroup_id_z 0
		.amdhsa_system_sgpr_workgroup_info 0
		.amdhsa_system_vgpr_workitem_id 0
		.amdhsa_next_free_vgpr 71
		.amdhsa_next_free_sgpr 14
		.amdhsa_reserve_vcc 1
		.amdhsa_float_round_mode_32 0
		.amdhsa_float_round_mode_16_64 0
		.amdhsa_float_denorm_mode_32 3
		.amdhsa_float_denorm_mode_16_64 3
		.amdhsa_fp16_overflow 0
		.amdhsa_workgroup_processor_mode 1
		.amdhsa_memory_ordered 1
		.amdhsa_forward_progress 1
		.amdhsa_inst_pref_size 28
		.amdhsa_round_robin_scheduling 0
		.amdhsa_exception_fp_ieee_invalid_op 0
		.amdhsa_exception_fp_denorm_src 0
		.amdhsa_exception_fp_ieee_div_zero 0
		.amdhsa_exception_fp_ieee_overflow 0
		.amdhsa_exception_fp_ieee_underflow 0
		.amdhsa_exception_fp_ieee_inexact 0
		.amdhsa_exception_int_div_zero 0
	.end_amdhsa_kernel
	.section	.text._ZN9rocsparseL18bsrxmvn_3x3_kernelILj256ELj32E21rocsparse_complex_numIdEiiS1_IfES2_S2_EEvT3_20rocsparse_direction_NS_24const_host_device_scalarIT1_EES4_PKS4_PKT2_SD_SA_PKT4_PKT5_S8_PT6_21rocsparse_index_base_b,"axG",@progbits,_ZN9rocsparseL18bsrxmvn_3x3_kernelILj256ELj32E21rocsparse_complex_numIdEiiS1_IfES2_S2_EEvT3_20rocsparse_direction_NS_24const_host_device_scalarIT1_EES4_PKS4_PKT2_SD_SA_PKT4_PKT5_S8_PT6_21rocsparse_index_base_b,comdat
.Lfunc_end168:
	.size	_ZN9rocsparseL18bsrxmvn_3x3_kernelILj256ELj32E21rocsparse_complex_numIdEiiS1_IfES2_S2_EEvT3_20rocsparse_direction_NS_24const_host_device_scalarIT1_EES4_PKS4_PKT2_SD_SA_PKT4_PKT5_S8_PT6_21rocsparse_index_base_b, .Lfunc_end168-_ZN9rocsparseL18bsrxmvn_3x3_kernelILj256ELj32E21rocsparse_complex_numIdEiiS1_IfES2_S2_EEvT3_20rocsparse_direction_NS_24const_host_device_scalarIT1_EES4_PKS4_PKT2_SD_SA_PKT4_PKT5_S8_PT6_21rocsparse_index_base_b
                                        ; -- End function
	.set _ZN9rocsparseL18bsrxmvn_3x3_kernelILj256ELj32E21rocsparse_complex_numIdEiiS1_IfES2_S2_EEvT3_20rocsparse_direction_NS_24const_host_device_scalarIT1_EES4_PKS4_PKT2_SD_SA_PKT4_PKT5_S8_PT6_21rocsparse_index_base_b.num_vgpr, 71
	.set _ZN9rocsparseL18bsrxmvn_3x3_kernelILj256ELj32E21rocsparse_complex_numIdEiiS1_IfES2_S2_EEvT3_20rocsparse_direction_NS_24const_host_device_scalarIT1_EES4_PKS4_PKT2_SD_SA_PKT4_PKT5_S8_PT6_21rocsparse_index_base_b.num_agpr, 0
	.set _ZN9rocsparseL18bsrxmvn_3x3_kernelILj256ELj32E21rocsparse_complex_numIdEiiS1_IfES2_S2_EEvT3_20rocsparse_direction_NS_24const_host_device_scalarIT1_EES4_PKS4_PKT2_SD_SA_PKT4_PKT5_S8_PT6_21rocsparse_index_base_b.numbered_sgpr, 14
	.set _ZN9rocsparseL18bsrxmvn_3x3_kernelILj256ELj32E21rocsparse_complex_numIdEiiS1_IfES2_S2_EEvT3_20rocsparse_direction_NS_24const_host_device_scalarIT1_EES4_PKS4_PKT2_SD_SA_PKT4_PKT5_S8_PT6_21rocsparse_index_base_b.num_named_barrier, 0
	.set _ZN9rocsparseL18bsrxmvn_3x3_kernelILj256ELj32E21rocsparse_complex_numIdEiiS1_IfES2_S2_EEvT3_20rocsparse_direction_NS_24const_host_device_scalarIT1_EES4_PKS4_PKT2_SD_SA_PKT4_PKT5_S8_PT6_21rocsparse_index_base_b.private_seg_size, 0
	.set _ZN9rocsparseL18bsrxmvn_3x3_kernelILj256ELj32E21rocsparse_complex_numIdEiiS1_IfES2_S2_EEvT3_20rocsparse_direction_NS_24const_host_device_scalarIT1_EES4_PKS4_PKT2_SD_SA_PKT4_PKT5_S8_PT6_21rocsparse_index_base_b.uses_vcc, 1
	.set _ZN9rocsparseL18bsrxmvn_3x3_kernelILj256ELj32E21rocsparse_complex_numIdEiiS1_IfES2_S2_EEvT3_20rocsparse_direction_NS_24const_host_device_scalarIT1_EES4_PKS4_PKT2_SD_SA_PKT4_PKT5_S8_PT6_21rocsparse_index_base_b.uses_flat_scratch, 0
	.set _ZN9rocsparseL18bsrxmvn_3x3_kernelILj256ELj32E21rocsparse_complex_numIdEiiS1_IfES2_S2_EEvT3_20rocsparse_direction_NS_24const_host_device_scalarIT1_EES4_PKS4_PKT2_SD_SA_PKT4_PKT5_S8_PT6_21rocsparse_index_base_b.has_dyn_sized_stack, 0
	.set _ZN9rocsparseL18bsrxmvn_3x3_kernelILj256ELj32E21rocsparse_complex_numIdEiiS1_IfES2_S2_EEvT3_20rocsparse_direction_NS_24const_host_device_scalarIT1_EES4_PKS4_PKT2_SD_SA_PKT4_PKT5_S8_PT6_21rocsparse_index_base_b.has_recursion, 0
	.set _ZN9rocsparseL18bsrxmvn_3x3_kernelILj256ELj32E21rocsparse_complex_numIdEiiS1_IfES2_S2_EEvT3_20rocsparse_direction_NS_24const_host_device_scalarIT1_EES4_PKS4_PKT2_SD_SA_PKT4_PKT5_S8_PT6_21rocsparse_index_base_b.has_indirect_call, 0
	.section	.AMDGPU.csdata,"",@progbits
; Kernel info:
; codeLenInByte = 3476
; TotalNumSgprs: 16
; NumVgprs: 71
; ScratchSize: 0
; MemoryBound: 0
; FloatMode: 240
; IeeeMode: 1
; LDSByteSize: 0 bytes/workgroup (compile time only)
; SGPRBlocks: 0
; VGPRBlocks: 8
; NumSGPRsForWavesPerEU: 16
; NumVGPRsForWavesPerEU: 71
; Occupancy: 16
; WaveLimiterHint : 1
; COMPUTE_PGM_RSRC2:SCRATCH_EN: 0
; COMPUTE_PGM_RSRC2:USER_SGPR: 2
; COMPUTE_PGM_RSRC2:TRAP_HANDLER: 0
; COMPUTE_PGM_RSRC2:TGID_X_EN: 1
; COMPUTE_PGM_RSRC2:TGID_Y_EN: 0
; COMPUTE_PGM_RSRC2:TGID_Z_EN: 0
; COMPUTE_PGM_RSRC2:TIDIG_COMP_CNT: 0
	.section	.text._ZN9rocsparseL18bsrxmvn_3x3_kernelILj256ELj64E21rocsparse_complex_numIdEiiS1_IfES2_S2_EEvT3_20rocsparse_direction_NS_24const_host_device_scalarIT1_EES4_PKS4_PKT2_SD_SA_PKT4_PKT5_S8_PT6_21rocsparse_index_base_b,"axG",@progbits,_ZN9rocsparseL18bsrxmvn_3x3_kernelILj256ELj64E21rocsparse_complex_numIdEiiS1_IfES2_S2_EEvT3_20rocsparse_direction_NS_24const_host_device_scalarIT1_EES4_PKS4_PKT2_SD_SA_PKT4_PKT5_S8_PT6_21rocsparse_index_base_b,comdat
	.globl	_ZN9rocsparseL18bsrxmvn_3x3_kernelILj256ELj64E21rocsparse_complex_numIdEiiS1_IfES2_S2_EEvT3_20rocsparse_direction_NS_24const_host_device_scalarIT1_EES4_PKS4_PKT2_SD_SA_PKT4_PKT5_S8_PT6_21rocsparse_index_base_b ; -- Begin function _ZN9rocsparseL18bsrxmvn_3x3_kernelILj256ELj64E21rocsparse_complex_numIdEiiS1_IfES2_S2_EEvT3_20rocsparse_direction_NS_24const_host_device_scalarIT1_EES4_PKS4_PKT2_SD_SA_PKT4_PKT5_S8_PT6_21rocsparse_index_base_b
	.p2align	8
	.type	_ZN9rocsparseL18bsrxmvn_3x3_kernelILj256ELj64E21rocsparse_complex_numIdEiiS1_IfES2_S2_EEvT3_20rocsparse_direction_NS_24const_host_device_scalarIT1_EES4_PKS4_PKT2_SD_SA_PKT4_PKT5_S8_PT6_21rocsparse_index_base_b,@function
_ZN9rocsparseL18bsrxmvn_3x3_kernelILj256ELj64E21rocsparse_complex_numIdEiiS1_IfES2_S2_EEvT3_20rocsparse_direction_NS_24const_host_device_scalarIT1_EES4_PKS4_PKT2_SD_SA_PKT4_PKT5_S8_PT6_21rocsparse_index_base_b: ; @_ZN9rocsparseL18bsrxmvn_3x3_kernelILj256ELj64E21rocsparse_complex_numIdEiiS1_IfES2_S2_EEvT3_20rocsparse_direction_NS_24const_host_device_scalarIT1_EES4_PKS4_PKT2_SD_SA_PKT4_PKT5_S8_PT6_21rocsparse_index_base_b
; %bb.0:
	s_clause 0x1
	s_load_b64 s[12:13], s[0:1], 0x68
	s_load_b64 s[2:3], s[0:1], 0x8
	s_add_nc_u64 s[4:5], s[0:1], 8
	s_load_b64 s[6:7], s[0:1], 0x50
	s_wait_kmcnt 0x0
	s_bitcmp1_b32 s13, 0
	s_cselect_b32 s2, s4, s2
	s_cselect_b32 s3, s5, s3
	s_delay_alu instid0(SALU_CYCLE_1)
	v_dual_mov_b32 v1, s2 :: v_dual_mov_b32 v2, s3
	s_add_nc_u64 s[2:3], s[0:1], 0x50
	s_wait_alu 0xfffe
	s_cselect_b32 s2, s2, s6
	s_cselect_b32 s3, s3, s7
	flat_load_b128 v[5:8], v[1:2]
	s_wait_alu 0xfffe
	v_dual_mov_b32 v1, s2 :: v_dual_mov_b32 v2, s3
	flat_load_b128 v[1:4], v[1:2]
	s_wait_loadcnt_dscnt 0x101
	v_cmp_eq_f64_e32 vcc_lo, 0, v[5:6]
	v_cmp_eq_f64_e64 s2, 0, v[7:8]
	s_and_b32 s4, vcc_lo, s2
	s_mov_b32 s2, -1
	s_and_saveexec_b32 s3, s4
	s_cbranch_execz .LBB169_2
; %bb.1:
	s_wait_loadcnt_dscnt 0x0
	v_cmp_neq_f64_e32 vcc_lo, 1.0, v[1:2]
	v_cmp_neq_f64_e64 s2, 0, v[3:4]
	s_wait_alu 0xfffe
	s_or_b32 s2, vcc_lo, s2
	s_wait_alu 0xfffe
	s_or_not1_b32 s2, s2, exec_lo
.LBB169_2:
	s_wait_alu 0xfffe
	s_or_b32 exec_lo, exec_lo, s3
	s_and_saveexec_b32 s3, s2
	s_cbranch_execz .LBB169_8
; %bb.3:
	s_clause 0x1
	s_load_b64 s[4:5], s[0:1], 0x20
	s_load_b64 s[2:3], s[0:1], 0x0
	v_lshrrev_b32_e32 v9, 6, v0
	s_delay_alu instid0(VALU_DEP_1)
	v_lshl_or_b32 v17, ttmp9, 2, v9
	s_wait_kmcnt 0x0
	s_cmp_lg_u64 s[4:5], 0
	s_cbranch_scc0 .LBB169_9
; %bb.4:
	s_load_b32 s6, s[0:1], 0x18
	s_mov_b32 s7, 0
                                        ; implicit-def: $vgpr9
	s_wait_kmcnt 0x0
	v_cmp_gt_i32_e32 vcc_lo, s6, v17
	s_mov_b32 s6, 0
	s_and_saveexec_b32 s8, vcc_lo
	s_delay_alu instid0(SALU_CYCLE_1)
	s_xor_b32 s8, exec_lo, s8
	s_cbranch_execz .LBB169_6
; %bb.5:
	v_ashrrev_i32_e32 v18, 31, v17
	s_mov_b32 s6, exec_lo
	s_delay_alu instid0(VALU_DEP_1) | instskip(NEXT) | instid1(VALU_DEP_1)
	v_lshlrev_b64_e32 v[9:10], 2, v[17:18]
	v_add_co_u32 v9, vcc_lo, s4, v9
	s_delay_alu instid0(VALU_DEP_1)
	v_add_co_ci_u32_e64 v10, null, s5, v10, vcc_lo
	global_load_b32 v9, v[9:10], off
	s_wait_loadcnt 0x0
	v_subrev_nc_u32_e32 v9, s12, v9
.LBB169_6:
	s_or_b32 exec_lo, exec_lo, s8
	s_delay_alu instid0(SALU_CYCLE_1)
	s_and_b32 vcc_lo, exec_lo, s7
	s_wait_alu 0xfffe
	s_cbranch_vccz .LBB169_10
.LBB169_7:
	v_cmp_gt_i32_e32 vcc_lo, s2, v17
	s_and_not1_b32 s2, s6, exec_lo
	s_and_b32 s4, vcc_lo, exec_lo
	s_wait_alu 0xfffe
	s_or_b32 s6, s2, s4
	s_wait_alu 0xfffe
	s_and_b32 exec_lo, exec_lo, s6
	s_cbranch_execnz .LBB169_11
.LBB169_8:
	s_endpgm
.LBB169_9:
	s_mov_b32 s6, 0
                                        ; implicit-def: $vgpr9
	s_cbranch_execnz .LBB169_7
.LBB169_10:
	v_mov_b32_e32 v17, v9
	s_and_b32 exec_lo, exec_lo, s6
	s_cbranch_execz .LBB169_8
.LBB169_11:
	s_load_b256 s[4:11], s[0:1], 0x28
	s_delay_alu instid0(VALU_DEP_1) | instskip(SKIP_1) | instid1(VALU_DEP_2)
	v_ashrrev_i32_e32 v18, 31, v17
	v_and_b32_e32 v0, 63, v0
	v_lshlrev_b64_e32 v[9:10], 2, v[17:18]
	s_wait_kmcnt 0x0
	s_delay_alu instid0(VALU_DEP_1) | instskip(SKIP_1) | instid1(VALU_DEP_2)
	v_add_co_u32 v11, vcc_lo, s4, v9
	s_wait_alu 0xfffd
	v_add_co_ci_u32_e64 v12, null, s5, v10, vcc_lo
	v_add_co_u32 v9, vcc_lo, s6, v9
	s_wait_alu 0xfffd
	v_add_co_ci_u32_e64 v10, null, s7, v10, vcc_lo
	;; [unrolled: 3-line block ×3, first 2 shown]
	s_cmp_eq_u64 s[6:7], 0
	global_load_b32 v11, v[11:12], off
	s_cselect_b32 vcc_lo, -1, 0
	s_load_b64 s[4:5], s[0:1], 0x48
	v_dual_cndmask_b32 v10, v10, v14 :: v_dual_cndmask_b32 v9, v9, v13
	s_cmp_eq_u32 s3, 1
	global_load_b32 v9, v[9:10], off
	s_wait_loadcnt 0x1
	v_subrev_nc_u32_e32 v10, s12, v11
	s_delay_alu instid0(VALU_DEP_1) | instskip(SKIP_2) | instid1(VALU_DEP_2)
	v_add_nc_u32_e32 v22, v10, v0
	s_wait_loadcnt 0x0
	v_subrev_nc_u32_e32 v30, s12, v9
	v_mad_co_i64_i32 v[24:25], null, 0x48, v22, s[10:11]
	s_delay_alu instid0(VALU_DEP_2)
	v_cmp_lt_i32_e64 s2, v22, v30
	s_cbranch_scc1 .LBB169_17
; %bb.12:
	v_mov_b32_e32 v9, 0
	v_dual_mov_b32 v13, 0 :: v_dual_mov_b32 v18, 0
	v_dual_mov_b32 v10, 0 :: v_dual_mov_b32 v11, 0
	;; [unrolled: 1-line block ×4, first 2 shown]
	v_mov_b32_e32 v12, 0
	v_dual_mov_b32 v16, 0 :: v_dual_mov_b32 v21, 0
	s_and_saveexec_b32 s6, s2
	s_cbranch_execz .LBB169_16
; %bb.13:
	v_dual_mov_b32 v9, 0 :: v_dual_mov_b32 v26, v22
	v_dual_mov_b32 v10, 0 :: v_dual_mov_b32 v11, 0
	v_dual_mov_b32 v12, 0 :: v_dual_mov_b32 v13, 0
	v_dual_mov_b32 v14, 0 :: v_dual_mov_b32 v15, 0
	v_mov_b32_e32 v18, 0
	v_dual_mov_b32 v20, 0 :: v_dual_mov_b32 v29, v25
	v_dual_mov_b32 v16, 0 :: v_dual_mov_b32 v19, 0
	;; [unrolled: 1-line block ×3, first 2 shown]
	s_mov_b32 s7, 0
.LBB169_14:                             ; =>This Inner Loop Header: Depth=1
	v_ashrrev_i32_e32 v27, 31, v26
	s_delay_alu instid0(VALU_DEP_1) | instskip(SKIP_1) | instid1(VALU_DEP_2)
	v_lshlrev_b64_e32 v[31:32], 2, v[26:27]
	v_add_nc_u32_e32 v26, 64, v26
	v_add_co_u32 v31, vcc_lo, s8, v31
	s_wait_alu 0xfffd
	s_delay_alu instid0(VALU_DEP_3)
	v_add_co_ci_u32_e64 v32, null, s9, v32, vcc_lo
	global_load_b32 v23, v[31:32], off
	s_clause 0x2
	global_load_b128 v[31:34], v[28:29], off
	global_load_b128 v[35:38], v[28:29], off offset:16
	global_load_b128 v[39:42], v[28:29], off offset:48
	s_wait_loadcnt 0x3
	v_subrev_nc_u32_e32 v23, s12, v23
	s_wait_loadcnt 0x2
	v_cvt_f64_f32_e32 v[61:62], v31
	v_cvt_f64_f32_e32 v[31:32], v32
	s_wait_loadcnt 0x1
	v_cvt_f64_f32_e32 v[63:64], v37
	v_cvt_f64_f32_e32 v[37:38], v38
	v_lshl_add_u32 v43, v23, 1, v23
	s_wait_loadcnt 0x0
	v_cvt_f64_f32_e32 v[65:66], v39
	v_cvt_f64_f32_e32 v[39:40], v40
	;; [unrolled: 1-line block ×4, first 2 shown]
	v_ashrrev_i32_e32 v44, 31, v43
	s_delay_alu instid0(VALU_DEP_1) | instskip(SKIP_1) | instid1(VALU_DEP_1)
	v_lshlrev_b64_e32 v[43:44], 4, v[43:44]
	s_wait_kmcnt 0x0
	v_add_co_u32 v55, vcc_lo, s4, v43
	s_wait_alu 0xfffd
	s_delay_alu instid0(VALU_DEP_2)
	v_add_co_ci_u32_e64 v56, null, s5, v44, vcc_lo
	v_cmp_ge_i32_e32 vcc_lo, v26, v30
	s_clause 0x1
	global_load_b128 v[43:46], v[55:56], off
	global_load_b128 v[47:50], v[55:56], off offset:16
	s_clause 0x1
	global_load_b128 v[51:54], v[28:29], off offset:32
	global_load_b64 v[59:60], v[28:29], off offset:64
	global_load_b128 v[55:58], v[55:56], off offset:32
	v_add_co_u32 v28, s3, 0x1200, v28
	s_wait_alu 0xf1ff
	v_add_co_ci_u32_e64 v29, null, 0, v29, s3
	s_wait_alu 0xfffe
	s_or_b32 s7, vcc_lo, s7
	s_wait_loadcnt 0x4
	v_fma_f64 v[11:12], v[61:62], v[43:44], v[11:12]
	v_fma_f64 v[9:10], v[31:32], v[43:44], v[9:10]
	;; [unrolled: 1-line block ×6, first 2 shown]
	v_cvt_f64_f32_e32 v[43:44], v33
	v_cvt_f64_f32_e32 v[33:34], v34
	s_wait_loadcnt 0x2
	v_cvt_f64_f32_e32 v[67:68], v51
	v_cvt_f64_f32_e32 v[51:52], v52
	v_fma_f64 v[11:12], -v[31:32], v[45:46], v[11:12]
	v_fma_f64 v[9:10], v[61:62], v[45:46], v[9:10]
	v_fma_f64 v[15:16], -v[37:38], v[45:46], v[15:16]
	v_fma_f64 v[13:14], v[63:64], v[45:46], v[13:14]
	;; [unrolled: 2-line block ×3, first 2 shown]
	v_cvt_f64_f32_e32 v[31:32], v35
	v_cvt_f64_f32_e32 v[35:36], v36
	;; [unrolled: 1-line block ×4, first 2 shown]
	s_wait_loadcnt 0x1
	v_cvt_f64_f32_e32 v[45:46], v59
	v_fma_f64 v[11:12], v[43:44], v[47:48], v[11:12]
	v_fma_f64 v[9:10], v[33:34], v[47:48], v[9:10]
	;; [unrolled: 1-line block ×6, first 2 shown]
	v_cvt_f64_f32_e32 v[47:48], v60
	v_fma_f64 v[11:12], -v[33:34], v[49:50], v[11:12]
	v_fma_f64 v[9:10], v[43:44], v[49:50], v[9:10]
	v_fma_f64 v[15:16], -v[51:52], v[49:50], v[15:16]
	v_fma_f64 v[13:14], v[67:68], v[49:50], v[13:14]
	;; [unrolled: 2-line block ×3, first 2 shown]
	s_wait_loadcnt 0x0
	v_fma_f64 v[11:12], v[31:32], v[55:56], v[11:12]
	v_fma_f64 v[9:10], v[35:36], v[55:56], v[9:10]
	;; [unrolled: 1-line block ×6, first 2 shown]
	v_fma_f64 v[11:12], -v[35:36], v[57:58], v[11:12]
	v_fma_f64 v[9:10], v[31:32], v[57:58], v[9:10]
	v_fma_f64 v[15:16], -v[39:40], v[57:58], v[15:16]
	v_fma_f64 v[13:14], v[37:38], v[57:58], v[13:14]
	;; [unrolled: 2-line block ×3, first 2 shown]
	s_wait_alu 0xfffe
	s_and_not1_b32 exec_lo, exec_lo, s7
	s_cbranch_execnz .LBB169_14
; %bb.15:
	s_or_b32 exec_lo, exec_lo, s7
.LBB169_16:
	s_wait_alu 0xfffe
	s_or_b32 exec_lo, exec_lo, s6
	s_cbranch_execz .LBB169_18
	s_branch .LBB169_23
.LBB169_17:
                                        ; implicit-def: $vgpr9_vgpr10
                                        ; implicit-def: $vgpr11_vgpr12
                                        ; implicit-def: $vgpr13_vgpr14
                                        ; implicit-def: $vgpr15_vgpr16
                                        ; implicit-def: $vgpr18_vgpr19
                                        ; implicit-def: $vgpr20_vgpr21
.LBB169_18:
	v_mov_b32_e32 v9, 0
	v_dual_mov_b32 v13, 0 :: v_dual_mov_b32 v18, 0
	v_dual_mov_b32 v10, 0 :: v_dual_mov_b32 v11, 0
	;; [unrolled: 1-line block ×4, first 2 shown]
	v_mov_b32_e32 v12, 0
	v_dual_mov_b32 v16, 0 :: v_dual_mov_b32 v21, 0
	s_and_saveexec_b32 s3, s2
	s_cbranch_execz .LBB169_22
; %bb.19:
	v_mov_b32_e32 v9, 0
	v_dual_mov_b32 v13, 0 :: v_dual_mov_b32 v18, 0
	v_dual_mov_b32 v10, 0 :: v_dual_mov_b32 v11, 0
	;; [unrolled: 1-line block ×4, first 2 shown]
	v_mov_b32_e32 v12, 0
	v_dual_mov_b32 v16, 0 :: v_dual_mov_b32 v21, 0
	s_mov_b32 s6, 0
.LBB169_20:                             ; =>This Inner Loop Header: Depth=1
	v_ashrrev_i32_e32 v23, 31, v22
	s_delay_alu instid0(VALU_DEP_1) | instskip(SKIP_1) | instid1(VALU_DEP_2)
	v_lshlrev_b64_e32 v[26:27], 2, v[22:23]
	v_add_nc_u32_e32 v22, 64, v22
	v_add_co_u32 v26, vcc_lo, s8, v26
	s_wait_alu 0xfffd
	s_delay_alu instid0(VALU_DEP_3)
	v_add_co_ci_u32_e64 v27, null, s9, v27, vcc_lo
	global_load_b32 v23, v[26:27], off
	s_clause 0x1
	global_load_b128 v[26:29], v[24:25], off
	global_load_b128 v[31:34], v[24:25], off offset:16
	s_wait_loadcnt 0x2
	v_subrev_nc_u32_e32 v23, s12, v23
	s_wait_loadcnt 0x1
	v_cvt_f64_f32_e32 v[57:58], v26
	v_cvt_f64_f32_e32 v[26:27], v27
	;; [unrolled: 1-line block ×4, first 2 shown]
	v_lshl_add_u32 v35, v23, 1, v23
	s_wait_loadcnt 0x0
	v_cvt_f64_f32_e32 v[61:62], v31
	v_cvt_f64_f32_e32 v[31:32], v32
	s_delay_alu instid0(VALU_DEP_3) | instskip(NEXT) | instid1(VALU_DEP_1)
	v_ashrrev_i32_e32 v36, 31, v35
	v_lshlrev_b64_e32 v[35:36], 4, v[35:36]
	s_wait_kmcnt 0x0
	s_delay_alu instid0(VALU_DEP_1) | instskip(SKIP_1) | instid1(VALU_DEP_2)
	v_add_co_u32 v51, vcc_lo, s4, v35
	s_wait_alu 0xfffd
	v_add_co_ci_u32_e64 v52, null, s5, v36, vcc_lo
	v_cmp_ge_i32_e32 vcc_lo, v22, v30
	s_clause 0x1
	global_load_b128 v[35:38], v[51:52], off
	global_load_b128 v[39:42], v[51:52], off offset:16
	s_clause 0x2
	global_load_b128 v[43:46], v[24:25], off offset:32
	global_load_b128 v[47:50], v[24:25], off offset:48
	global_load_b64 v[55:56], v[24:25], off offset:64
	global_load_b128 v[51:54], v[51:52], off offset:32
	v_add_co_u32 v24, s2, 0x1200, v24
	s_wait_alu 0xf1ff
	v_add_co_ci_u32_e64 v25, null, 0, v25, s2
	s_wait_alu 0xfffe
	s_or_b32 s6, vcc_lo, s6
	s_wait_loadcnt 0x5
	v_fma_f64 v[11:12], v[57:58], v[35:36], v[11:12]
	v_fma_f64 v[9:10], v[26:27], v[35:36], v[9:10]
	;; [unrolled: 1-line block ×6, first 2 shown]
	v_cvt_f64_f32_e32 v[35:36], v33
	v_cvt_f64_f32_e32 v[33:34], v34
	s_wait_loadcnt 0x3
	v_cvt_f64_f32_e32 v[63:64], v43
	v_cvt_f64_f32_e32 v[43:44], v44
	;; [unrolled: 1-line block ×4, first 2 shown]
	v_fma_f64 v[11:12], -v[26:27], v[37:38], v[11:12]
	v_fma_f64 v[9:10], v[57:58], v[37:38], v[9:10]
	v_fma_f64 v[15:16], -v[28:29], v[37:38], v[15:16]
	v_fma_f64 v[13:14], v[59:60], v[37:38], v[13:14]
	;; [unrolled: 2-line block ×3, first 2 shown]
	s_wait_loadcnt 0x2
	v_cvt_f64_f32_e32 v[26:27], v47
	v_cvt_f64_f32_e32 v[28:29], v48
	v_cvt_f64_f32_e32 v[31:32], v49
	v_cvt_f64_f32_e32 v[37:38], v50
	s_wait_loadcnt 0x1
	v_cvt_f64_f32_e32 v[47:48], v56
	v_fma_f64 v[11:12], v[35:36], v[39:40], v[11:12]
	v_fma_f64 v[9:10], v[33:34], v[39:40], v[9:10]
	;; [unrolled: 1-line block ×6, first 2 shown]
	v_cvt_f64_f32_e32 v[39:40], v55
	v_fma_f64 v[11:12], -v[33:34], v[41:42], v[11:12]
	v_fma_f64 v[9:10], v[35:36], v[41:42], v[9:10]
	v_fma_f64 v[15:16], -v[43:44], v[41:42], v[15:16]
	v_fma_f64 v[13:14], v[63:64], v[41:42], v[13:14]
	;; [unrolled: 2-line block ×3, first 2 shown]
	s_wait_loadcnt 0x0
	v_fma_f64 v[11:12], v[26:27], v[51:52], v[11:12]
	v_fma_f64 v[9:10], v[28:29], v[51:52], v[9:10]
	;; [unrolled: 1-line block ×6, first 2 shown]
	v_fma_f64 v[11:12], -v[28:29], v[53:54], v[11:12]
	v_fma_f64 v[9:10], v[26:27], v[53:54], v[9:10]
	v_fma_f64 v[15:16], -v[37:38], v[53:54], v[15:16]
	v_fma_f64 v[13:14], v[31:32], v[53:54], v[13:14]
	v_fma_f64 v[20:21], -v[47:48], v[53:54], v[20:21]
	v_fma_f64 v[18:19], v[39:40], v[53:54], v[18:19]
	s_wait_alu 0xfffe
	s_and_not1_b32 exec_lo, exec_lo, s6
	s_cbranch_execnz .LBB169_20
; %bb.21:
	s_or_b32 exec_lo, exec_lo, s6
.LBB169_22:
	s_wait_alu 0xfffe
	s_or_b32 exec_lo, exec_lo, s3
.LBB169_23:
	v_mbcnt_lo_u32_b32 v34, -1, 0
	s_delay_alu instid0(VALU_DEP_1) | instskip(NEXT) | instid1(VALU_DEP_1)
	v_or_b32_e32 v22, 32, v34
	v_cmp_gt_i32_e32 vcc_lo, 32, v22
	s_wait_alu 0xfffd
	v_cndmask_b32_e32 v22, v34, v22, vcc_lo
	s_delay_alu instid0(VALU_DEP_1)
	v_lshlrev_b32_e32 v33, 2, v22
	ds_bpermute_b32 v22, v33, v11
	ds_bpermute_b32 v23, v33, v12
	ds_bpermute_b32 v24, v33, v9
	ds_bpermute_b32 v25, v33, v10
	ds_bpermute_b32 v26, v33, v15
	ds_bpermute_b32 v27, v33, v16
	ds_bpermute_b32 v28, v33, v13
	ds_bpermute_b32 v29, v33, v14
	ds_bpermute_b32 v30, v33, v20
	ds_bpermute_b32 v31, v33, v21
	ds_bpermute_b32 v32, v33, v18
	ds_bpermute_b32 v33, v33, v19
	s_wait_dscnt 0xa
	v_add_f64_e32 v[11:12], v[11:12], v[22:23]
	v_xor_b32_e32 v22, 16, v34
	s_wait_dscnt 0x8
	v_add_f64_e32 v[9:10], v[9:10], v[24:25]
	s_wait_dscnt 0x6
	v_add_f64_e32 v[15:16], v[15:16], v[26:27]
	s_wait_dscnt 0x4
	v_add_f64_e32 v[13:14], v[13:14], v[28:29]
	v_cmp_gt_i32_e32 vcc_lo, 32, v22
	s_wait_dscnt 0x2
	v_add_f64_e32 v[20:21], v[20:21], v[30:31]
	s_wait_dscnt 0x0
	v_add_f64_e32 v[18:19], v[18:19], v[32:33]
	s_wait_alu 0xfffd
	v_cndmask_b32_e32 v22, v34, v22, vcc_lo
	s_delay_alu instid0(VALU_DEP_1)
	v_lshlrev_b32_e32 v33, 2, v22
	ds_bpermute_b32 v22, v33, v11
	ds_bpermute_b32 v23, v33, v12
	ds_bpermute_b32 v24, v33, v9
	ds_bpermute_b32 v25, v33, v10
	ds_bpermute_b32 v26, v33, v15
	ds_bpermute_b32 v27, v33, v16
	ds_bpermute_b32 v28, v33, v13
	ds_bpermute_b32 v29, v33, v14
	ds_bpermute_b32 v30, v33, v20
	ds_bpermute_b32 v31, v33, v21
	ds_bpermute_b32 v32, v33, v18
	ds_bpermute_b32 v33, v33, v19
	s_wait_dscnt 0xa
	v_add_f64_e32 v[11:12], v[11:12], v[22:23]
	v_xor_b32_e32 v22, 8, v34
	s_wait_dscnt 0x8
	v_add_f64_e32 v[9:10], v[9:10], v[24:25]
	s_wait_dscnt 0x6
	v_add_f64_e32 v[15:16], v[15:16], v[26:27]
	s_wait_dscnt 0x4
	v_add_f64_e32 v[13:14], v[13:14], v[28:29]
	v_cmp_gt_i32_e32 vcc_lo, 32, v22
	s_wait_dscnt 0x2
	v_add_f64_e32 v[20:21], v[20:21], v[30:31]
	s_wait_dscnt 0x0
	v_add_f64_e32 v[18:19], v[18:19], v[32:33]
	s_wait_alu 0xfffd
	v_cndmask_b32_e32 v22, v34, v22, vcc_lo
	s_delay_alu instid0(VALU_DEP_1)
	v_lshlrev_b32_e32 v33, 2, v22
	ds_bpermute_b32 v22, v33, v11
	ds_bpermute_b32 v23, v33, v12
	ds_bpermute_b32 v24, v33, v9
	ds_bpermute_b32 v25, v33, v10
	ds_bpermute_b32 v26, v33, v15
	ds_bpermute_b32 v27, v33, v16
	ds_bpermute_b32 v28, v33, v13
	ds_bpermute_b32 v29, v33, v14
	ds_bpermute_b32 v30, v33, v20
	ds_bpermute_b32 v31, v33, v21
	ds_bpermute_b32 v32, v33, v18
	ds_bpermute_b32 v33, v33, v19
	s_wait_dscnt 0xa
	v_add_f64_e32 v[11:12], v[11:12], v[22:23]
	v_xor_b32_e32 v22, 4, v34
	s_wait_dscnt 0x8
	v_add_f64_e32 v[9:10], v[9:10], v[24:25]
	s_wait_dscnt 0x6
	v_add_f64_e32 v[15:16], v[15:16], v[26:27]
	s_wait_dscnt 0x4
	v_add_f64_e32 v[13:14], v[13:14], v[28:29]
	v_cmp_gt_i32_e32 vcc_lo, 32, v22
	s_wait_dscnt 0x2
	v_add_f64_e32 v[20:21], v[20:21], v[30:31]
	s_wait_dscnt 0x0
	v_add_f64_e32 v[18:19], v[18:19], v[32:33]
	s_wait_alu 0xfffd
	v_cndmask_b32_e32 v22, v34, v22, vcc_lo
	s_delay_alu instid0(VALU_DEP_1)
	v_lshlrev_b32_e32 v33, 2, v22
	ds_bpermute_b32 v22, v33, v11
	ds_bpermute_b32 v23, v33, v12
	;; [unrolled: 1-line block ×12, first 2 shown]
	s_wait_dscnt 0xa
	v_add_f64_e32 v[11:12], v[11:12], v[22:23]
	s_wait_dscnt 0x8
	v_add_f64_e32 v[22:23], v[9:10], v[24:25]
	v_xor_b32_e32 v9, 2, v34
	s_wait_dscnt 0x6
	v_add_f64_e32 v[15:16], v[15:16], v[26:27]
	s_wait_dscnt 0x4
	v_add_f64_e32 v[13:14], v[13:14], v[28:29]
	s_wait_dscnt 0x2
	v_add_f64_e32 v[20:21], v[20:21], v[30:31]
	v_cmp_gt_i32_e32 vcc_lo, 32, v9
	s_wait_dscnt 0x0
	v_add_f64_e32 v[24:25], v[18:19], v[32:33]
	s_wait_alu 0xfffd
	v_cndmask_b32_e32 v9, v34, v9, vcc_lo
	s_delay_alu instid0(VALU_DEP_1)
	v_lshlrev_b32_e32 v33, 2, v9
	ds_bpermute_b32 v9, v33, v11
	ds_bpermute_b32 v10, v33, v12
	;; [unrolled: 1-line block ×12, first 2 shown]
	s_wait_dscnt 0xa
	v_add_f64_e32 v[9:10], v[11:12], v[9:10]
	s_wait_dscnt 0x8
	v_add_f64_e32 v[22:23], v[22:23], v[18:19]
	;; [unrolled: 2-line block ×5, first 2 shown]
	v_xor_b32_e32 v20, 1, v34
	s_wait_dscnt 0x0
	v_add_f64_e32 v[15:16], v[24:25], v[32:33]
	s_delay_alu instid0(VALU_DEP_2) | instskip(SKIP_3) | instid1(VALU_DEP_2)
	v_cmp_gt_i32_e32 vcc_lo, 32, v20
	s_wait_alu 0xfffd
	v_cndmask_b32_e32 v20, v34, v20, vcc_lo
	v_cmp_eq_u32_e32 vcc_lo, 63, v0
	v_lshlrev_b32_e32 v29, 2, v20
	ds_bpermute_b32 v20, v29, v9
	ds_bpermute_b32 v21, v29, v10
	;; [unrolled: 1-line block ×12, first 2 shown]
	s_and_b32 exec_lo, exec_lo, vcc_lo
	s_cbranch_execz .LBB169_8
; %bb.24:
	s_wait_dscnt 0x8
	v_add_f64_e32 v[22:23], v[22:23], v[32:33]
	s_wait_dscnt 0x4
	v_add_f64_e32 v[18:19], v[18:19], v[30:31]
	;; [unrolled: 2-line block ×3, first 2 shown]
	v_add_f64_e32 v[9:10], v[9:10], v[20:21]
	v_add_f64_e32 v[11:12], v[11:12], v[24:25]
	;; [unrolled: 1-line block ×3, first 2 shown]
	v_cmp_eq_f64_e32 vcc_lo, 0, v[1:2]
	v_cmp_eq_f64_e64 s2, 0, v[3:4]
	s_load_b64 s[0:1], s[0:1], 0x60
	v_lshl_add_u32 v17, v17, 1, v17
	v_mul_f64_e64 v[13:14], v[22:23], -v[7:8]
	v_mul_f64_e32 v[22:23], v[5:6], v[22:23]
	v_mul_f64_e64 v[24:25], v[18:19], -v[7:8]
	v_mul_f64_e32 v[18:19], v[5:6], v[18:19]
	;; [unrolled: 2-line block ×3, first 2 shown]
	s_and_b32 s2, vcc_lo, s2
	v_fma_f64 v[13:14], v[5:6], v[9:10], v[13:14]
	v_fma_f64 v[15:16], v[7:8], v[9:10], v[22:23]
	;; [unrolled: 1-line block ×6, first 2 shown]
	v_ashrrev_i32_e32 v18, 31, v17
	s_wait_alu 0xfffe
	s_and_saveexec_b32 s3, s2
	s_wait_alu 0xfffe
	s_xor_b32 s2, exec_lo, s3
	s_cbranch_execz .LBB169_26
; %bb.25:
	v_lshlrev_b64_e32 v[0:1], 4, v[17:18]
                                        ; implicit-def: $vgpr17
	s_wait_kmcnt 0x0
	s_delay_alu instid0(VALU_DEP_1) | instskip(SKIP_1) | instid1(VALU_DEP_2)
	v_add_co_u32 v0, vcc_lo, s0, v0
	s_wait_alu 0xfffd
	v_add_co_ci_u32_e64 v1, null, s1, v1, vcc_lo
	s_clause 0x2
	global_store_b128 v[0:1], v[13:16], off
	global_store_b128 v[0:1], v[9:12], off offset:16
	global_store_b128 v[0:1], v[5:8], off offset:32
                                        ; implicit-def: $vgpr3_vgpr4
                                        ; implicit-def: $vgpr13_vgpr14
                                        ; implicit-def: $vgpr9_vgpr10
                                        ; implicit-def: $vgpr5_vgpr6
.LBB169_26:
	s_wait_alu 0xfffe
	s_and_not1_saveexec_b32 s2, s2
	s_cbranch_execz .LBB169_8
; %bb.27:
	v_lshlrev_b64_e32 v[17:18], 4, v[17:18]
	s_wait_kmcnt 0x0
	s_delay_alu instid0(VALU_DEP_1) | instskip(SKIP_1) | instid1(VALU_DEP_2)
	v_add_co_u32 v29, vcc_lo, s0, v17
	s_wait_alu 0xfffd
	v_add_co_ci_u32_e64 v30, null, s1, v18, vcc_lo
	s_clause 0x2
	global_load_b128 v[17:20], v[29:30], off
	global_load_b128 v[21:24], v[29:30], off offset:16
	global_load_b128 v[25:28], v[29:30], off offset:32
	s_wait_loadcnt 0x2
	v_fma_f64 v[13:14], v[1:2], v[17:18], v[13:14]
	v_fma_f64 v[15:16], v[3:4], v[17:18], v[15:16]
	s_wait_loadcnt 0x1
	v_fma_f64 v[9:10], v[1:2], v[21:22], v[9:10]
	v_fma_f64 v[11:12], v[3:4], v[21:22], v[11:12]
	;; [unrolled: 3-line block ×3, first 2 shown]
	v_fma_f64 v[5:6], -v[3:4], v[19:20], v[13:14]
	v_fma_f64 v[7:8], v[1:2], v[19:20], v[15:16]
	v_fma_f64 v[9:10], -v[3:4], v[23:24], v[9:10]
	v_fma_f64 v[11:12], v[1:2], v[23:24], v[11:12]
	;; [unrolled: 2-line block ×3, first 2 shown]
	s_clause 0x2
	global_store_b128 v[29:30], v[5:8], off
	global_store_b128 v[29:30], v[9:12], off offset:16
	global_store_b128 v[29:30], v[13:16], off offset:32
	s_endpgm
	.section	.rodata,"a",@progbits
	.p2align	6, 0x0
	.amdhsa_kernel _ZN9rocsparseL18bsrxmvn_3x3_kernelILj256ELj64E21rocsparse_complex_numIdEiiS1_IfES2_S2_EEvT3_20rocsparse_direction_NS_24const_host_device_scalarIT1_EES4_PKS4_PKT2_SD_SA_PKT4_PKT5_S8_PT6_21rocsparse_index_base_b
		.amdhsa_group_segment_fixed_size 0
		.amdhsa_private_segment_fixed_size 0
		.amdhsa_kernarg_size 112
		.amdhsa_user_sgpr_count 2
		.amdhsa_user_sgpr_dispatch_ptr 0
		.amdhsa_user_sgpr_queue_ptr 0
		.amdhsa_user_sgpr_kernarg_segment_ptr 1
		.amdhsa_user_sgpr_dispatch_id 0
		.amdhsa_user_sgpr_private_segment_size 0
		.amdhsa_wavefront_size32 1
		.amdhsa_uses_dynamic_stack 0
		.amdhsa_enable_private_segment 0
		.amdhsa_system_sgpr_workgroup_id_x 1
		.amdhsa_system_sgpr_workgroup_id_y 0
		.amdhsa_system_sgpr_workgroup_id_z 0
		.amdhsa_system_sgpr_workgroup_info 0
		.amdhsa_system_vgpr_workitem_id 0
		.amdhsa_next_free_vgpr 71
		.amdhsa_next_free_sgpr 14
		.amdhsa_reserve_vcc 1
		.amdhsa_float_round_mode_32 0
		.amdhsa_float_round_mode_16_64 0
		.amdhsa_float_denorm_mode_32 3
		.amdhsa_float_denorm_mode_16_64 3
		.amdhsa_fp16_overflow 0
		.amdhsa_workgroup_processor_mode 1
		.amdhsa_memory_ordered 1
		.amdhsa_forward_progress 1
		.amdhsa_inst_pref_size 29
		.amdhsa_round_robin_scheduling 0
		.amdhsa_exception_fp_ieee_invalid_op 0
		.amdhsa_exception_fp_denorm_src 0
		.amdhsa_exception_fp_ieee_div_zero 0
		.amdhsa_exception_fp_ieee_overflow 0
		.amdhsa_exception_fp_ieee_underflow 0
		.amdhsa_exception_fp_ieee_inexact 0
		.amdhsa_exception_int_div_zero 0
	.end_amdhsa_kernel
	.section	.text._ZN9rocsparseL18bsrxmvn_3x3_kernelILj256ELj64E21rocsparse_complex_numIdEiiS1_IfES2_S2_EEvT3_20rocsparse_direction_NS_24const_host_device_scalarIT1_EES4_PKS4_PKT2_SD_SA_PKT4_PKT5_S8_PT6_21rocsparse_index_base_b,"axG",@progbits,_ZN9rocsparseL18bsrxmvn_3x3_kernelILj256ELj64E21rocsparse_complex_numIdEiiS1_IfES2_S2_EEvT3_20rocsparse_direction_NS_24const_host_device_scalarIT1_EES4_PKS4_PKT2_SD_SA_PKT4_PKT5_S8_PT6_21rocsparse_index_base_b,comdat
.Lfunc_end169:
	.size	_ZN9rocsparseL18bsrxmvn_3x3_kernelILj256ELj64E21rocsparse_complex_numIdEiiS1_IfES2_S2_EEvT3_20rocsparse_direction_NS_24const_host_device_scalarIT1_EES4_PKS4_PKT2_SD_SA_PKT4_PKT5_S8_PT6_21rocsparse_index_base_b, .Lfunc_end169-_ZN9rocsparseL18bsrxmvn_3x3_kernelILj256ELj64E21rocsparse_complex_numIdEiiS1_IfES2_S2_EEvT3_20rocsparse_direction_NS_24const_host_device_scalarIT1_EES4_PKS4_PKT2_SD_SA_PKT4_PKT5_S8_PT6_21rocsparse_index_base_b
                                        ; -- End function
	.set _ZN9rocsparseL18bsrxmvn_3x3_kernelILj256ELj64E21rocsparse_complex_numIdEiiS1_IfES2_S2_EEvT3_20rocsparse_direction_NS_24const_host_device_scalarIT1_EES4_PKS4_PKT2_SD_SA_PKT4_PKT5_S8_PT6_21rocsparse_index_base_b.num_vgpr, 71
	.set _ZN9rocsparseL18bsrxmvn_3x3_kernelILj256ELj64E21rocsparse_complex_numIdEiiS1_IfES2_S2_EEvT3_20rocsparse_direction_NS_24const_host_device_scalarIT1_EES4_PKS4_PKT2_SD_SA_PKT4_PKT5_S8_PT6_21rocsparse_index_base_b.num_agpr, 0
	.set _ZN9rocsparseL18bsrxmvn_3x3_kernelILj256ELj64E21rocsparse_complex_numIdEiiS1_IfES2_S2_EEvT3_20rocsparse_direction_NS_24const_host_device_scalarIT1_EES4_PKS4_PKT2_SD_SA_PKT4_PKT5_S8_PT6_21rocsparse_index_base_b.numbered_sgpr, 14
	.set _ZN9rocsparseL18bsrxmvn_3x3_kernelILj256ELj64E21rocsparse_complex_numIdEiiS1_IfES2_S2_EEvT3_20rocsparse_direction_NS_24const_host_device_scalarIT1_EES4_PKS4_PKT2_SD_SA_PKT4_PKT5_S8_PT6_21rocsparse_index_base_b.num_named_barrier, 0
	.set _ZN9rocsparseL18bsrxmvn_3x3_kernelILj256ELj64E21rocsparse_complex_numIdEiiS1_IfES2_S2_EEvT3_20rocsparse_direction_NS_24const_host_device_scalarIT1_EES4_PKS4_PKT2_SD_SA_PKT4_PKT5_S8_PT6_21rocsparse_index_base_b.private_seg_size, 0
	.set _ZN9rocsparseL18bsrxmvn_3x3_kernelILj256ELj64E21rocsparse_complex_numIdEiiS1_IfES2_S2_EEvT3_20rocsparse_direction_NS_24const_host_device_scalarIT1_EES4_PKS4_PKT2_SD_SA_PKT4_PKT5_S8_PT6_21rocsparse_index_base_b.uses_vcc, 1
	.set _ZN9rocsparseL18bsrxmvn_3x3_kernelILj256ELj64E21rocsparse_complex_numIdEiiS1_IfES2_S2_EEvT3_20rocsparse_direction_NS_24const_host_device_scalarIT1_EES4_PKS4_PKT2_SD_SA_PKT4_PKT5_S8_PT6_21rocsparse_index_base_b.uses_flat_scratch, 0
	.set _ZN9rocsparseL18bsrxmvn_3x3_kernelILj256ELj64E21rocsparse_complex_numIdEiiS1_IfES2_S2_EEvT3_20rocsparse_direction_NS_24const_host_device_scalarIT1_EES4_PKS4_PKT2_SD_SA_PKT4_PKT5_S8_PT6_21rocsparse_index_base_b.has_dyn_sized_stack, 0
	.set _ZN9rocsparseL18bsrxmvn_3x3_kernelILj256ELj64E21rocsparse_complex_numIdEiiS1_IfES2_S2_EEvT3_20rocsparse_direction_NS_24const_host_device_scalarIT1_EES4_PKS4_PKT2_SD_SA_PKT4_PKT5_S8_PT6_21rocsparse_index_base_b.has_recursion, 0
	.set _ZN9rocsparseL18bsrxmvn_3x3_kernelILj256ELj64E21rocsparse_complex_numIdEiiS1_IfES2_S2_EEvT3_20rocsparse_direction_NS_24const_host_device_scalarIT1_EES4_PKS4_PKT2_SD_SA_PKT4_PKT5_S8_PT6_21rocsparse_index_base_b.has_indirect_call, 0
	.section	.AMDGPU.csdata,"",@progbits
; Kernel info:
; codeLenInByte = 3644
; TotalNumSgprs: 16
; NumVgprs: 71
; ScratchSize: 0
; MemoryBound: 0
; FloatMode: 240
; IeeeMode: 1
; LDSByteSize: 0 bytes/workgroup (compile time only)
; SGPRBlocks: 0
; VGPRBlocks: 8
; NumSGPRsForWavesPerEU: 16
; NumVGPRsForWavesPerEU: 71
; Occupancy: 16
; WaveLimiterHint : 1
; COMPUTE_PGM_RSRC2:SCRATCH_EN: 0
; COMPUTE_PGM_RSRC2:USER_SGPR: 2
; COMPUTE_PGM_RSRC2:TRAP_HANDLER: 0
; COMPUTE_PGM_RSRC2:TGID_X_EN: 1
; COMPUTE_PGM_RSRC2:TGID_Y_EN: 0
; COMPUTE_PGM_RSRC2:TGID_Z_EN: 0
; COMPUTE_PGM_RSRC2:TIDIG_COMP_CNT: 0
	.section	.text._ZN9rocsparseL18bsrxmvn_3x3_kernelILj256ELj4E21rocsparse_complex_numIdEliS1_IfES2_S2_EEvT3_20rocsparse_direction_NS_24const_host_device_scalarIT1_EES4_PKS4_PKT2_SD_SA_PKT4_PKT5_S8_PT6_21rocsparse_index_base_b,"axG",@progbits,_ZN9rocsparseL18bsrxmvn_3x3_kernelILj256ELj4E21rocsparse_complex_numIdEliS1_IfES2_S2_EEvT3_20rocsparse_direction_NS_24const_host_device_scalarIT1_EES4_PKS4_PKT2_SD_SA_PKT4_PKT5_S8_PT6_21rocsparse_index_base_b,comdat
	.globl	_ZN9rocsparseL18bsrxmvn_3x3_kernelILj256ELj4E21rocsparse_complex_numIdEliS1_IfES2_S2_EEvT3_20rocsparse_direction_NS_24const_host_device_scalarIT1_EES4_PKS4_PKT2_SD_SA_PKT4_PKT5_S8_PT6_21rocsparse_index_base_b ; -- Begin function _ZN9rocsparseL18bsrxmvn_3x3_kernelILj256ELj4E21rocsparse_complex_numIdEliS1_IfES2_S2_EEvT3_20rocsparse_direction_NS_24const_host_device_scalarIT1_EES4_PKS4_PKT2_SD_SA_PKT4_PKT5_S8_PT6_21rocsparse_index_base_b
	.p2align	8
	.type	_ZN9rocsparseL18bsrxmvn_3x3_kernelILj256ELj4E21rocsparse_complex_numIdEliS1_IfES2_S2_EEvT3_20rocsparse_direction_NS_24const_host_device_scalarIT1_EES4_PKS4_PKT2_SD_SA_PKT4_PKT5_S8_PT6_21rocsparse_index_base_b,@function
_ZN9rocsparseL18bsrxmvn_3x3_kernelILj256ELj4E21rocsparse_complex_numIdEliS1_IfES2_S2_EEvT3_20rocsparse_direction_NS_24const_host_device_scalarIT1_EES4_PKS4_PKT2_SD_SA_PKT4_PKT5_S8_PT6_21rocsparse_index_base_b: ; @_ZN9rocsparseL18bsrxmvn_3x3_kernelILj256ELj4E21rocsparse_complex_numIdEliS1_IfES2_S2_EEvT3_20rocsparse_direction_NS_24const_host_device_scalarIT1_EES4_PKS4_PKT2_SD_SA_PKT4_PKT5_S8_PT6_21rocsparse_index_base_b
; %bb.0:
	s_clause 0x1
	s_load_b64 s[12:13], s[0:1], 0x68
	s_load_b64 s[2:3], s[0:1], 0x8
	s_add_nc_u64 s[4:5], s[0:1], 8
	s_load_b64 s[6:7], s[0:1], 0x50
	s_wait_kmcnt 0x0
	s_bitcmp1_b32 s13, 0
	s_cselect_b32 s2, s4, s2
	s_cselect_b32 s3, s5, s3
	s_delay_alu instid0(SALU_CYCLE_1)
	v_dual_mov_b32 v1, s2 :: v_dual_mov_b32 v2, s3
	s_add_nc_u64 s[2:3], s[0:1], 0x50
	s_wait_alu 0xfffe
	s_cselect_b32 s2, s2, s6
	s_cselect_b32 s3, s3, s7
	flat_load_b128 v[5:8], v[1:2]
	s_wait_alu 0xfffe
	v_dual_mov_b32 v1, s2 :: v_dual_mov_b32 v2, s3
	flat_load_b128 v[1:4], v[1:2]
	s_wait_loadcnt_dscnt 0x101
	v_cmp_eq_f64_e32 vcc_lo, 0, v[5:6]
	v_cmp_eq_f64_e64 s2, 0, v[7:8]
	s_and_b32 s4, vcc_lo, s2
	s_mov_b32 s2, -1
	s_and_saveexec_b32 s3, s4
	s_cbranch_execz .LBB170_2
; %bb.1:
	s_wait_loadcnt_dscnt 0x0
	v_cmp_neq_f64_e32 vcc_lo, 1.0, v[1:2]
	v_cmp_neq_f64_e64 s2, 0, v[3:4]
	s_wait_alu 0xfffe
	s_or_b32 s2, vcc_lo, s2
	s_wait_alu 0xfffe
	s_or_not1_b32 s2, s2, exec_lo
.LBB170_2:
	s_wait_alu 0xfffe
	s_or_b32 exec_lo, exec_lo, s3
	s_and_saveexec_b32 s3, s2
	s_cbranch_execz .LBB170_8
; %bb.3:
	s_clause 0x1
	s_load_b64 s[4:5], s[0:1], 0x20
	s_load_b64 s[2:3], s[0:1], 0x0
	v_lshrrev_b32_e32 v9, 2, v0
	s_delay_alu instid0(VALU_DEP_1)
	v_lshl_or_b32 v17, ttmp9, 6, v9
	s_wait_kmcnt 0x0
	s_cmp_lg_u64 s[4:5], 0
	s_cbranch_scc0 .LBB170_9
; %bb.4:
	s_load_b32 s6, s[0:1], 0x18
	s_mov_b32 s7, 0
                                        ; implicit-def: $vgpr9
	s_wait_kmcnt 0x0
	v_cmp_gt_i32_e32 vcc_lo, s6, v17
	s_mov_b32 s6, 0
	s_and_saveexec_b32 s8, vcc_lo
	s_delay_alu instid0(SALU_CYCLE_1)
	s_xor_b32 s8, exec_lo, s8
	s_cbranch_execz .LBB170_6
; %bb.5:
	v_ashrrev_i32_e32 v18, 31, v17
	s_mov_b32 s6, exec_lo
	s_delay_alu instid0(VALU_DEP_1) | instskip(NEXT) | instid1(VALU_DEP_1)
	v_lshlrev_b64_e32 v[9:10], 2, v[17:18]
	v_add_co_u32 v9, vcc_lo, s4, v9
	s_delay_alu instid0(VALU_DEP_1)
	v_add_co_ci_u32_e64 v10, null, s5, v10, vcc_lo
	global_load_b32 v9, v[9:10], off
	s_wait_loadcnt 0x0
	v_subrev_nc_u32_e32 v9, s12, v9
.LBB170_6:
	s_or_b32 exec_lo, exec_lo, s8
	s_delay_alu instid0(SALU_CYCLE_1)
	s_and_b32 vcc_lo, exec_lo, s7
	s_wait_alu 0xfffe
	s_cbranch_vccz .LBB170_10
.LBB170_7:
	v_cmp_gt_i32_e32 vcc_lo, s2, v17
	s_and_not1_b32 s2, s6, exec_lo
	s_and_b32 s4, vcc_lo, exec_lo
	s_wait_alu 0xfffe
	s_or_b32 s6, s2, s4
	s_wait_alu 0xfffe
	s_and_b32 exec_lo, exec_lo, s6
	s_cbranch_execnz .LBB170_11
.LBB170_8:
	s_endpgm
.LBB170_9:
	s_mov_b32 s6, 0
                                        ; implicit-def: $vgpr9
	s_cbranch_execnz .LBB170_7
.LBB170_10:
	v_mov_b32_e32 v17, v9
	s_and_b32 exec_lo, exec_lo, s6
	s_cbranch_execz .LBB170_8
.LBB170_11:
	s_load_b256 s[4:11], s[0:1], 0x28
	s_delay_alu instid0(VALU_DEP_1) | instskip(SKIP_1) | instid1(VALU_DEP_2)
	v_ashrrev_i32_e32 v18, 31, v17
	v_and_b32_e32 v0, 3, v0
	v_lshlrev_b64_e32 v[9:10], 3, v[17:18]
	s_wait_kmcnt 0x0
	s_delay_alu instid0(VALU_DEP_1) | instskip(SKIP_1) | instid1(VALU_DEP_2)
	v_add_co_u32 v11, vcc_lo, s4, v9
	s_wait_alu 0xfffd
	v_add_co_ci_u32_e64 v12, null, s5, v10, vcc_lo
	v_add_co_u32 v9, vcc_lo, s6, v9
	s_wait_alu 0xfffd
	v_add_co_ci_u32_e64 v10, null, s7, v10, vcc_lo
	global_load_b64 v[13:14], v[11:12], off
	v_add_co_u32 v11, vcc_lo, v11, 8
	s_wait_alu 0xfffd
	v_add_co_ci_u32_e64 v12, null, 0, v12, vcc_lo
	s_cmp_eq_u64 s[6:7], 0
	s_load_b64 s[4:5], s[0:1], 0x48
	s_cselect_b32 vcc_lo, -1, 0
	s_cmp_eq_u32 s3, 1
	s_wait_alu 0xfffe
	v_dual_cndmask_b32 v10, v10, v12 :: v_dual_cndmask_b32 v9, v9, v11
	global_load_b64 v[15:16], v[9:10], off
	s_wait_loadcnt 0x1
	v_sub_co_u32 v9, vcc_lo, v13, s12
	s_wait_alu 0xfffd
	v_subrev_co_ci_u32_e64 v10, null, 0, v14, vcc_lo
	s_delay_alu instid0(VALU_DEP_2) | instskip(SKIP_1) | instid1(VALU_DEP_2)
	v_add_co_u32 v9, vcc_lo, v9, v0
	s_wait_alu 0xfffd
	v_add_co_ci_u32_e64 v10, null, 0, v10, vcc_lo
	s_delay_alu instid0(VALU_DEP_2) | instskip(NEXT) | instid1(VALU_DEP_1)
	v_mad_co_u64_u32 v[11:12], null, 0x48, v9, s[10:11]
	v_mad_co_u64_u32 v[12:13], null, 0x48, v10, v[12:13]
	s_wait_loadcnt 0x0
	v_sub_co_u32 v13, vcc_lo, v15, s12
	s_wait_alu 0xfffd
	v_subrev_co_ci_u32_e64 v14, null, 0, v16, vcc_lo
	s_delay_alu instid0(VALU_DEP_1)
	v_cmp_lt_i64_e64 s2, v[9:10], v[13:14]
	s_cbranch_scc1 .LBB170_17
; %bb.12:
	v_mov_b32_e32 v20, 0
	v_dual_mov_b32 v24, 0 :: v_dual_mov_b32 v15, 0
	v_dual_mov_b32 v18, 0 :: v_dual_mov_b32 v21, 0
	;; [unrolled: 1-line block ×3, first 2 shown]
	v_mov_b32_e32 v26, 0
	v_dual_mov_b32 v16, 0 :: v_dual_mov_b32 v19, 0
	v_mov_b32_e32 v23, 0
	v_mov_b32_e32 v27, 0
	s_and_saveexec_b32 s6, s2
	s_cbranch_execz .LBB170_16
; %bb.13:
	v_lshlrev_b64_e32 v[18:19], 2, v[9:10]
	v_dual_mov_b32 v15, 0 :: v_dual_mov_b32 v22, 0
	v_dual_mov_b32 v16, 0 :: v_dual_mov_b32 v29, v10
	;; [unrolled: 1-line block ×3, first 2 shown]
	s_delay_alu instid0(VALU_DEP_4)
	v_add_co_u32 v30, vcc_lo, s8, v18
	s_wait_alu 0xfffd
	v_add_co_ci_u32_e64 v31, null, s9, v19, vcc_lo
	v_mov_b32_e32 v18, 0
	v_dual_mov_b32 v19, 0 :: v_dual_mov_b32 v20, 0
	v_dual_mov_b32 v26, 0 :: v_dual_mov_b32 v33, v12
	;; [unrolled: 1-line block ×3, first 2 shown]
	v_mov_b32_e32 v25, 0
	v_dual_mov_b32 v27, 0 :: v_dual_mov_b32 v32, v11
	s_mov_b32 s7, 0
.LBB170_14:                             ; =>This Inner Loop Header: Depth=1
	global_load_b32 v46, v[30:31], off
	s_clause 0x2
	global_load_b128 v[34:37], v[32:33], off
	global_load_b128 v[38:41], v[32:33], off offset:16
	global_load_b128 v[42:45], v[32:33], off offset:48
	v_add_co_u32 v30, s3, v30, 16
	s_wait_alu 0xf1ff
	v_add_co_ci_u32_e64 v31, null, 0, v31, s3
	s_wait_loadcnt 0x3
	v_subrev_nc_u32_e32 v46, s12, v46
	s_wait_loadcnt 0x2
	v_cvt_f64_f32_e32 v[64:65], v34
	v_cvt_f64_f32_e32 v[34:35], v35
	s_wait_loadcnt 0x1
	v_cvt_f64_f32_e32 v[66:67], v40
	v_cvt_f64_f32_e32 v[40:41], v41
	v_lshl_add_u32 v46, v46, 1, v46
	s_wait_loadcnt 0x0
	v_cvt_f64_f32_e32 v[68:69], v42
	v_cvt_f64_f32_e32 v[42:43], v43
	v_cvt_f64_f32_e32 v[72:73], v44
	v_cvt_f64_f32_e32 v[44:45], v45
	v_ashrrev_i32_e32 v47, 31, v46
	s_delay_alu instid0(VALU_DEP_1) | instskip(SKIP_1) | instid1(VALU_DEP_1)
	v_lshlrev_b64_e32 v[46:47], 4, v[46:47]
	s_wait_kmcnt 0x0
	v_add_co_u32 v58, vcc_lo, s4, v46
	s_wait_alu 0xfffd
	s_delay_alu instid0(VALU_DEP_2)
	v_add_co_ci_u32_e64 v59, null, s5, v47, vcc_lo
	v_add_co_u32 v28, vcc_lo, v28, 4
	s_wait_alu 0xfffd
	v_add_co_ci_u32_e64 v29, null, 0, v29, vcc_lo
	s_clause 0x1
	global_load_b128 v[46:49], v[58:59], off
	global_load_b128 v[50:53], v[58:59], off offset:16
	s_clause 0x1
	global_load_b128 v[54:57], v[32:33], off offset:32
	global_load_b64 v[62:63], v[32:33], off offset:64
	global_load_b128 v[58:61], v[58:59], off offset:32
	v_add_co_u32 v32, vcc_lo, 0x120, v32
	s_wait_alu 0xfffd
	v_add_co_ci_u32_e64 v33, null, 0, v33, vcc_lo
	v_cmp_ge_i64_e32 vcc_lo, v[28:29], v[13:14]
	s_wait_alu 0xfffe
	s_or_b32 s7, vcc_lo, s7
	s_wait_loadcnt 0x4
	v_fma_f64 v[18:19], v[64:65], v[46:47], v[18:19]
	v_fma_f64 v[15:16], v[34:35], v[46:47], v[15:16]
	v_fma_f64 v[22:23], v[66:67], v[46:47], v[22:23]
	v_fma_f64 v[20:21], v[40:41], v[46:47], v[20:21]
	v_fma_f64 v[26:27], v[68:69], v[46:47], v[26:27]
	v_fma_f64 v[24:25], v[42:43], v[46:47], v[24:25]
	v_cvt_f64_f32_e32 v[46:47], v36
	v_cvt_f64_f32_e32 v[36:37], v37
	s_wait_loadcnt 0x2
	v_cvt_f64_f32_e32 v[70:71], v54
	v_cvt_f64_f32_e32 v[54:55], v55
	v_fma_f64 v[18:19], -v[34:35], v[48:49], v[18:19]
	v_fma_f64 v[15:16], v[64:65], v[48:49], v[15:16]
	v_fma_f64 v[22:23], -v[40:41], v[48:49], v[22:23]
	v_fma_f64 v[20:21], v[66:67], v[48:49], v[20:21]
	;; [unrolled: 2-line block ×3, first 2 shown]
	v_cvt_f64_f32_e32 v[34:35], v38
	v_cvt_f64_f32_e32 v[38:39], v39
	;; [unrolled: 1-line block ×4, first 2 shown]
	s_wait_loadcnt 0x1
	v_cvt_f64_f32_e32 v[48:49], v62
	v_fma_f64 v[18:19], v[46:47], v[50:51], v[18:19]
	v_fma_f64 v[15:16], v[36:37], v[50:51], v[15:16]
	;; [unrolled: 1-line block ×6, first 2 shown]
	v_cvt_f64_f32_e32 v[50:51], v63
	v_fma_f64 v[18:19], -v[36:37], v[52:53], v[18:19]
	v_fma_f64 v[15:16], v[46:47], v[52:53], v[15:16]
	v_fma_f64 v[22:23], -v[54:55], v[52:53], v[22:23]
	v_fma_f64 v[20:21], v[70:71], v[52:53], v[20:21]
	;; [unrolled: 2-line block ×3, first 2 shown]
	s_wait_loadcnt 0x0
	v_fma_f64 v[18:19], v[34:35], v[58:59], v[18:19]
	v_fma_f64 v[15:16], v[38:39], v[58:59], v[15:16]
	v_fma_f64 v[22:23], v[40:41], v[58:59], v[22:23]
	v_fma_f64 v[20:21], v[42:43], v[58:59], v[20:21]
	v_fma_f64 v[26:27], v[48:49], v[58:59], v[26:27]
	v_fma_f64 v[24:25], v[50:51], v[58:59], v[24:25]
	v_fma_f64 v[18:19], -v[38:39], v[60:61], v[18:19]
	v_fma_f64 v[15:16], v[34:35], v[60:61], v[15:16]
	v_fma_f64 v[22:23], -v[42:43], v[60:61], v[22:23]
	v_fma_f64 v[20:21], v[40:41], v[60:61], v[20:21]
	;; [unrolled: 2-line block ×3, first 2 shown]
	s_wait_alu 0xfffe
	s_and_not1_b32 exec_lo, exec_lo, s7
	s_cbranch_execnz .LBB170_14
; %bb.15:
	s_or_b32 exec_lo, exec_lo, s7
.LBB170_16:
	s_wait_alu 0xfffe
	s_or_b32 exec_lo, exec_lo, s6
	s_cbranch_execz .LBB170_18
	s_branch .LBB170_23
.LBB170_17:
                                        ; implicit-def: $vgpr15_vgpr16
                                        ; implicit-def: $vgpr18_vgpr19
                                        ; implicit-def: $vgpr20_vgpr21
                                        ; implicit-def: $vgpr22_vgpr23
                                        ; implicit-def: $vgpr24_vgpr25
                                        ; implicit-def: $vgpr26_vgpr27
.LBB170_18:
	v_mov_b32_e32 v20, 0
	v_dual_mov_b32 v24, 0 :: v_dual_mov_b32 v15, 0
	v_dual_mov_b32 v18, 0 :: v_dual_mov_b32 v21, 0
	;; [unrolled: 1-line block ×3, first 2 shown]
	v_mov_b32_e32 v26, 0
	v_dual_mov_b32 v16, 0 :: v_dual_mov_b32 v19, 0
	v_mov_b32_e32 v23, 0
	v_mov_b32_e32 v27, 0
	s_and_saveexec_b32 s3, s2
	s_cbranch_execz .LBB170_22
; %bb.19:
	v_lshlrev_b64_e32 v[28:29], 2, v[9:10]
	v_mov_b32_e32 v20, 0
	v_dual_mov_b32 v24, 0 :: v_dual_mov_b32 v15, 0
	v_dual_mov_b32 v18, 0 :: v_dual_mov_b32 v21, 0
	v_mov_b32_e32 v22, 0
	v_add_co_u32 v28, vcc_lo, s8, v28
	v_dual_mov_b32 v25, 0 :: v_dual_mov_b32 v26, 0
	v_dual_mov_b32 v16, 0 :: v_dual_mov_b32 v19, 0
	v_mov_b32_e32 v23, 0
	v_mov_b32_e32 v27, 0
	s_wait_alu 0xfffd
	v_add_co_ci_u32_e64 v29, null, s9, v29, vcc_lo
	s_mov_b32 s6, 0
.LBB170_20:                             ; =>This Inner Loop Header: Depth=1
	global_load_b32 v38, v[28:29], off
	s_clause 0x1
	global_load_b128 v[30:33], v[11:12], off
	global_load_b128 v[34:37], v[11:12], off offset:16
	v_add_co_u32 v28, s2, v28, 16
	s_wait_alu 0xf1ff
	v_add_co_ci_u32_e64 v29, null, 0, v29, s2
	s_wait_loadcnt 0x2
	v_subrev_nc_u32_e32 v38, s12, v38
	s_wait_loadcnt 0x1
	v_cvt_f64_f32_e32 v[60:61], v30
	v_cvt_f64_f32_e32 v[30:31], v31
	;; [unrolled: 1-line block ×4, first 2 shown]
	v_lshl_add_u32 v38, v38, 1, v38
	s_wait_loadcnt 0x0
	v_cvt_f64_f32_e32 v[64:65], v34
	v_cvt_f64_f32_e32 v[34:35], v35
	s_delay_alu instid0(VALU_DEP_3) | instskip(NEXT) | instid1(VALU_DEP_1)
	v_ashrrev_i32_e32 v39, 31, v38
	v_lshlrev_b64_e32 v[38:39], 4, v[38:39]
	s_wait_kmcnt 0x0
	s_delay_alu instid0(VALU_DEP_1) | instskip(SKIP_1) | instid1(VALU_DEP_2)
	v_add_co_u32 v54, vcc_lo, s4, v38
	s_wait_alu 0xfffd
	v_add_co_ci_u32_e64 v55, null, s5, v39, vcc_lo
	v_add_co_u32 v9, vcc_lo, v9, 4
	s_wait_alu 0xfffd
	v_add_co_ci_u32_e64 v10, null, 0, v10, vcc_lo
	s_clause 0x1
	global_load_b128 v[38:41], v[54:55], off
	global_load_b128 v[42:45], v[54:55], off offset:16
	s_clause 0x2
	global_load_b128 v[46:49], v[11:12], off offset:32
	global_load_b128 v[50:53], v[11:12], off offset:48
	global_load_b64 v[58:59], v[11:12], off offset:64
	global_load_b128 v[54:57], v[54:55], off offset:32
	v_add_co_u32 v11, vcc_lo, 0x120, v11
	s_wait_alu 0xfffd
	v_add_co_ci_u32_e64 v12, null, 0, v12, vcc_lo
	v_cmp_ge_i64_e32 vcc_lo, v[9:10], v[13:14]
	s_wait_alu 0xfffe
	s_or_b32 s6, vcc_lo, s6
	s_wait_loadcnt 0x5
	v_fma_f64 v[18:19], v[60:61], v[38:39], v[18:19]
	v_fma_f64 v[15:16], v[30:31], v[38:39], v[15:16]
	v_fma_f64 v[22:23], v[62:63], v[38:39], v[22:23]
	v_fma_f64 v[20:21], v[32:33], v[38:39], v[20:21]
	v_fma_f64 v[26:27], v[64:65], v[38:39], v[26:27]
	v_fma_f64 v[24:25], v[34:35], v[38:39], v[24:25]
	v_cvt_f64_f32_e32 v[38:39], v36
	v_cvt_f64_f32_e32 v[36:37], v37
	s_wait_loadcnt 0x3
	v_cvt_f64_f32_e32 v[66:67], v46
	v_cvt_f64_f32_e32 v[46:47], v47
	;; [unrolled: 1-line block ×4, first 2 shown]
	v_fma_f64 v[18:19], -v[30:31], v[40:41], v[18:19]
	v_fma_f64 v[15:16], v[60:61], v[40:41], v[15:16]
	v_fma_f64 v[22:23], -v[32:33], v[40:41], v[22:23]
	v_fma_f64 v[20:21], v[62:63], v[40:41], v[20:21]
	;; [unrolled: 2-line block ×3, first 2 shown]
	s_wait_loadcnt 0x2
	v_cvt_f64_f32_e32 v[30:31], v50
	v_cvt_f64_f32_e32 v[32:33], v51
	;; [unrolled: 1-line block ×4, first 2 shown]
	s_wait_loadcnt 0x1
	v_cvt_f64_f32_e32 v[50:51], v59
	v_fma_f64 v[18:19], v[38:39], v[42:43], v[18:19]
	v_fma_f64 v[15:16], v[36:37], v[42:43], v[15:16]
	;; [unrolled: 1-line block ×6, first 2 shown]
	v_cvt_f64_f32_e32 v[42:43], v58
	v_fma_f64 v[18:19], -v[36:37], v[44:45], v[18:19]
	v_fma_f64 v[15:16], v[38:39], v[44:45], v[15:16]
	v_fma_f64 v[22:23], -v[46:47], v[44:45], v[22:23]
	v_fma_f64 v[20:21], v[66:67], v[44:45], v[20:21]
	v_fma_f64 v[26:27], -v[48:49], v[44:45], v[26:27]
	v_fma_f64 v[24:25], v[68:69], v[44:45], v[24:25]
	s_wait_loadcnt 0x0
	v_fma_f64 v[18:19], v[30:31], v[54:55], v[18:19]
	v_fma_f64 v[15:16], v[32:33], v[54:55], v[15:16]
	v_fma_f64 v[22:23], v[34:35], v[54:55], v[22:23]
	v_fma_f64 v[20:21], v[40:41], v[54:55], v[20:21]
	v_fma_f64 v[26:27], v[42:43], v[54:55], v[26:27]
	v_fma_f64 v[24:25], v[50:51], v[54:55], v[24:25]
	v_fma_f64 v[18:19], -v[32:33], v[56:57], v[18:19]
	v_fma_f64 v[15:16], v[30:31], v[56:57], v[15:16]
	v_fma_f64 v[22:23], -v[40:41], v[56:57], v[22:23]
	v_fma_f64 v[20:21], v[34:35], v[56:57], v[20:21]
	;; [unrolled: 2-line block ×3, first 2 shown]
	s_wait_alu 0xfffe
	s_and_not1_b32 exec_lo, exec_lo, s6
	s_cbranch_execnz .LBB170_20
; %bb.21:
	s_or_b32 exec_lo, exec_lo, s6
.LBB170_22:
	s_wait_alu 0xfffe
	s_or_b32 exec_lo, exec_lo, s3
.LBB170_23:
	v_mbcnt_lo_u32_b32 v36, -1, 0
	s_delay_alu instid0(VALU_DEP_1) | instskip(NEXT) | instid1(VALU_DEP_1)
	v_xor_b32_e32 v9, 2, v36
	v_cmp_gt_i32_e32 vcc_lo, 32, v9
	s_wait_alu 0xfffd
	v_cndmask_b32_e32 v9, v36, v9, vcc_lo
	s_delay_alu instid0(VALU_DEP_1)
	v_lshlrev_b32_e32 v28, 2, v9
	ds_bpermute_b32 v9, v28, v18
	ds_bpermute_b32 v10, v28, v19
	;; [unrolled: 1-line block ×12, first 2 shown]
	s_wait_dscnt 0xa
	v_add_f64_e32 v[9:10], v[18:19], v[9:10]
	s_wait_dscnt 0x8
	v_add_f64_e32 v[28:29], v[15:16], v[11:12]
	;; [unrolled: 2-line block ×4, first 2 shown]
	v_xor_b32_e32 v20, 1, v36
	s_wait_dscnt 0x2
	v_add_f64_e32 v[13:14], v[26:27], v[32:33]
	s_wait_dscnt 0x0
	v_add_f64_e32 v[15:16], v[24:25], v[34:35]
	v_cmp_gt_i32_e32 vcc_lo, 32, v20
	s_wait_alu 0xfffd
	v_cndmask_b32_e32 v20, v36, v20, vcc_lo
	v_cmp_eq_u32_e32 vcc_lo, 3, v0
	s_delay_alu instid0(VALU_DEP_2)
	v_lshlrev_b32_e32 v27, 2, v20
	ds_bpermute_b32 v20, v27, v9
	ds_bpermute_b32 v21, v27, v10
	;; [unrolled: 1-line block ×12, first 2 shown]
	s_and_b32 exec_lo, exec_lo, vcc_lo
	s_cbranch_execz .LBB170_8
; %bb.24:
	s_wait_dscnt 0x8
	v_add_f64_e32 v[28:29], v[28:29], v[32:33]
	s_wait_dscnt 0x4
	v_add_f64_e32 v[18:19], v[18:19], v[30:31]
	;; [unrolled: 2-line block ×3, first 2 shown]
	v_add_f64_e32 v[9:10], v[9:10], v[20:21]
	v_add_f64_e32 v[11:12], v[11:12], v[22:23]
	;; [unrolled: 1-line block ×3, first 2 shown]
	v_cmp_eq_f64_e32 vcc_lo, 0, v[1:2]
	v_cmp_eq_f64_e64 s2, 0, v[3:4]
	s_load_b64 s[0:1], s[0:1], 0x60
	v_lshl_add_u32 v17, v17, 1, v17
	v_mul_f64_e64 v[13:14], v[28:29], -v[7:8]
	v_mul_f64_e32 v[22:23], v[5:6], v[28:29]
	v_mul_f64_e64 v[24:25], v[18:19], -v[7:8]
	v_mul_f64_e32 v[18:19], v[5:6], v[18:19]
	;; [unrolled: 2-line block ×3, first 2 shown]
	s_and_b32 s2, vcc_lo, s2
	v_fma_f64 v[13:14], v[5:6], v[9:10], v[13:14]
	v_fma_f64 v[15:16], v[7:8], v[9:10], v[22:23]
	;; [unrolled: 1-line block ×6, first 2 shown]
	v_ashrrev_i32_e32 v18, 31, v17
	s_wait_alu 0xfffe
	s_and_saveexec_b32 s3, s2
	s_wait_alu 0xfffe
	s_xor_b32 s2, exec_lo, s3
	s_cbranch_execz .LBB170_26
; %bb.25:
	v_lshlrev_b64_e32 v[0:1], 4, v[17:18]
                                        ; implicit-def: $vgpr17
	s_wait_kmcnt 0x0
	s_delay_alu instid0(VALU_DEP_1) | instskip(SKIP_1) | instid1(VALU_DEP_2)
	v_add_co_u32 v0, vcc_lo, s0, v0
	s_wait_alu 0xfffd
	v_add_co_ci_u32_e64 v1, null, s1, v1, vcc_lo
	s_clause 0x2
	global_store_b128 v[0:1], v[13:16], off
	global_store_b128 v[0:1], v[9:12], off offset:16
	global_store_b128 v[0:1], v[5:8], off offset:32
                                        ; implicit-def: $vgpr3_vgpr4
                                        ; implicit-def: $vgpr13_vgpr14
                                        ; implicit-def: $vgpr9_vgpr10
                                        ; implicit-def: $vgpr5_vgpr6
.LBB170_26:
	s_wait_alu 0xfffe
	s_and_not1_saveexec_b32 s2, s2
	s_cbranch_execz .LBB170_8
; %bb.27:
	v_lshlrev_b64_e32 v[17:18], 4, v[17:18]
	s_wait_kmcnt 0x0
	s_delay_alu instid0(VALU_DEP_1) | instskip(SKIP_1) | instid1(VALU_DEP_2)
	v_add_co_u32 v29, vcc_lo, s0, v17
	s_wait_alu 0xfffd
	v_add_co_ci_u32_e64 v30, null, s1, v18, vcc_lo
	s_clause 0x2
	global_load_b128 v[17:20], v[29:30], off
	global_load_b128 v[21:24], v[29:30], off offset:16
	global_load_b128 v[25:28], v[29:30], off offset:32
	s_wait_loadcnt 0x2
	v_fma_f64 v[13:14], v[1:2], v[17:18], v[13:14]
	v_fma_f64 v[15:16], v[3:4], v[17:18], v[15:16]
	s_wait_loadcnt 0x1
	v_fma_f64 v[9:10], v[1:2], v[21:22], v[9:10]
	v_fma_f64 v[11:12], v[3:4], v[21:22], v[11:12]
	;; [unrolled: 3-line block ×3, first 2 shown]
	v_fma_f64 v[5:6], -v[3:4], v[19:20], v[13:14]
	v_fma_f64 v[7:8], v[1:2], v[19:20], v[15:16]
	v_fma_f64 v[9:10], -v[3:4], v[23:24], v[9:10]
	v_fma_f64 v[11:12], v[1:2], v[23:24], v[11:12]
	;; [unrolled: 2-line block ×3, first 2 shown]
	s_clause 0x2
	global_store_b128 v[29:30], v[5:8], off
	global_store_b128 v[29:30], v[9:12], off offset:16
	global_store_b128 v[29:30], v[13:16], off offset:32
	s_endpgm
	.section	.rodata,"a",@progbits
	.p2align	6, 0x0
	.amdhsa_kernel _ZN9rocsparseL18bsrxmvn_3x3_kernelILj256ELj4E21rocsparse_complex_numIdEliS1_IfES2_S2_EEvT3_20rocsparse_direction_NS_24const_host_device_scalarIT1_EES4_PKS4_PKT2_SD_SA_PKT4_PKT5_S8_PT6_21rocsparse_index_base_b
		.amdhsa_group_segment_fixed_size 0
		.amdhsa_private_segment_fixed_size 0
		.amdhsa_kernarg_size 112
		.amdhsa_user_sgpr_count 2
		.amdhsa_user_sgpr_dispatch_ptr 0
		.amdhsa_user_sgpr_queue_ptr 0
		.amdhsa_user_sgpr_kernarg_segment_ptr 1
		.amdhsa_user_sgpr_dispatch_id 0
		.amdhsa_user_sgpr_private_segment_size 0
		.amdhsa_wavefront_size32 1
		.amdhsa_uses_dynamic_stack 0
		.amdhsa_enable_private_segment 0
		.amdhsa_system_sgpr_workgroup_id_x 1
		.amdhsa_system_sgpr_workgroup_id_y 0
		.amdhsa_system_sgpr_workgroup_id_z 0
		.amdhsa_system_sgpr_workgroup_info 0
		.amdhsa_system_vgpr_workitem_id 0
		.amdhsa_next_free_vgpr 74
		.amdhsa_next_free_sgpr 14
		.amdhsa_reserve_vcc 1
		.amdhsa_float_round_mode_32 0
		.amdhsa_float_round_mode_16_64 0
		.amdhsa_float_denorm_mode_32 3
		.amdhsa_float_denorm_mode_16_64 3
		.amdhsa_fp16_overflow 0
		.amdhsa_workgroup_processor_mode 1
		.amdhsa_memory_ordered 1
		.amdhsa_forward_progress 1
		.amdhsa_inst_pref_size 25
		.amdhsa_round_robin_scheduling 0
		.amdhsa_exception_fp_ieee_invalid_op 0
		.amdhsa_exception_fp_denorm_src 0
		.amdhsa_exception_fp_ieee_div_zero 0
		.amdhsa_exception_fp_ieee_overflow 0
		.amdhsa_exception_fp_ieee_underflow 0
		.amdhsa_exception_fp_ieee_inexact 0
		.amdhsa_exception_int_div_zero 0
	.end_amdhsa_kernel
	.section	.text._ZN9rocsparseL18bsrxmvn_3x3_kernelILj256ELj4E21rocsparse_complex_numIdEliS1_IfES2_S2_EEvT3_20rocsparse_direction_NS_24const_host_device_scalarIT1_EES4_PKS4_PKT2_SD_SA_PKT4_PKT5_S8_PT6_21rocsparse_index_base_b,"axG",@progbits,_ZN9rocsparseL18bsrxmvn_3x3_kernelILj256ELj4E21rocsparse_complex_numIdEliS1_IfES2_S2_EEvT3_20rocsparse_direction_NS_24const_host_device_scalarIT1_EES4_PKS4_PKT2_SD_SA_PKT4_PKT5_S8_PT6_21rocsparse_index_base_b,comdat
.Lfunc_end170:
	.size	_ZN9rocsparseL18bsrxmvn_3x3_kernelILj256ELj4E21rocsparse_complex_numIdEliS1_IfES2_S2_EEvT3_20rocsparse_direction_NS_24const_host_device_scalarIT1_EES4_PKS4_PKT2_SD_SA_PKT4_PKT5_S8_PT6_21rocsparse_index_base_b, .Lfunc_end170-_ZN9rocsparseL18bsrxmvn_3x3_kernelILj256ELj4E21rocsparse_complex_numIdEliS1_IfES2_S2_EEvT3_20rocsparse_direction_NS_24const_host_device_scalarIT1_EES4_PKS4_PKT2_SD_SA_PKT4_PKT5_S8_PT6_21rocsparse_index_base_b
                                        ; -- End function
	.set _ZN9rocsparseL18bsrxmvn_3x3_kernelILj256ELj4E21rocsparse_complex_numIdEliS1_IfES2_S2_EEvT3_20rocsparse_direction_NS_24const_host_device_scalarIT1_EES4_PKS4_PKT2_SD_SA_PKT4_PKT5_S8_PT6_21rocsparse_index_base_b.num_vgpr, 74
	.set _ZN9rocsparseL18bsrxmvn_3x3_kernelILj256ELj4E21rocsparse_complex_numIdEliS1_IfES2_S2_EEvT3_20rocsparse_direction_NS_24const_host_device_scalarIT1_EES4_PKS4_PKT2_SD_SA_PKT4_PKT5_S8_PT6_21rocsparse_index_base_b.num_agpr, 0
	.set _ZN9rocsparseL18bsrxmvn_3x3_kernelILj256ELj4E21rocsparse_complex_numIdEliS1_IfES2_S2_EEvT3_20rocsparse_direction_NS_24const_host_device_scalarIT1_EES4_PKS4_PKT2_SD_SA_PKT4_PKT5_S8_PT6_21rocsparse_index_base_b.numbered_sgpr, 14
	.set _ZN9rocsparseL18bsrxmvn_3x3_kernelILj256ELj4E21rocsparse_complex_numIdEliS1_IfES2_S2_EEvT3_20rocsparse_direction_NS_24const_host_device_scalarIT1_EES4_PKS4_PKT2_SD_SA_PKT4_PKT5_S8_PT6_21rocsparse_index_base_b.num_named_barrier, 0
	.set _ZN9rocsparseL18bsrxmvn_3x3_kernelILj256ELj4E21rocsparse_complex_numIdEliS1_IfES2_S2_EEvT3_20rocsparse_direction_NS_24const_host_device_scalarIT1_EES4_PKS4_PKT2_SD_SA_PKT4_PKT5_S8_PT6_21rocsparse_index_base_b.private_seg_size, 0
	.set _ZN9rocsparseL18bsrxmvn_3x3_kernelILj256ELj4E21rocsparse_complex_numIdEliS1_IfES2_S2_EEvT3_20rocsparse_direction_NS_24const_host_device_scalarIT1_EES4_PKS4_PKT2_SD_SA_PKT4_PKT5_S8_PT6_21rocsparse_index_base_b.uses_vcc, 1
	.set _ZN9rocsparseL18bsrxmvn_3x3_kernelILj256ELj4E21rocsparse_complex_numIdEliS1_IfES2_S2_EEvT3_20rocsparse_direction_NS_24const_host_device_scalarIT1_EES4_PKS4_PKT2_SD_SA_PKT4_PKT5_S8_PT6_21rocsparse_index_base_b.uses_flat_scratch, 0
	.set _ZN9rocsparseL18bsrxmvn_3x3_kernelILj256ELj4E21rocsparse_complex_numIdEliS1_IfES2_S2_EEvT3_20rocsparse_direction_NS_24const_host_device_scalarIT1_EES4_PKS4_PKT2_SD_SA_PKT4_PKT5_S8_PT6_21rocsparse_index_base_b.has_dyn_sized_stack, 0
	.set _ZN9rocsparseL18bsrxmvn_3x3_kernelILj256ELj4E21rocsparse_complex_numIdEliS1_IfES2_S2_EEvT3_20rocsparse_direction_NS_24const_host_device_scalarIT1_EES4_PKS4_PKT2_SD_SA_PKT4_PKT5_S8_PT6_21rocsparse_index_base_b.has_recursion, 0
	.set _ZN9rocsparseL18bsrxmvn_3x3_kernelILj256ELj4E21rocsparse_complex_numIdEliS1_IfES2_S2_EEvT3_20rocsparse_direction_NS_24const_host_device_scalarIT1_EES4_PKS4_PKT2_SD_SA_PKT4_PKT5_S8_PT6_21rocsparse_index_base_b.has_indirect_call, 0
	.section	.AMDGPU.csdata,"",@progbits
; Kernel info:
; codeLenInByte = 3096
; TotalNumSgprs: 16
; NumVgprs: 74
; ScratchSize: 0
; MemoryBound: 0
; FloatMode: 240
; IeeeMode: 1
; LDSByteSize: 0 bytes/workgroup (compile time only)
; SGPRBlocks: 0
; VGPRBlocks: 9
; NumSGPRsForWavesPerEU: 16
; NumVGPRsForWavesPerEU: 74
; Occupancy: 16
; WaveLimiterHint : 1
; COMPUTE_PGM_RSRC2:SCRATCH_EN: 0
; COMPUTE_PGM_RSRC2:USER_SGPR: 2
; COMPUTE_PGM_RSRC2:TRAP_HANDLER: 0
; COMPUTE_PGM_RSRC2:TGID_X_EN: 1
; COMPUTE_PGM_RSRC2:TGID_Y_EN: 0
; COMPUTE_PGM_RSRC2:TGID_Z_EN: 0
; COMPUTE_PGM_RSRC2:TIDIG_COMP_CNT: 0
	.section	.text._ZN9rocsparseL18bsrxmvn_3x3_kernelILj256ELj8E21rocsparse_complex_numIdEliS1_IfES2_S2_EEvT3_20rocsparse_direction_NS_24const_host_device_scalarIT1_EES4_PKS4_PKT2_SD_SA_PKT4_PKT5_S8_PT6_21rocsparse_index_base_b,"axG",@progbits,_ZN9rocsparseL18bsrxmvn_3x3_kernelILj256ELj8E21rocsparse_complex_numIdEliS1_IfES2_S2_EEvT3_20rocsparse_direction_NS_24const_host_device_scalarIT1_EES4_PKS4_PKT2_SD_SA_PKT4_PKT5_S8_PT6_21rocsparse_index_base_b,comdat
	.globl	_ZN9rocsparseL18bsrxmvn_3x3_kernelILj256ELj8E21rocsparse_complex_numIdEliS1_IfES2_S2_EEvT3_20rocsparse_direction_NS_24const_host_device_scalarIT1_EES4_PKS4_PKT2_SD_SA_PKT4_PKT5_S8_PT6_21rocsparse_index_base_b ; -- Begin function _ZN9rocsparseL18bsrxmvn_3x3_kernelILj256ELj8E21rocsparse_complex_numIdEliS1_IfES2_S2_EEvT3_20rocsparse_direction_NS_24const_host_device_scalarIT1_EES4_PKS4_PKT2_SD_SA_PKT4_PKT5_S8_PT6_21rocsparse_index_base_b
	.p2align	8
	.type	_ZN9rocsparseL18bsrxmvn_3x3_kernelILj256ELj8E21rocsparse_complex_numIdEliS1_IfES2_S2_EEvT3_20rocsparse_direction_NS_24const_host_device_scalarIT1_EES4_PKS4_PKT2_SD_SA_PKT4_PKT5_S8_PT6_21rocsparse_index_base_b,@function
_ZN9rocsparseL18bsrxmvn_3x3_kernelILj256ELj8E21rocsparse_complex_numIdEliS1_IfES2_S2_EEvT3_20rocsparse_direction_NS_24const_host_device_scalarIT1_EES4_PKS4_PKT2_SD_SA_PKT4_PKT5_S8_PT6_21rocsparse_index_base_b: ; @_ZN9rocsparseL18bsrxmvn_3x3_kernelILj256ELj8E21rocsparse_complex_numIdEliS1_IfES2_S2_EEvT3_20rocsparse_direction_NS_24const_host_device_scalarIT1_EES4_PKS4_PKT2_SD_SA_PKT4_PKT5_S8_PT6_21rocsparse_index_base_b
; %bb.0:
	s_clause 0x1
	s_load_b64 s[12:13], s[0:1], 0x68
	s_load_b64 s[2:3], s[0:1], 0x8
	s_add_nc_u64 s[4:5], s[0:1], 8
	s_load_b64 s[6:7], s[0:1], 0x50
	s_wait_kmcnt 0x0
	s_bitcmp1_b32 s13, 0
	s_cselect_b32 s2, s4, s2
	s_cselect_b32 s3, s5, s3
	s_delay_alu instid0(SALU_CYCLE_1)
	v_dual_mov_b32 v1, s2 :: v_dual_mov_b32 v2, s3
	s_add_nc_u64 s[2:3], s[0:1], 0x50
	s_wait_alu 0xfffe
	s_cselect_b32 s2, s2, s6
	s_cselect_b32 s3, s3, s7
	flat_load_b128 v[5:8], v[1:2]
	s_wait_alu 0xfffe
	v_dual_mov_b32 v1, s2 :: v_dual_mov_b32 v2, s3
	flat_load_b128 v[1:4], v[1:2]
	s_wait_loadcnt_dscnt 0x101
	v_cmp_eq_f64_e32 vcc_lo, 0, v[5:6]
	v_cmp_eq_f64_e64 s2, 0, v[7:8]
	s_and_b32 s4, vcc_lo, s2
	s_mov_b32 s2, -1
	s_and_saveexec_b32 s3, s4
	s_cbranch_execz .LBB171_2
; %bb.1:
	s_wait_loadcnt_dscnt 0x0
	v_cmp_neq_f64_e32 vcc_lo, 1.0, v[1:2]
	v_cmp_neq_f64_e64 s2, 0, v[3:4]
	s_wait_alu 0xfffe
	s_or_b32 s2, vcc_lo, s2
	s_wait_alu 0xfffe
	s_or_not1_b32 s2, s2, exec_lo
.LBB171_2:
	s_wait_alu 0xfffe
	s_or_b32 exec_lo, exec_lo, s3
	s_and_saveexec_b32 s3, s2
	s_cbranch_execz .LBB171_8
; %bb.3:
	s_clause 0x1
	s_load_b64 s[4:5], s[0:1], 0x20
	s_load_b64 s[2:3], s[0:1], 0x0
	v_lshrrev_b32_e32 v9, 3, v0
	s_delay_alu instid0(VALU_DEP_1)
	v_lshl_or_b32 v17, ttmp9, 5, v9
	s_wait_kmcnt 0x0
	s_cmp_lg_u64 s[4:5], 0
	s_cbranch_scc0 .LBB171_9
; %bb.4:
	s_load_b32 s6, s[0:1], 0x18
	s_mov_b32 s7, 0
                                        ; implicit-def: $vgpr9
	s_wait_kmcnt 0x0
	v_cmp_gt_i32_e32 vcc_lo, s6, v17
	s_mov_b32 s6, 0
	s_and_saveexec_b32 s8, vcc_lo
	s_delay_alu instid0(SALU_CYCLE_1)
	s_xor_b32 s8, exec_lo, s8
	s_cbranch_execz .LBB171_6
; %bb.5:
	v_ashrrev_i32_e32 v18, 31, v17
	s_mov_b32 s6, exec_lo
	s_delay_alu instid0(VALU_DEP_1) | instskip(NEXT) | instid1(VALU_DEP_1)
	v_lshlrev_b64_e32 v[9:10], 2, v[17:18]
	v_add_co_u32 v9, vcc_lo, s4, v9
	s_delay_alu instid0(VALU_DEP_1)
	v_add_co_ci_u32_e64 v10, null, s5, v10, vcc_lo
	global_load_b32 v9, v[9:10], off
	s_wait_loadcnt 0x0
	v_subrev_nc_u32_e32 v9, s12, v9
.LBB171_6:
	s_or_b32 exec_lo, exec_lo, s8
	s_delay_alu instid0(SALU_CYCLE_1)
	s_and_b32 vcc_lo, exec_lo, s7
	s_wait_alu 0xfffe
	s_cbranch_vccz .LBB171_10
.LBB171_7:
	v_cmp_gt_i32_e32 vcc_lo, s2, v17
	s_and_not1_b32 s2, s6, exec_lo
	s_and_b32 s4, vcc_lo, exec_lo
	s_wait_alu 0xfffe
	s_or_b32 s6, s2, s4
	s_wait_alu 0xfffe
	s_and_b32 exec_lo, exec_lo, s6
	s_cbranch_execnz .LBB171_11
.LBB171_8:
	s_endpgm
.LBB171_9:
	s_mov_b32 s6, 0
                                        ; implicit-def: $vgpr9
	s_cbranch_execnz .LBB171_7
.LBB171_10:
	v_mov_b32_e32 v17, v9
	s_and_b32 exec_lo, exec_lo, s6
	s_cbranch_execz .LBB171_8
.LBB171_11:
	s_load_b256 s[4:11], s[0:1], 0x28
	s_delay_alu instid0(VALU_DEP_1) | instskip(SKIP_1) | instid1(VALU_DEP_2)
	v_ashrrev_i32_e32 v18, 31, v17
	v_and_b32_e32 v0, 7, v0
	v_lshlrev_b64_e32 v[9:10], 3, v[17:18]
	s_wait_kmcnt 0x0
	s_delay_alu instid0(VALU_DEP_1) | instskip(SKIP_1) | instid1(VALU_DEP_2)
	v_add_co_u32 v11, vcc_lo, s4, v9
	s_wait_alu 0xfffd
	v_add_co_ci_u32_e64 v12, null, s5, v10, vcc_lo
	v_add_co_u32 v9, vcc_lo, s6, v9
	s_wait_alu 0xfffd
	v_add_co_ci_u32_e64 v10, null, s7, v10, vcc_lo
	global_load_b64 v[13:14], v[11:12], off
	v_add_co_u32 v11, vcc_lo, v11, 8
	s_wait_alu 0xfffd
	v_add_co_ci_u32_e64 v12, null, 0, v12, vcc_lo
	s_cmp_eq_u64 s[6:7], 0
	s_load_b64 s[4:5], s[0:1], 0x48
	s_cselect_b32 vcc_lo, -1, 0
	s_cmp_eq_u32 s3, 1
	s_wait_alu 0xfffe
	v_dual_cndmask_b32 v10, v10, v12 :: v_dual_cndmask_b32 v9, v9, v11
	global_load_b64 v[15:16], v[9:10], off
	s_wait_loadcnt 0x1
	v_sub_co_u32 v9, vcc_lo, v13, s12
	s_wait_alu 0xfffd
	v_subrev_co_ci_u32_e64 v10, null, 0, v14, vcc_lo
	s_delay_alu instid0(VALU_DEP_2) | instskip(SKIP_1) | instid1(VALU_DEP_2)
	v_add_co_u32 v9, vcc_lo, v9, v0
	s_wait_alu 0xfffd
	v_add_co_ci_u32_e64 v10, null, 0, v10, vcc_lo
	s_delay_alu instid0(VALU_DEP_2) | instskip(NEXT) | instid1(VALU_DEP_1)
	v_mad_co_u64_u32 v[11:12], null, 0x48, v9, s[10:11]
	v_mad_co_u64_u32 v[12:13], null, 0x48, v10, v[12:13]
	s_wait_loadcnt 0x0
	v_sub_co_u32 v13, vcc_lo, v15, s12
	s_wait_alu 0xfffd
	v_subrev_co_ci_u32_e64 v14, null, 0, v16, vcc_lo
	s_delay_alu instid0(VALU_DEP_1)
	v_cmp_lt_i64_e64 s2, v[9:10], v[13:14]
	s_cbranch_scc1 .LBB171_17
; %bb.12:
	v_mov_b32_e32 v20, 0
	v_dual_mov_b32 v24, 0 :: v_dual_mov_b32 v15, 0
	v_dual_mov_b32 v18, 0 :: v_dual_mov_b32 v21, 0
	v_dual_mov_b32 v22, 0 :: v_dual_mov_b32 v25, 0
	v_mov_b32_e32 v26, 0
	v_dual_mov_b32 v16, 0 :: v_dual_mov_b32 v19, 0
	v_mov_b32_e32 v23, 0
	v_mov_b32_e32 v27, 0
	s_and_saveexec_b32 s6, s2
	s_cbranch_execz .LBB171_16
; %bb.13:
	v_lshlrev_b64_e32 v[18:19], 2, v[9:10]
	v_dual_mov_b32 v15, 0 :: v_dual_mov_b32 v22, 0
	v_dual_mov_b32 v16, 0 :: v_dual_mov_b32 v29, v10
	;; [unrolled: 1-line block ×3, first 2 shown]
	s_delay_alu instid0(VALU_DEP_4)
	v_add_co_u32 v30, vcc_lo, s8, v18
	s_wait_alu 0xfffd
	v_add_co_ci_u32_e64 v31, null, s9, v19, vcc_lo
	v_mov_b32_e32 v18, 0
	v_dual_mov_b32 v19, 0 :: v_dual_mov_b32 v20, 0
	v_dual_mov_b32 v26, 0 :: v_dual_mov_b32 v33, v12
	;; [unrolled: 1-line block ×3, first 2 shown]
	v_mov_b32_e32 v25, 0
	v_dual_mov_b32 v27, 0 :: v_dual_mov_b32 v32, v11
	s_mov_b32 s7, 0
.LBB171_14:                             ; =>This Inner Loop Header: Depth=1
	global_load_b32 v46, v[30:31], off
	s_clause 0x2
	global_load_b128 v[34:37], v[32:33], off
	global_load_b128 v[38:41], v[32:33], off offset:16
	global_load_b128 v[42:45], v[32:33], off offset:48
	v_add_co_u32 v30, s3, v30, 32
	s_wait_alu 0xf1ff
	v_add_co_ci_u32_e64 v31, null, 0, v31, s3
	s_wait_loadcnt 0x3
	v_subrev_nc_u32_e32 v46, s12, v46
	s_wait_loadcnt 0x2
	v_cvt_f64_f32_e32 v[64:65], v34
	v_cvt_f64_f32_e32 v[34:35], v35
	s_wait_loadcnt 0x1
	v_cvt_f64_f32_e32 v[66:67], v40
	v_cvt_f64_f32_e32 v[40:41], v41
	v_lshl_add_u32 v46, v46, 1, v46
	s_wait_loadcnt 0x0
	v_cvt_f64_f32_e32 v[68:69], v42
	v_cvt_f64_f32_e32 v[42:43], v43
	;; [unrolled: 1-line block ×4, first 2 shown]
	v_ashrrev_i32_e32 v47, 31, v46
	s_delay_alu instid0(VALU_DEP_1) | instskip(SKIP_1) | instid1(VALU_DEP_1)
	v_lshlrev_b64_e32 v[46:47], 4, v[46:47]
	s_wait_kmcnt 0x0
	v_add_co_u32 v58, vcc_lo, s4, v46
	s_wait_alu 0xfffd
	s_delay_alu instid0(VALU_DEP_2)
	v_add_co_ci_u32_e64 v59, null, s5, v47, vcc_lo
	v_add_co_u32 v28, vcc_lo, v28, 8
	s_wait_alu 0xfffd
	v_add_co_ci_u32_e64 v29, null, 0, v29, vcc_lo
	s_clause 0x1
	global_load_b128 v[46:49], v[58:59], off
	global_load_b128 v[50:53], v[58:59], off offset:16
	s_clause 0x1
	global_load_b128 v[54:57], v[32:33], off offset:32
	global_load_b64 v[62:63], v[32:33], off offset:64
	global_load_b128 v[58:61], v[58:59], off offset:32
	v_add_co_u32 v32, vcc_lo, 0x240, v32
	s_wait_alu 0xfffd
	v_add_co_ci_u32_e64 v33, null, 0, v33, vcc_lo
	v_cmp_ge_i64_e32 vcc_lo, v[28:29], v[13:14]
	s_wait_alu 0xfffe
	s_or_b32 s7, vcc_lo, s7
	s_wait_loadcnt 0x4
	v_fma_f64 v[18:19], v[64:65], v[46:47], v[18:19]
	v_fma_f64 v[15:16], v[34:35], v[46:47], v[15:16]
	;; [unrolled: 1-line block ×6, first 2 shown]
	v_cvt_f64_f32_e32 v[46:47], v36
	v_cvt_f64_f32_e32 v[36:37], v37
	s_wait_loadcnt 0x2
	v_cvt_f64_f32_e32 v[70:71], v54
	v_cvt_f64_f32_e32 v[54:55], v55
	v_fma_f64 v[18:19], -v[34:35], v[48:49], v[18:19]
	v_fma_f64 v[15:16], v[64:65], v[48:49], v[15:16]
	v_fma_f64 v[22:23], -v[40:41], v[48:49], v[22:23]
	v_fma_f64 v[20:21], v[66:67], v[48:49], v[20:21]
	;; [unrolled: 2-line block ×3, first 2 shown]
	v_cvt_f64_f32_e32 v[34:35], v38
	v_cvt_f64_f32_e32 v[38:39], v39
	;; [unrolled: 1-line block ×4, first 2 shown]
	s_wait_loadcnt 0x1
	v_cvt_f64_f32_e32 v[48:49], v62
	v_fma_f64 v[18:19], v[46:47], v[50:51], v[18:19]
	v_fma_f64 v[15:16], v[36:37], v[50:51], v[15:16]
	;; [unrolled: 1-line block ×6, first 2 shown]
	v_cvt_f64_f32_e32 v[50:51], v63
	v_fma_f64 v[18:19], -v[36:37], v[52:53], v[18:19]
	v_fma_f64 v[15:16], v[46:47], v[52:53], v[15:16]
	v_fma_f64 v[22:23], -v[54:55], v[52:53], v[22:23]
	v_fma_f64 v[20:21], v[70:71], v[52:53], v[20:21]
	v_fma_f64 v[26:27], -v[44:45], v[52:53], v[26:27]
	v_fma_f64 v[24:25], v[72:73], v[52:53], v[24:25]
	s_wait_loadcnt 0x0
	v_fma_f64 v[18:19], v[34:35], v[58:59], v[18:19]
	v_fma_f64 v[15:16], v[38:39], v[58:59], v[15:16]
	;; [unrolled: 1-line block ×6, first 2 shown]
	v_fma_f64 v[18:19], -v[38:39], v[60:61], v[18:19]
	v_fma_f64 v[15:16], v[34:35], v[60:61], v[15:16]
	v_fma_f64 v[22:23], -v[42:43], v[60:61], v[22:23]
	v_fma_f64 v[20:21], v[40:41], v[60:61], v[20:21]
	;; [unrolled: 2-line block ×3, first 2 shown]
	s_wait_alu 0xfffe
	s_and_not1_b32 exec_lo, exec_lo, s7
	s_cbranch_execnz .LBB171_14
; %bb.15:
	s_or_b32 exec_lo, exec_lo, s7
.LBB171_16:
	s_wait_alu 0xfffe
	s_or_b32 exec_lo, exec_lo, s6
	s_cbranch_execz .LBB171_18
	s_branch .LBB171_23
.LBB171_17:
                                        ; implicit-def: $vgpr15_vgpr16
                                        ; implicit-def: $vgpr18_vgpr19
                                        ; implicit-def: $vgpr20_vgpr21
                                        ; implicit-def: $vgpr22_vgpr23
                                        ; implicit-def: $vgpr24_vgpr25
                                        ; implicit-def: $vgpr26_vgpr27
.LBB171_18:
	v_mov_b32_e32 v20, 0
	v_dual_mov_b32 v24, 0 :: v_dual_mov_b32 v15, 0
	v_dual_mov_b32 v18, 0 :: v_dual_mov_b32 v21, 0
	;; [unrolled: 1-line block ×3, first 2 shown]
	v_mov_b32_e32 v26, 0
	v_dual_mov_b32 v16, 0 :: v_dual_mov_b32 v19, 0
	v_mov_b32_e32 v23, 0
	v_mov_b32_e32 v27, 0
	s_and_saveexec_b32 s3, s2
	s_cbranch_execz .LBB171_22
; %bb.19:
	v_lshlrev_b64_e32 v[28:29], 2, v[9:10]
	v_mov_b32_e32 v20, 0
	v_dual_mov_b32 v24, 0 :: v_dual_mov_b32 v15, 0
	v_dual_mov_b32 v18, 0 :: v_dual_mov_b32 v21, 0
	v_mov_b32_e32 v22, 0
	v_add_co_u32 v28, vcc_lo, s8, v28
	v_dual_mov_b32 v25, 0 :: v_dual_mov_b32 v26, 0
	v_dual_mov_b32 v16, 0 :: v_dual_mov_b32 v19, 0
	v_mov_b32_e32 v23, 0
	v_mov_b32_e32 v27, 0
	s_wait_alu 0xfffd
	v_add_co_ci_u32_e64 v29, null, s9, v29, vcc_lo
	s_mov_b32 s6, 0
.LBB171_20:                             ; =>This Inner Loop Header: Depth=1
	global_load_b32 v38, v[28:29], off
	s_clause 0x1
	global_load_b128 v[30:33], v[11:12], off
	global_load_b128 v[34:37], v[11:12], off offset:16
	v_add_co_u32 v28, s2, v28, 32
	s_wait_alu 0xf1ff
	v_add_co_ci_u32_e64 v29, null, 0, v29, s2
	s_wait_loadcnt 0x2
	v_subrev_nc_u32_e32 v38, s12, v38
	s_wait_loadcnt 0x1
	v_cvt_f64_f32_e32 v[60:61], v30
	v_cvt_f64_f32_e32 v[30:31], v31
	;; [unrolled: 1-line block ×4, first 2 shown]
	v_lshl_add_u32 v38, v38, 1, v38
	s_wait_loadcnt 0x0
	v_cvt_f64_f32_e32 v[64:65], v34
	v_cvt_f64_f32_e32 v[34:35], v35
	s_delay_alu instid0(VALU_DEP_3) | instskip(NEXT) | instid1(VALU_DEP_1)
	v_ashrrev_i32_e32 v39, 31, v38
	v_lshlrev_b64_e32 v[38:39], 4, v[38:39]
	s_wait_kmcnt 0x0
	s_delay_alu instid0(VALU_DEP_1) | instskip(SKIP_1) | instid1(VALU_DEP_2)
	v_add_co_u32 v54, vcc_lo, s4, v38
	s_wait_alu 0xfffd
	v_add_co_ci_u32_e64 v55, null, s5, v39, vcc_lo
	v_add_co_u32 v9, vcc_lo, v9, 8
	s_wait_alu 0xfffd
	v_add_co_ci_u32_e64 v10, null, 0, v10, vcc_lo
	s_clause 0x1
	global_load_b128 v[38:41], v[54:55], off
	global_load_b128 v[42:45], v[54:55], off offset:16
	s_clause 0x2
	global_load_b128 v[46:49], v[11:12], off offset:32
	global_load_b128 v[50:53], v[11:12], off offset:48
	global_load_b64 v[58:59], v[11:12], off offset:64
	global_load_b128 v[54:57], v[54:55], off offset:32
	v_add_co_u32 v11, vcc_lo, 0x240, v11
	s_wait_alu 0xfffd
	v_add_co_ci_u32_e64 v12, null, 0, v12, vcc_lo
	v_cmp_ge_i64_e32 vcc_lo, v[9:10], v[13:14]
	s_wait_alu 0xfffe
	s_or_b32 s6, vcc_lo, s6
	s_wait_loadcnt 0x5
	v_fma_f64 v[18:19], v[60:61], v[38:39], v[18:19]
	v_fma_f64 v[15:16], v[30:31], v[38:39], v[15:16]
	;; [unrolled: 1-line block ×6, first 2 shown]
	v_cvt_f64_f32_e32 v[38:39], v36
	v_cvt_f64_f32_e32 v[36:37], v37
	s_wait_loadcnt 0x3
	v_cvt_f64_f32_e32 v[66:67], v46
	v_cvt_f64_f32_e32 v[46:47], v47
	v_cvt_f64_f32_e32 v[68:69], v48
	v_cvt_f64_f32_e32 v[48:49], v49
	v_fma_f64 v[18:19], -v[30:31], v[40:41], v[18:19]
	v_fma_f64 v[15:16], v[60:61], v[40:41], v[15:16]
	v_fma_f64 v[22:23], -v[32:33], v[40:41], v[22:23]
	v_fma_f64 v[20:21], v[62:63], v[40:41], v[20:21]
	;; [unrolled: 2-line block ×3, first 2 shown]
	s_wait_loadcnt 0x2
	v_cvt_f64_f32_e32 v[30:31], v50
	v_cvt_f64_f32_e32 v[32:33], v51
	;; [unrolled: 1-line block ×4, first 2 shown]
	s_wait_loadcnt 0x1
	v_cvt_f64_f32_e32 v[50:51], v59
	v_fma_f64 v[18:19], v[38:39], v[42:43], v[18:19]
	v_fma_f64 v[15:16], v[36:37], v[42:43], v[15:16]
	;; [unrolled: 1-line block ×6, first 2 shown]
	v_cvt_f64_f32_e32 v[42:43], v58
	v_fma_f64 v[18:19], -v[36:37], v[44:45], v[18:19]
	v_fma_f64 v[15:16], v[38:39], v[44:45], v[15:16]
	v_fma_f64 v[22:23], -v[46:47], v[44:45], v[22:23]
	v_fma_f64 v[20:21], v[66:67], v[44:45], v[20:21]
	;; [unrolled: 2-line block ×3, first 2 shown]
	s_wait_loadcnt 0x0
	v_fma_f64 v[18:19], v[30:31], v[54:55], v[18:19]
	v_fma_f64 v[15:16], v[32:33], v[54:55], v[15:16]
	;; [unrolled: 1-line block ×6, first 2 shown]
	v_fma_f64 v[18:19], -v[32:33], v[56:57], v[18:19]
	v_fma_f64 v[15:16], v[30:31], v[56:57], v[15:16]
	v_fma_f64 v[22:23], -v[40:41], v[56:57], v[22:23]
	v_fma_f64 v[20:21], v[34:35], v[56:57], v[20:21]
	;; [unrolled: 2-line block ×3, first 2 shown]
	s_wait_alu 0xfffe
	s_and_not1_b32 exec_lo, exec_lo, s6
	s_cbranch_execnz .LBB171_20
; %bb.21:
	s_or_b32 exec_lo, exec_lo, s6
.LBB171_22:
	s_wait_alu 0xfffe
	s_or_b32 exec_lo, exec_lo, s3
.LBB171_23:
	v_mbcnt_lo_u32_b32 v34, -1, 0
	s_delay_alu instid0(VALU_DEP_1) | instskip(NEXT) | instid1(VALU_DEP_1)
	v_xor_b32_e32 v9, 4, v34
	v_cmp_gt_i32_e32 vcc_lo, 32, v9
	s_wait_alu 0xfffd
	v_cndmask_b32_e32 v9, v34, v9, vcc_lo
	s_delay_alu instid0(VALU_DEP_1)
	v_lshlrev_b32_e32 v33, 2, v9
	ds_bpermute_b32 v9, v33, v18
	ds_bpermute_b32 v10, v33, v19
	s_wait_dscnt 0x0
	v_add_f64_e32 v[9:10], v[18:19], v[9:10]
	v_xor_b32_e32 v18, 2, v34
	s_delay_alu instid0(VALU_DEP_1)
	v_cmp_gt_i32_e32 vcc_lo, 32, v18
	s_wait_alu 0xfffd
	v_cndmask_b32_e32 v18, v34, v18, vcc_lo
	ds_bpermute_b32 v11, v33, v15
	ds_bpermute_b32 v12, v33, v16
	;; [unrolled: 1-line block ×10, first 2 shown]
	s_wait_dscnt 0x8
	v_add_f64_e32 v[11:12], v[15:16], v[11:12]
	s_wait_dscnt 0x6
	v_add_f64_e32 v[13:14], v[22:23], v[13:14]
	;; [unrolled: 2-line block ×5, first 2 shown]
	v_lshlrev_b32_e32 v33, 2, v18
	ds_bpermute_b32 v22, v33, v11
	ds_bpermute_b32 v23, v33, v12
	;; [unrolled: 1-line block ×6, first 2 shown]
	s_wait_dscnt 0x4
	v_add_f64_e32 v[22:23], v[11:12], v[22:23]
	s_wait_dscnt 0x2
	v_add_f64_e32 v[11:12], v[13:14], v[26:27]
	;; [unrolled: 2-line block ×3, first 2 shown]
	v_xor_b32_e32 v20, 1, v34
	s_delay_alu instid0(VALU_DEP_1)
	v_cmp_gt_i32_e32 vcc_lo, 32, v20
	s_wait_alu 0xfffd
	v_cndmask_b32_e32 v20, v34, v20, vcc_lo
	ds_bpermute_b32 v18, v33, v9
	ds_bpermute_b32 v19, v33, v10
	;; [unrolled: 1-line block ×6, first 2 shown]
	v_cmp_eq_u32_e32 vcc_lo, 7, v0
	s_wait_dscnt 0x4
	v_add_f64_e32 v[9:10], v[9:10], v[18:19]
	s_wait_dscnt 0x2
	v_add_f64_e32 v[18:19], v[15:16], v[28:29]
	v_lshlrev_b32_e32 v29, 2, v20
	s_wait_dscnt 0x0
	v_add_f64_e32 v[15:16], v[24:25], v[32:33]
	ds_bpermute_b32 v32, v29, v22
	ds_bpermute_b32 v33, v29, v23
	;; [unrolled: 1-line block ×12, first 2 shown]
	s_and_b32 exec_lo, exec_lo, vcc_lo
	s_cbranch_execz .LBB171_8
; %bb.24:
	s_wait_dscnt 0xa
	v_add_f64_e32 v[22:23], v[22:23], v[32:33]
	s_wait_dscnt 0x2
	v_add_f64_e32 v[18:19], v[18:19], v[30:31]
	;; [unrolled: 2-line block ×3, first 2 shown]
	v_add_f64_e32 v[9:10], v[9:10], v[20:21]
	v_add_f64_e32 v[11:12], v[11:12], v[24:25]
	;; [unrolled: 1-line block ×3, first 2 shown]
	v_cmp_eq_f64_e32 vcc_lo, 0, v[1:2]
	v_cmp_eq_f64_e64 s2, 0, v[3:4]
	s_load_b64 s[0:1], s[0:1], 0x60
	v_lshl_add_u32 v17, v17, 1, v17
	v_mul_f64_e64 v[13:14], v[22:23], -v[7:8]
	v_mul_f64_e32 v[22:23], v[5:6], v[22:23]
	v_mul_f64_e64 v[24:25], v[18:19], -v[7:8]
	v_mul_f64_e32 v[18:19], v[5:6], v[18:19]
	;; [unrolled: 2-line block ×3, first 2 shown]
	s_and_b32 s2, vcc_lo, s2
	v_fma_f64 v[13:14], v[5:6], v[9:10], v[13:14]
	v_fma_f64 v[15:16], v[7:8], v[9:10], v[22:23]
	;; [unrolled: 1-line block ×6, first 2 shown]
	v_ashrrev_i32_e32 v18, 31, v17
	s_wait_alu 0xfffe
	s_and_saveexec_b32 s3, s2
	s_wait_alu 0xfffe
	s_xor_b32 s2, exec_lo, s3
	s_cbranch_execz .LBB171_26
; %bb.25:
	v_lshlrev_b64_e32 v[0:1], 4, v[17:18]
                                        ; implicit-def: $vgpr17
	s_wait_kmcnt 0x0
	s_delay_alu instid0(VALU_DEP_1) | instskip(SKIP_1) | instid1(VALU_DEP_2)
	v_add_co_u32 v0, vcc_lo, s0, v0
	s_wait_alu 0xfffd
	v_add_co_ci_u32_e64 v1, null, s1, v1, vcc_lo
	s_clause 0x2
	global_store_b128 v[0:1], v[13:16], off
	global_store_b128 v[0:1], v[9:12], off offset:16
	global_store_b128 v[0:1], v[5:8], off offset:32
                                        ; implicit-def: $vgpr3_vgpr4
                                        ; implicit-def: $vgpr13_vgpr14
                                        ; implicit-def: $vgpr9_vgpr10
                                        ; implicit-def: $vgpr5_vgpr6
.LBB171_26:
	s_wait_alu 0xfffe
	s_and_not1_saveexec_b32 s2, s2
	s_cbranch_execz .LBB171_8
; %bb.27:
	v_lshlrev_b64_e32 v[17:18], 4, v[17:18]
	s_wait_kmcnt 0x0
	s_delay_alu instid0(VALU_DEP_1) | instskip(SKIP_1) | instid1(VALU_DEP_2)
	v_add_co_u32 v29, vcc_lo, s0, v17
	s_wait_alu 0xfffd
	v_add_co_ci_u32_e64 v30, null, s1, v18, vcc_lo
	s_clause 0x2
	global_load_b128 v[17:20], v[29:30], off
	global_load_b128 v[21:24], v[29:30], off offset:16
	global_load_b128 v[25:28], v[29:30], off offset:32
	s_wait_loadcnt 0x2
	v_fma_f64 v[13:14], v[1:2], v[17:18], v[13:14]
	v_fma_f64 v[15:16], v[3:4], v[17:18], v[15:16]
	s_wait_loadcnt 0x1
	v_fma_f64 v[9:10], v[1:2], v[21:22], v[9:10]
	v_fma_f64 v[11:12], v[3:4], v[21:22], v[11:12]
	;; [unrolled: 3-line block ×3, first 2 shown]
	v_fma_f64 v[5:6], -v[3:4], v[19:20], v[13:14]
	v_fma_f64 v[7:8], v[1:2], v[19:20], v[15:16]
	v_fma_f64 v[9:10], -v[3:4], v[23:24], v[9:10]
	v_fma_f64 v[11:12], v[1:2], v[23:24], v[11:12]
	;; [unrolled: 2-line block ×3, first 2 shown]
	s_clause 0x2
	global_store_b128 v[29:30], v[5:8], off
	global_store_b128 v[29:30], v[9:12], off offset:16
	global_store_b128 v[29:30], v[13:16], off offset:32
	s_endpgm
	.section	.rodata,"a",@progbits
	.p2align	6, 0x0
	.amdhsa_kernel _ZN9rocsparseL18bsrxmvn_3x3_kernelILj256ELj8E21rocsparse_complex_numIdEliS1_IfES2_S2_EEvT3_20rocsparse_direction_NS_24const_host_device_scalarIT1_EES4_PKS4_PKT2_SD_SA_PKT4_PKT5_S8_PT6_21rocsparse_index_base_b
		.amdhsa_group_segment_fixed_size 0
		.amdhsa_private_segment_fixed_size 0
		.amdhsa_kernarg_size 112
		.amdhsa_user_sgpr_count 2
		.amdhsa_user_sgpr_dispatch_ptr 0
		.amdhsa_user_sgpr_queue_ptr 0
		.amdhsa_user_sgpr_kernarg_segment_ptr 1
		.amdhsa_user_sgpr_dispatch_id 0
		.amdhsa_user_sgpr_private_segment_size 0
		.amdhsa_wavefront_size32 1
		.amdhsa_uses_dynamic_stack 0
		.amdhsa_enable_private_segment 0
		.amdhsa_system_sgpr_workgroup_id_x 1
		.amdhsa_system_sgpr_workgroup_id_y 0
		.amdhsa_system_sgpr_workgroup_id_z 0
		.amdhsa_system_sgpr_workgroup_info 0
		.amdhsa_system_vgpr_workitem_id 0
		.amdhsa_next_free_vgpr 74
		.amdhsa_next_free_sgpr 14
		.amdhsa_reserve_vcc 1
		.amdhsa_float_round_mode_32 0
		.amdhsa_float_round_mode_16_64 0
		.amdhsa_float_denorm_mode_32 3
		.amdhsa_float_denorm_mode_16_64 3
		.amdhsa_fp16_overflow 0
		.amdhsa_workgroup_processor_mode 1
		.amdhsa_memory_ordered 1
		.amdhsa_forward_progress 1
		.amdhsa_inst_pref_size 26
		.amdhsa_round_robin_scheduling 0
		.amdhsa_exception_fp_ieee_invalid_op 0
		.amdhsa_exception_fp_denorm_src 0
		.amdhsa_exception_fp_ieee_div_zero 0
		.amdhsa_exception_fp_ieee_overflow 0
		.amdhsa_exception_fp_ieee_underflow 0
		.amdhsa_exception_fp_ieee_inexact 0
		.amdhsa_exception_int_div_zero 0
	.end_amdhsa_kernel
	.section	.text._ZN9rocsparseL18bsrxmvn_3x3_kernelILj256ELj8E21rocsparse_complex_numIdEliS1_IfES2_S2_EEvT3_20rocsparse_direction_NS_24const_host_device_scalarIT1_EES4_PKS4_PKT2_SD_SA_PKT4_PKT5_S8_PT6_21rocsparse_index_base_b,"axG",@progbits,_ZN9rocsparseL18bsrxmvn_3x3_kernelILj256ELj8E21rocsparse_complex_numIdEliS1_IfES2_S2_EEvT3_20rocsparse_direction_NS_24const_host_device_scalarIT1_EES4_PKS4_PKT2_SD_SA_PKT4_PKT5_S8_PT6_21rocsparse_index_base_b,comdat
.Lfunc_end171:
	.size	_ZN9rocsparseL18bsrxmvn_3x3_kernelILj256ELj8E21rocsparse_complex_numIdEliS1_IfES2_S2_EEvT3_20rocsparse_direction_NS_24const_host_device_scalarIT1_EES4_PKS4_PKT2_SD_SA_PKT4_PKT5_S8_PT6_21rocsparse_index_base_b, .Lfunc_end171-_ZN9rocsparseL18bsrxmvn_3x3_kernelILj256ELj8E21rocsparse_complex_numIdEliS1_IfES2_S2_EEvT3_20rocsparse_direction_NS_24const_host_device_scalarIT1_EES4_PKS4_PKT2_SD_SA_PKT4_PKT5_S8_PT6_21rocsparse_index_base_b
                                        ; -- End function
	.set _ZN9rocsparseL18bsrxmvn_3x3_kernelILj256ELj8E21rocsparse_complex_numIdEliS1_IfES2_S2_EEvT3_20rocsparse_direction_NS_24const_host_device_scalarIT1_EES4_PKS4_PKT2_SD_SA_PKT4_PKT5_S8_PT6_21rocsparse_index_base_b.num_vgpr, 74
	.set _ZN9rocsparseL18bsrxmvn_3x3_kernelILj256ELj8E21rocsparse_complex_numIdEliS1_IfES2_S2_EEvT3_20rocsparse_direction_NS_24const_host_device_scalarIT1_EES4_PKS4_PKT2_SD_SA_PKT4_PKT5_S8_PT6_21rocsparse_index_base_b.num_agpr, 0
	.set _ZN9rocsparseL18bsrxmvn_3x3_kernelILj256ELj8E21rocsparse_complex_numIdEliS1_IfES2_S2_EEvT3_20rocsparse_direction_NS_24const_host_device_scalarIT1_EES4_PKS4_PKT2_SD_SA_PKT4_PKT5_S8_PT6_21rocsparse_index_base_b.numbered_sgpr, 14
	.set _ZN9rocsparseL18bsrxmvn_3x3_kernelILj256ELj8E21rocsparse_complex_numIdEliS1_IfES2_S2_EEvT3_20rocsparse_direction_NS_24const_host_device_scalarIT1_EES4_PKS4_PKT2_SD_SA_PKT4_PKT5_S8_PT6_21rocsparse_index_base_b.num_named_barrier, 0
	.set _ZN9rocsparseL18bsrxmvn_3x3_kernelILj256ELj8E21rocsparse_complex_numIdEliS1_IfES2_S2_EEvT3_20rocsparse_direction_NS_24const_host_device_scalarIT1_EES4_PKS4_PKT2_SD_SA_PKT4_PKT5_S8_PT6_21rocsparse_index_base_b.private_seg_size, 0
	.set _ZN9rocsparseL18bsrxmvn_3x3_kernelILj256ELj8E21rocsparse_complex_numIdEliS1_IfES2_S2_EEvT3_20rocsparse_direction_NS_24const_host_device_scalarIT1_EES4_PKS4_PKT2_SD_SA_PKT4_PKT5_S8_PT6_21rocsparse_index_base_b.uses_vcc, 1
	.set _ZN9rocsparseL18bsrxmvn_3x3_kernelILj256ELj8E21rocsparse_complex_numIdEliS1_IfES2_S2_EEvT3_20rocsparse_direction_NS_24const_host_device_scalarIT1_EES4_PKS4_PKT2_SD_SA_PKT4_PKT5_S8_PT6_21rocsparse_index_base_b.uses_flat_scratch, 0
	.set _ZN9rocsparseL18bsrxmvn_3x3_kernelILj256ELj8E21rocsparse_complex_numIdEliS1_IfES2_S2_EEvT3_20rocsparse_direction_NS_24const_host_device_scalarIT1_EES4_PKS4_PKT2_SD_SA_PKT4_PKT5_S8_PT6_21rocsparse_index_base_b.has_dyn_sized_stack, 0
	.set _ZN9rocsparseL18bsrxmvn_3x3_kernelILj256ELj8E21rocsparse_complex_numIdEliS1_IfES2_S2_EEvT3_20rocsparse_direction_NS_24const_host_device_scalarIT1_EES4_PKS4_PKT2_SD_SA_PKT4_PKT5_S8_PT6_21rocsparse_index_base_b.has_recursion, 0
	.set _ZN9rocsparseL18bsrxmvn_3x3_kernelILj256ELj8E21rocsparse_complex_numIdEliS1_IfES2_S2_EEvT3_20rocsparse_direction_NS_24const_host_device_scalarIT1_EES4_PKS4_PKT2_SD_SA_PKT4_PKT5_S8_PT6_21rocsparse_index_base_b.has_indirect_call, 0
	.section	.AMDGPU.csdata,"",@progbits
; Kernel info:
; codeLenInByte = 3264
; TotalNumSgprs: 16
; NumVgprs: 74
; ScratchSize: 0
; MemoryBound: 0
; FloatMode: 240
; IeeeMode: 1
; LDSByteSize: 0 bytes/workgroup (compile time only)
; SGPRBlocks: 0
; VGPRBlocks: 9
; NumSGPRsForWavesPerEU: 16
; NumVGPRsForWavesPerEU: 74
; Occupancy: 16
; WaveLimiterHint : 1
; COMPUTE_PGM_RSRC2:SCRATCH_EN: 0
; COMPUTE_PGM_RSRC2:USER_SGPR: 2
; COMPUTE_PGM_RSRC2:TRAP_HANDLER: 0
; COMPUTE_PGM_RSRC2:TGID_X_EN: 1
; COMPUTE_PGM_RSRC2:TGID_Y_EN: 0
; COMPUTE_PGM_RSRC2:TGID_Z_EN: 0
; COMPUTE_PGM_RSRC2:TIDIG_COMP_CNT: 0
	.section	.text._ZN9rocsparseL18bsrxmvn_3x3_kernelILj256ELj16E21rocsparse_complex_numIdEliS1_IfES2_S2_EEvT3_20rocsparse_direction_NS_24const_host_device_scalarIT1_EES4_PKS4_PKT2_SD_SA_PKT4_PKT5_S8_PT6_21rocsparse_index_base_b,"axG",@progbits,_ZN9rocsparseL18bsrxmvn_3x3_kernelILj256ELj16E21rocsparse_complex_numIdEliS1_IfES2_S2_EEvT3_20rocsparse_direction_NS_24const_host_device_scalarIT1_EES4_PKS4_PKT2_SD_SA_PKT4_PKT5_S8_PT6_21rocsparse_index_base_b,comdat
	.globl	_ZN9rocsparseL18bsrxmvn_3x3_kernelILj256ELj16E21rocsparse_complex_numIdEliS1_IfES2_S2_EEvT3_20rocsparse_direction_NS_24const_host_device_scalarIT1_EES4_PKS4_PKT2_SD_SA_PKT4_PKT5_S8_PT6_21rocsparse_index_base_b ; -- Begin function _ZN9rocsparseL18bsrxmvn_3x3_kernelILj256ELj16E21rocsparse_complex_numIdEliS1_IfES2_S2_EEvT3_20rocsparse_direction_NS_24const_host_device_scalarIT1_EES4_PKS4_PKT2_SD_SA_PKT4_PKT5_S8_PT6_21rocsparse_index_base_b
	.p2align	8
	.type	_ZN9rocsparseL18bsrxmvn_3x3_kernelILj256ELj16E21rocsparse_complex_numIdEliS1_IfES2_S2_EEvT3_20rocsparse_direction_NS_24const_host_device_scalarIT1_EES4_PKS4_PKT2_SD_SA_PKT4_PKT5_S8_PT6_21rocsparse_index_base_b,@function
_ZN9rocsparseL18bsrxmvn_3x3_kernelILj256ELj16E21rocsparse_complex_numIdEliS1_IfES2_S2_EEvT3_20rocsparse_direction_NS_24const_host_device_scalarIT1_EES4_PKS4_PKT2_SD_SA_PKT4_PKT5_S8_PT6_21rocsparse_index_base_b: ; @_ZN9rocsparseL18bsrxmvn_3x3_kernelILj256ELj16E21rocsparse_complex_numIdEliS1_IfES2_S2_EEvT3_20rocsparse_direction_NS_24const_host_device_scalarIT1_EES4_PKS4_PKT2_SD_SA_PKT4_PKT5_S8_PT6_21rocsparse_index_base_b
; %bb.0:
	s_clause 0x1
	s_load_b64 s[12:13], s[0:1], 0x68
	s_load_b64 s[2:3], s[0:1], 0x8
	s_add_nc_u64 s[4:5], s[0:1], 8
	s_load_b64 s[6:7], s[0:1], 0x50
	s_wait_kmcnt 0x0
	s_bitcmp1_b32 s13, 0
	s_cselect_b32 s2, s4, s2
	s_cselect_b32 s3, s5, s3
	s_delay_alu instid0(SALU_CYCLE_1)
	v_dual_mov_b32 v1, s2 :: v_dual_mov_b32 v2, s3
	s_add_nc_u64 s[2:3], s[0:1], 0x50
	s_wait_alu 0xfffe
	s_cselect_b32 s2, s2, s6
	s_cselect_b32 s3, s3, s7
	flat_load_b128 v[5:8], v[1:2]
	s_wait_alu 0xfffe
	v_dual_mov_b32 v1, s2 :: v_dual_mov_b32 v2, s3
	flat_load_b128 v[1:4], v[1:2]
	s_wait_loadcnt_dscnt 0x101
	v_cmp_eq_f64_e32 vcc_lo, 0, v[5:6]
	v_cmp_eq_f64_e64 s2, 0, v[7:8]
	s_and_b32 s4, vcc_lo, s2
	s_mov_b32 s2, -1
	s_and_saveexec_b32 s3, s4
	s_cbranch_execz .LBB172_2
; %bb.1:
	s_wait_loadcnt_dscnt 0x0
	v_cmp_neq_f64_e32 vcc_lo, 1.0, v[1:2]
	v_cmp_neq_f64_e64 s2, 0, v[3:4]
	s_wait_alu 0xfffe
	s_or_b32 s2, vcc_lo, s2
	s_wait_alu 0xfffe
	s_or_not1_b32 s2, s2, exec_lo
.LBB172_2:
	s_wait_alu 0xfffe
	s_or_b32 exec_lo, exec_lo, s3
	s_and_saveexec_b32 s3, s2
	s_cbranch_execz .LBB172_8
; %bb.3:
	s_clause 0x1
	s_load_b64 s[4:5], s[0:1], 0x20
	s_load_b64 s[2:3], s[0:1], 0x0
	v_lshrrev_b32_e32 v9, 4, v0
	s_delay_alu instid0(VALU_DEP_1)
	v_lshl_or_b32 v17, ttmp9, 4, v9
	s_wait_kmcnt 0x0
	s_cmp_lg_u64 s[4:5], 0
	s_cbranch_scc0 .LBB172_9
; %bb.4:
	s_load_b32 s6, s[0:1], 0x18
	s_mov_b32 s7, 0
                                        ; implicit-def: $vgpr9
	s_wait_kmcnt 0x0
	v_cmp_gt_i32_e32 vcc_lo, s6, v17
	s_mov_b32 s6, 0
	s_and_saveexec_b32 s8, vcc_lo
	s_delay_alu instid0(SALU_CYCLE_1)
	s_xor_b32 s8, exec_lo, s8
	s_cbranch_execz .LBB172_6
; %bb.5:
	v_ashrrev_i32_e32 v18, 31, v17
	s_mov_b32 s6, exec_lo
	s_delay_alu instid0(VALU_DEP_1) | instskip(NEXT) | instid1(VALU_DEP_1)
	v_lshlrev_b64_e32 v[9:10], 2, v[17:18]
	v_add_co_u32 v9, vcc_lo, s4, v9
	s_delay_alu instid0(VALU_DEP_1)
	v_add_co_ci_u32_e64 v10, null, s5, v10, vcc_lo
	global_load_b32 v9, v[9:10], off
	s_wait_loadcnt 0x0
	v_subrev_nc_u32_e32 v9, s12, v9
.LBB172_6:
	s_or_b32 exec_lo, exec_lo, s8
	s_delay_alu instid0(SALU_CYCLE_1)
	s_and_b32 vcc_lo, exec_lo, s7
	s_wait_alu 0xfffe
	s_cbranch_vccz .LBB172_10
.LBB172_7:
	v_cmp_gt_i32_e32 vcc_lo, s2, v17
	s_and_not1_b32 s2, s6, exec_lo
	s_and_b32 s4, vcc_lo, exec_lo
	s_wait_alu 0xfffe
	s_or_b32 s6, s2, s4
	s_wait_alu 0xfffe
	s_and_b32 exec_lo, exec_lo, s6
	s_cbranch_execnz .LBB172_11
.LBB172_8:
	s_endpgm
.LBB172_9:
	s_mov_b32 s6, 0
                                        ; implicit-def: $vgpr9
	s_cbranch_execnz .LBB172_7
.LBB172_10:
	v_mov_b32_e32 v17, v9
	s_and_b32 exec_lo, exec_lo, s6
	s_cbranch_execz .LBB172_8
.LBB172_11:
	s_load_b256 s[4:11], s[0:1], 0x28
	s_delay_alu instid0(VALU_DEP_1) | instskip(SKIP_1) | instid1(VALU_DEP_2)
	v_ashrrev_i32_e32 v18, 31, v17
	v_and_b32_e32 v0, 15, v0
	v_lshlrev_b64_e32 v[9:10], 3, v[17:18]
	s_wait_kmcnt 0x0
	s_delay_alu instid0(VALU_DEP_1) | instskip(SKIP_1) | instid1(VALU_DEP_2)
	v_add_co_u32 v11, vcc_lo, s4, v9
	s_wait_alu 0xfffd
	v_add_co_ci_u32_e64 v12, null, s5, v10, vcc_lo
	v_add_co_u32 v9, vcc_lo, s6, v9
	s_wait_alu 0xfffd
	v_add_co_ci_u32_e64 v10, null, s7, v10, vcc_lo
	global_load_b64 v[13:14], v[11:12], off
	v_add_co_u32 v11, vcc_lo, v11, 8
	s_wait_alu 0xfffd
	v_add_co_ci_u32_e64 v12, null, 0, v12, vcc_lo
	s_cmp_eq_u64 s[6:7], 0
	s_load_b64 s[4:5], s[0:1], 0x48
	s_cselect_b32 vcc_lo, -1, 0
	s_cmp_eq_u32 s3, 1
	s_wait_alu 0xfffe
	v_dual_cndmask_b32 v10, v10, v12 :: v_dual_cndmask_b32 v9, v9, v11
	global_load_b64 v[9:10], v[9:10], off
	s_wait_loadcnt 0x1
	v_sub_co_u32 v11, vcc_lo, v13, s12
	s_wait_alu 0xfffd
	v_subrev_co_ci_u32_e64 v12, null, 0, v14, vcc_lo
	s_delay_alu instid0(VALU_DEP_2) | instskip(SKIP_1) | instid1(VALU_DEP_2)
	v_add_co_u32 v11, vcc_lo, v11, v0
	s_wait_alu 0xfffd
	v_add_co_ci_u32_e64 v12, null, 0, v12, vcc_lo
	s_delay_alu instid0(VALU_DEP_2) | instskip(SKIP_4) | instid1(VALU_DEP_3)
	v_mad_co_u64_u32 v[13:14], null, 0x48, v11, s[10:11]
	s_wait_loadcnt 0x0
	v_sub_co_u32 v20, vcc_lo, v9, s12
	s_wait_alu 0xfffd
	v_subrev_co_ci_u32_e64 v21, null, 0, v10, vcc_lo
	v_mad_co_u64_u32 v[14:15], null, 0x48, v12, v[14:15]
	s_delay_alu instid0(VALU_DEP_2)
	v_cmp_lt_i64_e64 s2, v[11:12], v[20:21]
	s_cbranch_scc1 .LBB172_17
; %bb.12:
	v_dual_mov_b32 v9, 0 :: v_dual_mov_b32 v18, 0
	v_mov_b32_e32 v24, 0
	v_dual_mov_b32 v10, 0 :: v_dual_mov_b32 v15, 0
	v_dual_mov_b32 v19, 0 :: v_dual_mov_b32 v22, 0
	;; [unrolled: 1-line block ×4, first 2 shown]
	v_mov_b32_e32 v27, 0
	s_and_saveexec_b32 s6, s2
	s_cbranch_execz .LBB172_16
; %bb.13:
	v_lshlrev_b64_e32 v[15:16], 2, v[11:12]
	v_dual_mov_b32 v9, 0 :: v_dual_mov_b32 v22, 0
	v_dual_mov_b32 v10, 0 :: v_dual_mov_b32 v29, v12
	;; [unrolled: 1-line block ×3, first 2 shown]
	s_delay_alu instid0(VALU_DEP_4)
	v_add_co_u32 v30, vcc_lo, s8, v15
	s_wait_alu 0xfffd
	v_add_co_ci_u32_e64 v31, null, s9, v16, vcc_lo
	v_dual_mov_b32 v15, 0 :: v_dual_mov_b32 v18, 0
	v_dual_mov_b32 v26, 0 :: v_dual_mov_b32 v33, v14
	v_mov_b32_e32 v28, v11
	v_dual_mov_b32 v16, 0 :: v_dual_mov_b32 v19, 0
	v_mov_b32_e32 v25, 0
	v_dual_mov_b32 v27, 0 :: v_dual_mov_b32 v32, v13
	s_mov_b32 s7, 0
.LBB172_14:                             ; =>This Inner Loop Header: Depth=1
	global_load_b32 v46, v[30:31], off
	s_clause 0x2
	global_load_b128 v[34:37], v[32:33], off
	global_load_b128 v[38:41], v[32:33], off offset:16
	global_load_b128 v[42:45], v[32:33], off offset:48
	v_add_co_u32 v30, s3, v30, 64
	s_wait_alu 0xf1ff
	v_add_co_ci_u32_e64 v31, null, 0, v31, s3
	s_wait_loadcnt 0x3
	v_subrev_nc_u32_e32 v46, s12, v46
	s_wait_loadcnt 0x2
	v_cvt_f64_f32_e32 v[64:65], v34
	v_cvt_f64_f32_e32 v[34:35], v35
	s_wait_loadcnt 0x1
	v_cvt_f64_f32_e32 v[66:67], v40
	v_cvt_f64_f32_e32 v[40:41], v41
	v_lshl_add_u32 v46, v46, 1, v46
	s_wait_loadcnt 0x0
	v_cvt_f64_f32_e32 v[68:69], v42
	v_cvt_f64_f32_e32 v[42:43], v43
	;; [unrolled: 1-line block ×4, first 2 shown]
	v_ashrrev_i32_e32 v47, 31, v46
	s_delay_alu instid0(VALU_DEP_1) | instskip(SKIP_1) | instid1(VALU_DEP_1)
	v_lshlrev_b64_e32 v[46:47], 4, v[46:47]
	s_wait_kmcnt 0x0
	v_add_co_u32 v58, vcc_lo, s4, v46
	s_wait_alu 0xfffd
	s_delay_alu instid0(VALU_DEP_2)
	v_add_co_ci_u32_e64 v59, null, s5, v47, vcc_lo
	v_add_co_u32 v28, vcc_lo, v28, 16
	s_wait_alu 0xfffd
	v_add_co_ci_u32_e64 v29, null, 0, v29, vcc_lo
	s_clause 0x1
	global_load_b128 v[46:49], v[58:59], off
	global_load_b128 v[50:53], v[58:59], off offset:16
	s_clause 0x1
	global_load_b128 v[54:57], v[32:33], off offset:32
	global_load_b64 v[62:63], v[32:33], off offset:64
	global_load_b128 v[58:61], v[58:59], off offset:32
	v_add_co_u32 v32, vcc_lo, 0x480, v32
	s_wait_alu 0xfffd
	v_add_co_ci_u32_e64 v33, null, 0, v33, vcc_lo
	v_cmp_ge_i64_e32 vcc_lo, v[28:29], v[20:21]
	s_wait_alu 0xfffe
	s_or_b32 s7, vcc_lo, s7
	s_wait_loadcnt 0x4
	v_fma_f64 v[15:16], v[64:65], v[46:47], v[15:16]
	v_fma_f64 v[9:10], v[34:35], v[46:47], v[9:10]
	;; [unrolled: 1-line block ×6, first 2 shown]
	v_cvt_f64_f32_e32 v[46:47], v36
	v_cvt_f64_f32_e32 v[36:37], v37
	s_wait_loadcnt 0x2
	v_cvt_f64_f32_e32 v[70:71], v54
	v_cvt_f64_f32_e32 v[54:55], v55
	v_fma_f64 v[15:16], -v[34:35], v[48:49], v[15:16]
	v_fma_f64 v[9:10], v[64:65], v[48:49], v[9:10]
	v_fma_f64 v[22:23], -v[40:41], v[48:49], v[22:23]
	v_fma_f64 v[18:19], v[66:67], v[48:49], v[18:19]
	;; [unrolled: 2-line block ×3, first 2 shown]
	v_cvt_f64_f32_e32 v[34:35], v38
	v_cvt_f64_f32_e32 v[38:39], v39
	;; [unrolled: 1-line block ×4, first 2 shown]
	s_wait_loadcnt 0x1
	v_cvt_f64_f32_e32 v[48:49], v62
	v_fma_f64 v[15:16], v[46:47], v[50:51], v[15:16]
	v_fma_f64 v[9:10], v[36:37], v[50:51], v[9:10]
	;; [unrolled: 1-line block ×6, first 2 shown]
	v_cvt_f64_f32_e32 v[50:51], v63
	v_fma_f64 v[15:16], -v[36:37], v[52:53], v[15:16]
	v_fma_f64 v[9:10], v[46:47], v[52:53], v[9:10]
	v_fma_f64 v[22:23], -v[54:55], v[52:53], v[22:23]
	v_fma_f64 v[18:19], v[70:71], v[52:53], v[18:19]
	;; [unrolled: 2-line block ×3, first 2 shown]
	s_wait_loadcnt 0x0
	v_fma_f64 v[15:16], v[34:35], v[58:59], v[15:16]
	v_fma_f64 v[9:10], v[38:39], v[58:59], v[9:10]
	;; [unrolled: 1-line block ×6, first 2 shown]
	v_fma_f64 v[15:16], -v[38:39], v[60:61], v[15:16]
	v_fma_f64 v[9:10], v[34:35], v[60:61], v[9:10]
	v_fma_f64 v[22:23], -v[42:43], v[60:61], v[22:23]
	v_fma_f64 v[18:19], v[40:41], v[60:61], v[18:19]
	;; [unrolled: 2-line block ×3, first 2 shown]
	s_wait_alu 0xfffe
	s_and_not1_b32 exec_lo, exec_lo, s7
	s_cbranch_execnz .LBB172_14
; %bb.15:
	s_or_b32 exec_lo, exec_lo, s7
.LBB172_16:
	s_wait_alu 0xfffe
	s_or_b32 exec_lo, exec_lo, s6
	s_cbranch_execz .LBB172_18
	s_branch .LBB172_23
.LBB172_17:
                                        ; implicit-def: $vgpr9_vgpr10
                                        ; implicit-def: $vgpr15_vgpr16
                                        ; implicit-def: $vgpr18_vgpr19
                                        ; implicit-def: $vgpr22_vgpr23
                                        ; implicit-def: $vgpr24_vgpr25
                                        ; implicit-def: $vgpr26_vgpr27
.LBB172_18:
	v_dual_mov_b32 v9, 0 :: v_dual_mov_b32 v18, 0
	v_mov_b32_e32 v24, 0
	v_dual_mov_b32 v10, 0 :: v_dual_mov_b32 v15, 0
	v_dual_mov_b32 v19, 0 :: v_dual_mov_b32 v22, 0
	v_dual_mov_b32 v25, 0 :: v_dual_mov_b32 v26, 0
	v_dual_mov_b32 v16, 0 :: v_dual_mov_b32 v23, 0
	v_mov_b32_e32 v27, 0
	s_and_saveexec_b32 s3, s2
	s_cbranch_execz .LBB172_22
; %bb.19:
	v_lshlrev_b64_e32 v[28:29], 2, v[11:12]
	v_dual_mov_b32 v9, 0 :: v_dual_mov_b32 v18, 0
	v_mov_b32_e32 v24, 0
	v_dual_mov_b32 v10, 0 :: v_dual_mov_b32 v15, 0
	s_delay_alu instid0(VALU_DEP_4)
	v_add_co_u32 v28, vcc_lo, s8, v28
	v_dual_mov_b32 v19, 0 :: v_dual_mov_b32 v22, 0
	v_dual_mov_b32 v25, 0 :: v_dual_mov_b32 v26, 0
	;; [unrolled: 1-line block ×3, first 2 shown]
	v_mov_b32_e32 v27, 0
	s_wait_alu 0xfffd
	v_add_co_ci_u32_e64 v29, null, s9, v29, vcc_lo
	s_mov_b32 s6, 0
.LBB172_20:                             ; =>This Inner Loop Header: Depth=1
	global_load_b32 v38, v[28:29], off
	s_clause 0x1
	global_load_b128 v[30:33], v[13:14], off
	global_load_b128 v[34:37], v[13:14], off offset:16
	v_add_co_u32 v28, s2, v28, 64
	s_wait_alu 0xf1ff
	v_add_co_ci_u32_e64 v29, null, 0, v29, s2
	s_wait_loadcnt 0x2
	v_subrev_nc_u32_e32 v38, s12, v38
	s_wait_loadcnt 0x1
	v_cvt_f64_f32_e32 v[60:61], v30
	v_cvt_f64_f32_e32 v[30:31], v31
	;; [unrolled: 1-line block ×4, first 2 shown]
	v_lshl_add_u32 v38, v38, 1, v38
	s_wait_loadcnt 0x0
	v_cvt_f64_f32_e32 v[64:65], v34
	v_cvt_f64_f32_e32 v[34:35], v35
	s_delay_alu instid0(VALU_DEP_3) | instskip(NEXT) | instid1(VALU_DEP_1)
	v_ashrrev_i32_e32 v39, 31, v38
	v_lshlrev_b64_e32 v[38:39], 4, v[38:39]
	s_wait_kmcnt 0x0
	s_delay_alu instid0(VALU_DEP_1) | instskip(SKIP_1) | instid1(VALU_DEP_2)
	v_add_co_u32 v54, vcc_lo, s4, v38
	s_wait_alu 0xfffd
	v_add_co_ci_u32_e64 v55, null, s5, v39, vcc_lo
	v_add_co_u32 v11, vcc_lo, v11, 16
	s_wait_alu 0xfffd
	v_add_co_ci_u32_e64 v12, null, 0, v12, vcc_lo
	s_clause 0x1
	global_load_b128 v[38:41], v[54:55], off
	global_load_b128 v[42:45], v[54:55], off offset:16
	s_clause 0x2
	global_load_b128 v[46:49], v[13:14], off offset:32
	global_load_b128 v[50:53], v[13:14], off offset:48
	global_load_b64 v[58:59], v[13:14], off offset:64
	global_load_b128 v[54:57], v[54:55], off offset:32
	v_add_co_u32 v13, vcc_lo, 0x480, v13
	s_wait_alu 0xfffd
	v_add_co_ci_u32_e64 v14, null, 0, v14, vcc_lo
	v_cmp_ge_i64_e32 vcc_lo, v[11:12], v[20:21]
	s_wait_alu 0xfffe
	s_or_b32 s6, vcc_lo, s6
	s_wait_loadcnt 0x5
	v_fma_f64 v[15:16], v[60:61], v[38:39], v[15:16]
	v_fma_f64 v[9:10], v[30:31], v[38:39], v[9:10]
	;; [unrolled: 1-line block ×6, first 2 shown]
	v_cvt_f64_f32_e32 v[38:39], v36
	v_cvt_f64_f32_e32 v[36:37], v37
	s_wait_loadcnt 0x3
	v_cvt_f64_f32_e32 v[66:67], v46
	v_cvt_f64_f32_e32 v[46:47], v47
	;; [unrolled: 1-line block ×4, first 2 shown]
	v_fma_f64 v[15:16], -v[30:31], v[40:41], v[15:16]
	v_fma_f64 v[9:10], v[60:61], v[40:41], v[9:10]
	v_fma_f64 v[22:23], -v[32:33], v[40:41], v[22:23]
	v_fma_f64 v[18:19], v[62:63], v[40:41], v[18:19]
	;; [unrolled: 2-line block ×3, first 2 shown]
	s_wait_loadcnt 0x2
	v_cvt_f64_f32_e32 v[30:31], v50
	v_cvt_f64_f32_e32 v[32:33], v51
	;; [unrolled: 1-line block ×4, first 2 shown]
	s_wait_loadcnt 0x1
	v_cvt_f64_f32_e32 v[50:51], v59
	v_fma_f64 v[15:16], v[38:39], v[42:43], v[15:16]
	v_fma_f64 v[9:10], v[36:37], v[42:43], v[9:10]
	;; [unrolled: 1-line block ×6, first 2 shown]
	v_cvt_f64_f32_e32 v[42:43], v58
	v_fma_f64 v[15:16], -v[36:37], v[44:45], v[15:16]
	v_fma_f64 v[9:10], v[38:39], v[44:45], v[9:10]
	v_fma_f64 v[22:23], -v[46:47], v[44:45], v[22:23]
	v_fma_f64 v[18:19], v[66:67], v[44:45], v[18:19]
	v_fma_f64 v[26:27], -v[48:49], v[44:45], v[26:27]
	v_fma_f64 v[24:25], v[68:69], v[44:45], v[24:25]
	s_wait_loadcnt 0x0
	v_fma_f64 v[15:16], v[30:31], v[54:55], v[15:16]
	v_fma_f64 v[9:10], v[32:33], v[54:55], v[9:10]
	;; [unrolled: 1-line block ×6, first 2 shown]
	v_fma_f64 v[15:16], -v[32:33], v[56:57], v[15:16]
	v_fma_f64 v[9:10], v[30:31], v[56:57], v[9:10]
	v_fma_f64 v[22:23], -v[40:41], v[56:57], v[22:23]
	v_fma_f64 v[18:19], v[34:35], v[56:57], v[18:19]
	;; [unrolled: 2-line block ×3, first 2 shown]
	s_wait_alu 0xfffe
	s_and_not1_b32 exec_lo, exec_lo, s6
	s_cbranch_execnz .LBB172_20
; %bb.21:
	s_or_b32 exec_lo, exec_lo, s6
.LBB172_22:
	s_wait_alu 0xfffe
	s_or_b32 exec_lo, exec_lo, s3
.LBB172_23:
	v_mbcnt_lo_u32_b32 v34, -1, 0
	s_delay_alu instid0(VALU_DEP_1) | instskip(NEXT) | instid1(VALU_DEP_1)
	v_xor_b32_e32 v11, 8, v34
	v_cmp_gt_i32_e32 vcc_lo, 32, v11
	s_wait_alu 0xfffd
	v_cndmask_b32_e32 v11, v34, v11, vcc_lo
	s_delay_alu instid0(VALU_DEP_1)
	v_lshlrev_b32_e32 v33, 2, v11
	ds_bpermute_b32 v13, v33, v9
	ds_bpermute_b32 v14, v33, v10
	;; [unrolled: 1-line block ×4, first 2 shown]
	s_wait_dscnt 0x2
	v_add_f64_e32 v[9:10], v[9:10], v[13:14]
	s_wait_dscnt 0x0
	v_add_f64_e32 v[13:14], v[22:23], v[20:21]
	v_xor_b32_e32 v22, 4, v34
	s_delay_alu instid0(VALU_DEP_1)
	v_cmp_gt_i32_e32 vcc_lo, 32, v22
	s_wait_alu 0xfffd
	v_cndmask_b32_e32 v22, v34, v22, vcc_lo
	ds_bpermute_b32 v11, v33, v15
	ds_bpermute_b32 v12, v33, v16
	;; [unrolled: 1-line block ×8, first 2 shown]
	s_wait_dscnt 0x6
	v_add_f64_e32 v[11:12], v[15:16], v[11:12]
	s_wait_dscnt 0x4
	v_add_f64_e32 v[15:16], v[18:19], v[28:29]
	;; [unrolled: 2-line block ×4, first 2 shown]
	v_lshlrev_b32_e32 v33, 2, v22
	ds_bpermute_b32 v24, v33, v9
	ds_bpermute_b32 v25, v33, v10
	;; [unrolled: 1-line block ×4, first 2 shown]
	s_wait_dscnt 0x0
	v_add_f64_e32 v[13:14], v[13:14], v[26:27]
	ds_bpermute_b32 v22, v33, v11
	ds_bpermute_b32 v23, v33, v12
	ds_bpermute_b32 v28, v33, v15
	ds_bpermute_b32 v29, v33, v16
	ds_bpermute_b32 v30, v33, v18
	ds_bpermute_b32 v31, v33, v19
	ds_bpermute_b32 v32, v33, v20
	ds_bpermute_b32 v33, v33, v21
	s_wait_dscnt 0x6
	v_add_f64_e32 v[11:12], v[11:12], v[22:23]
	v_add_f64_e32 v[22:23], v[9:10], v[24:25]
	s_wait_dscnt 0x4
	v_add_f64_e32 v[15:16], v[15:16], v[28:29]
	v_xor_b32_e32 v9, 2, v34
	s_wait_dscnt 0x2
	v_add_f64_e32 v[24:25], v[18:19], v[30:31]
	s_wait_dscnt 0x0
	v_add_f64_e32 v[20:21], v[20:21], v[32:33]
	v_cmp_gt_i32_e32 vcc_lo, 32, v9
	s_wait_alu 0xfffd
	v_cndmask_b32_e32 v9, v34, v9, vcc_lo
	s_delay_alu instid0(VALU_DEP_1)
	v_lshlrev_b32_e32 v33, 2, v9
	ds_bpermute_b32 v26, v33, v13
	ds_bpermute_b32 v27, v33, v14
	;; [unrolled: 1-line block ×12, first 2 shown]
	s_wait_dscnt 0x8
	v_add_f64_e32 v[9:10], v[11:12], v[9:10]
	v_add_f64_e32 v[11:12], v[13:14], v[26:27]
	s_wait_dscnt 0x6
	v_add_f64_e32 v[22:23], v[22:23], v[18:19]
	s_wait_dscnt 0x4
	v_add_f64_e32 v[18:19], v[15:16], v[28:29]
	s_wait_dscnt 0x2
	v_add_f64_e32 v[13:14], v[24:25], v[30:31]
	s_wait_dscnt 0x0
	v_add_f64_e32 v[15:16], v[20:21], v[32:33]
	v_xor_b32_e32 v20, 1, v34
	s_delay_alu instid0(VALU_DEP_1) | instskip(SKIP_3) | instid1(VALU_DEP_2)
	v_cmp_gt_i32_e32 vcc_lo, 32, v20
	s_wait_alu 0xfffd
	v_cndmask_b32_e32 v20, v34, v20, vcc_lo
	v_cmp_eq_u32_e32 vcc_lo, 15, v0
	v_lshlrev_b32_e32 v29, 2, v20
	ds_bpermute_b32 v20, v29, v9
	ds_bpermute_b32 v21, v29, v10
	;; [unrolled: 1-line block ×12, first 2 shown]
	s_and_b32 exec_lo, exec_lo, vcc_lo
	s_cbranch_execz .LBB172_8
; %bb.24:
	s_wait_dscnt 0x8
	v_add_f64_e32 v[22:23], v[22:23], v[32:33]
	s_wait_dscnt 0x4
	v_add_f64_e32 v[18:19], v[18:19], v[30:31]
	;; [unrolled: 2-line block ×3, first 2 shown]
	v_add_f64_e32 v[9:10], v[9:10], v[20:21]
	v_add_f64_e32 v[11:12], v[11:12], v[24:25]
	;; [unrolled: 1-line block ×3, first 2 shown]
	v_cmp_eq_f64_e32 vcc_lo, 0, v[1:2]
	v_cmp_eq_f64_e64 s2, 0, v[3:4]
	s_load_b64 s[0:1], s[0:1], 0x60
	v_lshl_add_u32 v17, v17, 1, v17
	v_mul_f64_e64 v[13:14], v[22:23], -v[7:8]
	v_mul_f64_e32 v[22:23], v[5:6], v[22:23]
	v_mul_f64_e64 v[24:25], v[18:19], -v[7:8]
	v_mul_f64_e32 v[18:19], v[5:6], v[18:19]
	;; [unrolled: 2-line block ×3, first 2 shown]
	s_and_b32 s2, vcc_lo, s2
	v_fma_f64 v[13:14], v[5:6], v[9:10], v[13:14]
	v_fma_f64 v[15:16], v[7:8], v[9:10], v[22:23]
	v_fma_f64 v[9:10], v[5:6], v[11:12], v[24:25]
	v_fma_f64 v[11:12], v[7:8], v[11:12], v[18:19]
	v_fma_f64 v[5:6], v[5:6], v[20:21], v[26:27]
	v_fma_f64 v[7:8], v[7:8], v[20:21], v[28:29]
	v_ashrrev_i32_e32 v18, 31, v17
	s_wait_alu 0xfffe
	s_and_saveexec_b32 s3, s2
	s_wait_alu 0xfffe
	s_xor_b32 s2, exec_lo, s3
	s_cbranch_execz .LBB172_26
; %bb.25:
	v_lshlrev_b64_e32 v[0:1], 4, v[17:18]
                                        ; implicit-def: $vgpr17
	s_wait_kmcnt 0x0
	s_delay_alu instid0(VALU_DEP_1) | instskip(SKIP_1) | instid1(VALU_DEP_2)
	v_add_co_u32 v0, vcc_lo, s0, v0
	s_wait_alu 0xfffd
	v_add_co_ci_u32_e64 v1, null, s1, v1, vcc_lo
	s_clause 0x2
	global_store_b128 v[0:1], v[13:16], off
	global_store_b128 v[0:1], v[9:12], off offset:16
	global_store_b128 v[0:1], v[5:8], off offset:32
                                        ; implicit-def: $vgpr3_vgpr4
                                        ; implicit-def: $vgpr13_vgpr14
                                        ; implicit-def: $vgpr9_vgpr10
                                        ; implicit-def: $vgpr5_vgpr6
.LBB172_26:
	s_wait_alu 0xfffe
	s_and_not1_saveexec_b32 s2, s2
	s_cbranch_execz .LBB172_8
; %bb.27:
	v_lshlrev_b64_e32 v[17:18], 4, v[17:18]
	s_wait_kmcnt 0x0
	s_delay_alu instid0(VALU_DEP_1) | instskip(SKIP_1) | instid1(VALU_DEP_2)
	v_add_co_u32 v29, vcc_lo, s0, v17
	s_wait_alu 0xfffd
	v_add_co_ci_u32_e64 v30, null, s1, v18, vcc_lo
	s_clause 0x2
	global_load_b128 v[17:20], v[29:30], off
	global_load_b128 v[21:24], v[29:30], off offset:16
	global_load_b128 v[25:28], v[29:30], off offset:32
	s_wait_loadcnt 0x2
	v_fma_f64 v[13:14], v[1:2], v[17:18], v[13:14]
	v_fma_f64 v[15:16], v[3:4], v[17:18], v[15:16]
	s_wait_loadcnt 0x1
	v_fma_f64 v[9:10], v[1:2], v[21:22], v[9:10]
	v_fma_f64 v[11:12], v[3:4], v[21:22], v[11:12]
	;; [unrolled: 3-line block ×3, first 2 shown]
	v_fma_f64 v[5:6], -v[3:4], v[19:20], v[13:14]
	v_fma_f64 v[7:8], v[1:2], v[19:20], v[15:16]
	v_fma_f64 v[9:10], -v[3:4], v[23:24], v[9:10]
	v_fma_f64 v[11:12], v[1:2], v[23:24], v[11:12]
	;; [unrolled: 2-line block ×3, first 2 shown]
	s_clause 0x2
	global_store_b128 v[29:30], v[5:8], off
	global_store_b128 v[29:30], v[9:12], off offset:16
	global_store_b128 v[29:30], v[13:16], off offset:32
	s_endpgm
	.section	.rodata,"a",@progbits
	.p2align	6, 0x0
	.amdhsa_kernel _ZN9rocsparseL18bsrxmvn_3x3_kernelILj256ELj16E21rocsparse_complex_numIdEliS1_IfES2_S2_EEvT3_20rocsparse_direction_NS_24const_host_device_scalarIT1_EES4_PKS4_PKT2_SD_SA_PKT4_PKT5_S8_PT6_21rocsparse_index_base_b
		.amdhsa_group_segment_fixed_size 0
		.amdhsa_private_segment_fixed_size 0
		.amdhsa_kernarg_size 112
		.amdhsa_user_sgpr_count 2
		.amdhsa_user_sgpr_dispatch_ptr 0
		.amdhsa_user_sgpr_queue_ptr 0
		.amdhsa_user_sgpr_kernarg_segment_ptr 1
		.amdhsa_user_sgpr_dispatch_id 0
		.amdhsa_user_sgpr_private_segment_size 0
		.amdhsa_wavefront_size32 1
		.amdhsa_uses_dynamic_stack 0
		.amdhsa_enable_private_segment 0
		.amdhsa_system_sgpr_workgroup_id_x 1
		.amdhsa_system_sgpr_workgroup_id_y 0
		.amdhsa_system_sgpr_workgroup_id_z 0
		.amdhsa_system_sgpr_workgroup_info 0
		.amdhsa_system_vgpr_workitem_id 0
		.amdhsa_next_free_vgpr 74
		.amdhsa_next_free_sgpr 14
		.amdhsa_reserve_vcc 1
		.amdhsa_float_round_mode_32 0
		.amdhsa_float_round_mode_16_64 0
		.amdhsa_float_denorm_mode_32 3
		.amdhsa_float_denorm_mode_16_64 3
		.amdhsa_fp16_overflow 0
		.amdhsa_workgroup_processor_mode 1
		.amdhsa_memory_ordered 1
		.amdhsa_forward_progress 1
		.amdhsa_inst_pref_size 27
		.amdhsa_round_robin_scheduling 0
		.amdhsa_exception_fp_ieee_invalid_op 0
		.amdhsa_exception_fp_denorm_src 0
		.amdhsa_exception_fp_ieee_div_zero 0
		.amdhsa_exception_fp_ieee_overflow 0
		.amdhsa_exception_fp_ieee_underflow 0
		.amdhsa_exception_fp_ieee_inexact 0
		.amdhsa_exception_int_div_zero 0
	.end_amdhsa_kernel
	.section	.text._ZN9rocsparseL18bsrxmvn_3x3_kernelILj256ELj16E21rocsparse_complex_numIdEliS1_IfES2_S2_EEvT3_20rocsparse_direction_NS_24const_host_device_scalarIT1_EES4_PKS4_PKT2_SD_SA_PKT4_PKT5_S8_PT6_21rocsparse_index_base_b,"axG",@progbits,_ZN9rocsparseL18bsrxmvn_3x3_kernelILj256ELj16E21rocsparse_complex_numIdEliS1_IfES2_S2_EEvT3_20rocsparse_direction_NS_24const_host_device_scalarIT1_EES4_PKS4_PKT2_SD_SA_PKT4_PKT5_S8_PT6_21rocsparse_index_base_b,comdat
.Lfunc_end172:
	.size	_ZN9rocsparseL18bsrxmvn_3x3_kernelILj256ELj16E21rocsparse_complex_numIdEliS1_IfES2_S2_EEvT3_20rocsparse_direction_NS_24const_host_device_scalarIT1_EES4_PKS4_PKT2_SD_SA_PKT4_PKT5_S8_PT6_21rocsparse_index_base_b, .Lfunc_end172-_ZN9rocsparseL18bsrxmvn_3x3_kernelILj256ELj16E21rocsparse_complex_numIdEliS1_IfES2_S2_EEvT3_20rocsparse_direction_NS_24const_host_device_scalarIT1_EES4_PKS4_PKT2_SD_SA_PKT4_PKT5_S8_PT6_21rocsparse_index_base_b
                                        ; -- End function
	.set _ZN9rocsparseL18bsrxmvn_3x3_kernelILj256ELj16E21rocsparse_complex_numIdEliS1_IfES2_S2_EEvT3_20rocsparse_direction_NS_24const_host_device_scalarIT1_EES4_PKS4_PKT2_SD_SA_PKT4_PKT5_S8_PT6_21rocsparse_index_base_b.num_vgpr, 74
	.set _ZN9rocsparseL18bsrxmvn_3x3_kernelILj256ELj16E21rocsparse_complex_numIdEliS1_IfES2_S2_EEvT3_20rocsparse_direction_NS_24const_host_device_scalarIT1_EES4_PKS4_PKT2_SD_SA_PKT4_PKT5_S8_PT6_21rocsparse_index_base_b.num_agpr, 0
	.set _ZN9rocsparseL18bsrxmvn_3x3_kernelILj256ELj16E21rocsparse_complex_numIdEliS1_IfES2_S2_EEvT3_20rocsparse_direction_NS_24const_host_device_scalarIT1_EES4_PKS4_PKT2_SD_SA_PKT4_PKT5_S8_PT6_21rocsparse_index_base_b.numbered_sgpr, 14
	.set _ZN9rocsparseL18bsrxmvn_3x3_kernelILj256ELj16E21rocsparse_complex_numIdEliS1_IfES2_S2_EEvT3_20rocsparse_direction_NS_24const_host_device_scalarIT1_EES4_PKS4_PKT2_SD_SA_PKT4_PKT5_S8_PT6_21rocsparse_index_base_b.num_named_barrier, 0
	.set _ZN9rocsparseL18bsrxmvn_3x3_kernelILj256ELj16E21rocsparse_complex_numIdEliS1_IfES2_S2_EEvT3_20rocsparse_direction_NS_24const_host_device_scalarIT1_EES4_PKS4_PKT2_SD_SA_PKT4_PKT5_S8_PT6_21rocsparse_index_base_b.private_seg_size, 0
	.set _ZN9rocsparseL18bsrxmvn_3x3_kernelILj256ELj16E21rocsparse_complex_numIdEliS1_IfES2_S2_EEvT3_20rocsparse_direction_NS_24const_host_device_scalarIT1_EES4_PKS4_PKT2_SD_SA_PKT4_PKT5_S8_PT6_21rocsparse_index_base_b.uses_vcc, 1
	.set _ZN9rocsparseL18bsrxmvn_3x3_kernelILj256ELj16E21rocsparse_complex_numIdEliS1_IfES2_S2_EEvT3_20rocsparse_direction_NS_24const_host_device_scalarIT1_EES4_PKS4_PKT2_SD_SA_PKT4_PKT5_S8_PT6_21rocsparse_index_base_b.uses_flat_scratch, 0
	.set _ZN9rocsparseL18bsrxmvn_3x3_kernelILj256ELj16E21rocsparse_complex_numIdEliS1_IfES2_S2_EEvT3_20rocsparse_direction_NS_24const_host_device_scalarIT1_EES4_PKS4_PKT2_SD_SA_PKT4_PKT5_S8_PT6_21rocsparse_index_base_b.has_dyn_sized_stack, 0
	.set _ZN9rocsparseL18bsrxmvn_3x3_kernelILj256ELj16E21rocsparse_complex_numIdEliS1_IfES2_S2_EEvT3_20rocsparse_direction_NS_24const_host_device_scalarIT1_EES4_PKS4_PKT2_SD_SA_PKT4_PKT5_S8_PT6_21rocsparse_index_base_b.has_recursion, 0
	.set _ZN9rocsparseL18bsrxmvn_3x3_kernelILj256ELj16E21rocsparse_complex_numIdEliS1_IfES2_S2_EEvT3_20rocsparse_direction_NS_24const_host_device_scalarIT1_EES4_PKS4_PKT2_SD_SA_PKT4_PKT5_S8_PT6_21rocsparse_index_base_b.has_indirect_call, 0
	.section	.AMDGPU.csdata,"",@progbits
; Kernel info:
; codeLenInByte = 3428
; TotalNumSgprs: 16
; NumVgprs: 74
; ScratchSize: 0
; MemoryBound: 0
; FloatMode: 240
; IeeeMode: 1
; LDSByteSize: 0 bytes/workgroup (compile time only)
; SGPRBlocks: 0
; VGPRBlocks: 9
; NumSGPRsForWavesPerEU: 16
; NumVGPRsForWavesPerEU: 74
; Occupancy: 16
; WaveLimiterHint : 1
; COMPUTE_PGM_RSRC2:SCRATCH_EN: 0
; COMPUTE_PGM_RSRC2:USER_SGPR: 2
; COMPUTE_PGM_RSRC2:TRAP_HANDLER: 0
; COMPUTE_PGM_RSRC2:TGID_X_EN: 1
; COMPUTE_PGM_RSRC2:TGID_Y_EN: 0
; COMPUTE_PGM_RSRC2:TGID_Z_EN: 0
; COMPUTE_PGM_RSRC2:TIDIG_COMP_CNT: 0
	.section	.text._ZN9rocsparseL18bsrxmvn_3x3_kernelILj256ELj32E21rocsparse_complex_numIdEliS1_IfES2_S2_EEvT3_20rocsparse_direction_NS_24const_host_device_scalarIT1_EES4_PKS4_PKT2_SD_SA_PKT4_PKT5_S8_PT6_21rocsparse_index_base_b,"axG",@progbits,_ZN9rocsparseL18bsrxmvn_3x3_kernelILj256ELj32E21rocsparse_complex_numIdEliS1_IfES2_S2_EEvT3_20rocsparse_direction_NS_24const_host_device_scalarIT1_EES4_PKS4_PKT2_SD_SA_PKT4_PKT5_S8_PT6_21rocsparse_index_base_b,comdat
	.globl	_ZN9rocsparseL18bsrxmvn_3x3_kernelILj256ELj32E21rocsparse_complex_numIdEliS1_IfES2_S2_EEvT3_20rocsparse_direction_NS_24const_host_device_scalarIT1_EES4_PKS4_PKT2_SD_SA_PKT4_PKT5_S8_PT6_21rocsparse_index_base_b ; -- Begin function _ZN9rocsparseL18bsrxmvn_3x3_kernelILj256ELj32E21rocsparse_complex_numIdEliS1_IfES2_S2_EEvT3_20rocsparse_direction_NS_24const_host_device_scalarIT1_EES4_PKS4_PKT2_SD_SA_PKT4_PKT5_S8_PT6_21rocsparse_index_base_b
	.p2align	8
	.type	_ZN9rocsparseL18bsrxmvn_3x3_kernelILj256ELj32E21rocsparse_complex_numIdEliS1_IfES2_S2_EEvT3_20rocsparse_direction_NS_24const_host_device_scalarIT1_EES4_PKS4_PKT2_SD_SA_PKT4_PKT5_S8_PT6_21rocsparse_index_base_b,@function
_ZN9rocsparseL18bsrxmvn_3x3_kernelILj256ELj32E21rocsparse_complex_numIdEliS1_IfES2_S2_EEvT3_20rocsparse_direction_NS_24const_host_device_scalarIT1_EES4_PKS4_PKT2_SD_SA_PKT4_PKT5_S8_PT6_21rocsparse_index_base_b: ; @_ZN9rocsparseL18bsrxmvn_3x3_kernelILj256ELj32E21rocsparse_complex_numIdEliS1_IfES2_S2_EEvT3_20rocsparse_direction_NS_24const_host_device_scalarIT1_EES4_PKS4_PKT2_SD_SA_PKT4_PKT5_S8_PT6_21rocsparse_index_base_b
; %bb.0:
	s_clause 0x1
	s_load_b64 s[12:13], s[0:1], 0x68
	s_load_b64 s[2:3], s[0:1], 0x8
	s_add_nc_u64 s[4:5], s[0:1], 8
	s_load_b64 s[6:7], s[0:1], 0x50
	s_wait_kmcnt 0x0
	s_bitcmp1_b32 s13, 0
	s_cselect_b32 s2, s4, s2
	s_cselect_b32 s3, s5, s3
	s_delay_alu instid0(SALU_CYCLE_1)
	v_dual_mov_b32 v1, s2 :: v_dual_mov_b32 v2, s3
	s_add_nc_u64 s[2:3], s[0:1], 0x50
	s_wait_alu 0xfffe
	s_cselect_b32 s2, s2, s6
	s_cselect_b32 s3, s3, s7
	flat_load_b128 v[5:8], v[1:2]
	s_wait_alu 0xfffe
	v_dual_mov_b32 v1, s2 :: v_dual_mov_b32 v2, s3
	flat_load_b128 v[1:4], v[1:2]
	s_wait_loadcnt_dscnt 0x101
	v_cmp_eq_f64_e32 vcc_lo, 0, v[5:6]
	v_cmp_eq_f64_e64 s2, 0, v[7:8]
	s_and_b32 s4, vcc_lo, s2
	s_mov_b32 s2, -1
	s_and_saveexec_b32 s3, s4
	s_cbranch_execz .LBB173_2
; %bb.1:
	s_wait_loadcnt_dscnt 0x0
	v_cmp_neq_f64_e32 vcc_lo, 1.0, v[1:2]
	v_cmp_neq_f64_e64 s2, 0, v[3:4]
	s_wait_alu 0xfffe
	s_or_b32 s2, vcc_lo, s2
	s_wait_alu 0xfffe
	s_or_not1_b32 s2, s2, exec_lo
.LBB173_2:
	s_wait_alu 0xfffe
	s_or_b32 exec_lo, exec_lo, s3
	s_and_saveexec_b32 s3, s2
	s_cbranch_execz .LBB173_8
; %bb.3:
	s_clause 0x1
	s_load_b64 s[4:5], s[0:1], 0x20
	s_load_b64 s[2:3], s[0:1], 0x0
	v_lshrrev_b32_e32 v9, 5, v0
	s_delay_alu instid0(VALU_DEP_1)
	v_lshl_or_b32 v17, ttmp9, 3, v9
	s_wait_kmcnt 0x0
	s_cmp_lg_u64 s[4:5], 0
	s_cbranch_scc0 .LBB173_9
; %bb.4:
	s_load_b32 s6, s[0:1], 0x18
	s_mov_b32 s7, 0
                                        ; implicit-def: $vgpr9
	s_wait_kmcnt 0x0
	v_cmp_gt_i32_e32 vcc_lo, s6, v17
	s_mov_b32 s6, 0
	s_and_saveexec_b32 s8, vcc_lo
	s_delay_alu instid0(SALU_CYCLE_1)
	s_xor_b32 s8, exec_lo, s8
	s_cbranch_execz .LBB173_6
; %bb.5:
	v_ashrrev_i32_e32 v18, 31, v17
	s_mov_b32 s6, exec_lo
	s_delay_alu instid0(VALU_DEP_1) | instskip(NEXT) | instid1(VALU_DEP_1)
	v_lshlrev_b64_e32 v[9:10], 2, v[17:18]
	v_add_co_u32 v9, vcc_lo, s4, v9
	s_delay_alu instid0(VALU_DEP_1)
	v_add_co_ci_u32_e64 v10, null, s5, v10, vcc_lo
	global_load_b32 v9, v[9:10], off
	s_wait_loadcnt 0x0
	v_subrev_nc_u32_e32 v9, s12, v9
.LBB173_6:
	s_or_b32 exec_lo, exec_lo, s8
	s_delay_alu instid0(SALU_CYCLE_1)
	s_and_b32 vcc_lo, exec_lo, s7
	s_wait_alu 0xfffe
	s_cbranch_vccz .LBB173_10
.LBB173_7:
	v_cmp_gt_i32_e32 vcc_lo, s2, v17
	s_and_not1_b32 s2, s6, exec_lo
	s_and_b32 s4, vcc_lo, exec_lo
	s_wait_alu 0xfffe
	s_or_b32 s6, s2, s4
	s_wait_alu 0xfffe
	s_and_b32 exec_lo, exec_lo, s6
	s_cbranch_execnz .LBB173_11
.LBB173_8:
	s_endpgm
.LBB173_9:
	s_mov_b32 s6, 0
                                        ; implicit-def: $vgpr9
	s_cbranch_execnz .LBB173_7
.LBB173_10:
	v_mov_b32_e32 v17, v9
	s_and_b32 exec_lo, exec_lo, s6
	s_cbranch_execz .LBB173_8
.LBB173_11:
	s_load_b256 s[4:11], s[0:1], 0x28
	s_delay_alu instid0(VALU_DEP_1) | instskip(SKIP_1) | instid1(VALU_DEP_2)
	v_ashrrev_i32_e32 v18, 31, v17
	v_and_b32_e32 v0, 31, v0
	v_lshlrev_b64_e32 v[9:10], 3, v[17:18]
	s_wait_kmcnt 0x0
	s_delay_alu instid0(VALU_DEP_1) | instskip(SKIP_1) | instid1(VALU_DEP_2)
	v_add_co_u32 v11, vcc_lo, s4, v9
	s_wait_alu 0xfffd
	v_add_co_ci_u32_e64 v12, null, s5, v10, vcc_lo
	v_add_co_u32 v9, vcc_lo, s6, v9
	s_wait_alu 0xfffd
	v_add_co_ci_u32_e64 v10, null, s7, v10, vcc_lo
	global_load_b64 v[13:14], v[11:12], off
	v_add_co_u32 v11, vcc_lo, v11, 8
	s_wait_alu 0xfffd
	v_add_co_ci_u32_e64 v12, null, 0, v12, vcc_lo
	s_cmp_eq_u64 s[6:7], 0
	s_load_b64 s[4:5], s[0:1], 0x48
	s_cselect_b32 vcc_lo, -1, 0
	s_cmp_eq_u32 s3, 1
	s_wait_alu 0xfffe
	v_dual_cndmask_b32 v10, v10, v12 :: v_dual_cndmask_b32 v9, v9, v11
	global_load_b64 v[9:10], v[9:10], off
	s_wait_loadcnt 0x1
	v_sub_co_u32 v11, vcc_lo, v13, s12
	s_wait_alu 0xfffd
	v_subrev_co_ci_u32_e64 v12, null, 0, v14, vcc_lo
	s_delay_alu instid0(VALU_DEP_2) | instskip(SKIP_1) | instid1(VALU_DEP_2)
	v_add_co_u32 v22, vcc_lo, v11, v0
	s_wait_alu 0xfffd
	v_add_co_ci_u32_e64 v23, null, 0, v12, vcc_lo
	s_delay_alu instid0(VALU_DEP_2) | instskip(SKIP_4) | instid1(VALU_DEP_3)
	v_mad_co_u64_u32 v[24:25], null, 0x48, v22, s[10:11]
	s_wait_loadcnt 0x0
	v_sub_co_u32 v26, vcc_lo, v9, s12
	s_wait_alu 0xfffd
	v_subrev_co_ci_u32_e64 v27, null, 0, v10, vcc_lo
	v_mov_b32_e32 v11, v25
	s_delay_alu instid0(VALU_DEP_2) | instskip(NEXT) | instid1(VALU_DEP_2)
	v_cmp_lt_i64_e64 s2, v[22:23], v[26:27]
	v_mad_co_u64_u32 v[11:12], null, 0x48, v23, v[11:12]
	s_delay_alu instid0(VALU_DEP_1)
	v_mov_b32_e32 v25, v11
	s_cbranch_scc1 .LBB173_17
; %bb.12:
	v_mov_b32_e32 v9, 0
	v_dual_mov_b32 v13, 0 :: v_dual_mov_b32 v18, 0
	v_dual_mov_b32 v10, 0 :: v_dual_mov_b32 v11, 0
	;; [unrolled: 1-line block ×4, first 2 shown]
	v_mov_b32_e32 v12, 0
	v_dual_mov_b32 v16, 0 :: v_dual_mov_b32 v21, 0
	s_and_saveexec_b32 s6, s2
	s_cbranch_execz .LBB173_16
; %bb.13:
	v_lshlrev_b64_e32 v[11:12], 2, v[22:23]
	v_mov_b32_e32 v9, 0
	v_dual_mov_b32 v10, 0 :: v_dual_mov_b32 v29, v23
	v_dual_mov_b32 v15, 0 :: v_dual_mov_b32 v18, 0
	s_delay_alu instid0(VALU_DEP_4)
	v_add_co_u32 v30, vcc_lo, s8, v11
	s_wait_alu 0xfffd
	v_add_co_ci_u32_e64 v31, null, s9, v12, vcc_lo
	v_mov_b32_e32 v11, 0
	v_dual_mov_b32 v12, 0 :: v_dual_mov_b32 v13, 0
	v_dual_mov_b32 v20, 0 :: v_dual_mov_b32 v33, v25
	v_mov_b32_e32 v28, v22
	v_mov_b32_e32 v14, 0
	v_dual_mov_b32 v16, 0 :: v_dual_mov_b32 v19, 0
	v_dual_mov_b32 v21, 0 :: v_dual_mov_b32 v32, v24
	s_mov_b32 s7, 0
.LBB173_14:                             ; =>This Inner Loop Header: Depth=1
	global_load_b32 v46, v[30:31], off
	s_clause 0x2
	global_load_b128 v[34:37], v[32:33], off
	global_load_b128 v[38:41], v[32:33], off offset:16
	global_load_b128 v[42:45], v[32:33], off offset:48
	v_add_co_u32 v30, s3, 0x80, v30
	s_wait_alu 0xf1ff
	v_add_co_ci_u32_e64 v31, null, 0, v31, s3
	s_wait_loadcnt 0x3
	v_subrev_nc_u32_e32 v46, s12, v46
	s_wait_loadcnt 0x2
	v_cvt_f64_f32_e32 v[64:65], v34
	v_cvt_f64_f32_e32 v[34:35], v35
	s_wait_loadcnt 0x1
	v_cvt_f64_f32_e32 v[66:67], v40
	v_cvt_f64_f32_e32 v[40:41], v41
	v_lshl_add_u32 v46, v46, 1, v46
	s_wait_loadcnt 0x0
	v_cvt_f64_f32_e32 v[68:69], v42
	v_cvt_f64_f32_e32 v[42:43], v43
	;; [unrolled: 1-line block ×4, first 2 shown]
	v_ashrrev_i32_e32 v47, 31, v46
	s_delay_alu instid0(VALU_DEP_1) | instskip(SKIP_1) | instid1(VALU_DEP_1)
	v_lshlrev_b64_e32 v[46:47], 4, v[46:47]
	s_wait_kmcnt 0x0
	v_add_co_u32 v58, vcc_lo, s4, v46
	s_wait_alu 0xfffd
	s_delay_alu instid0(VALU_DEP_2)
	v_add_co_ci_u32_e64 v59, null, s5, v47, vcc_lo
	v_add_co_u32 v28, vcc_lo, v28, 32
	s_wait_alu 0xfffd
	v_add_co_ci_u32_e64 v29, null, 0, v29, vcc_lo
	s_clause 0x1
	global_load_b128 v[46:49], v[58:59], off
	global_load_b128 v[50:53], v[58:59], off offset:16
	s_clause 0x1
	global_load_b128 v[54:57], v[32:33], off offset:32
	global_load_b64 v[62:63], v[32:33], off offset:64
	global_load_b128 v[58:61], v[58:59], off offset:32
	v_add_co_u32 v32, vcc_lo, 0x900, v32
	s_wait_alu 0xfffd
	v_add_co_ci_u32_e64 v33, null, 0, v33, vcc_lo
	v_cmp_ge_i64_e32 vcc_lo, v[28:29], v[26:27]
	s_wait_alu 0xfffe
	s_or_b32 s7, vcc_lo, s7
	s_wait_loadcnt 0x4
	v_fma_f64 v[11:12], v[64:65], v[46:47], v[11:12]
	v_fma_f64 v[9:10], v[34:35], v[46:47], v[9:10]
	;; [unrolled: 1-line block ×6, first 2 shown]
	v_cvt_f64_f32_e32 v[46:47], v36
	v_cvt_f64_f32_e32 v[36:37], v37
	s_wait_loadcnt 0x2
	v_cvt_f64_f32_e32 v[70:71], v54
	v_cvt_f64_f32_e32 v[54:55], v55
	v_fma_f64 v[11:12], -v[34:35], v[48:49], v[11:12]
	v_fma_f64 v[9:10], v[64:65], v[48:49], v[9:10]
	v_fma_f64 v[15:16], -v[40:41], v[48:49], v[15:16]
	v_fma_f64 v[13:14], v[66:67], v[48:49], v[13:14]
	;; [unrolled: 2-line block ×3, first 2 shown]
	v_cvt_f64_f32_e32 v[34:35], v38
	v_cvt_f64_f32_e32 v[38:39], v39
	;; [unrolled: 1-line block ×4, first 2 shown]
	s_wait_loadcnt 0x1
	v_cvt_f64_f32_e32 v[48:49], v62
	v_fma_f64 v[11:12], v[46:47], v[50:51], v[11:12]
	v_fma_f64 v[9:10], v[36:37], v[50:51], v[9:10]
	;; [unrolled: 1-line block ×6, first 2 shown]
	v_cvt_f64_f32_e32 v[50:51], v63
	v_fma_f64 v[11:12], -v[36:37], v[52:53], v[11:12]
	v_fma_f64 v[9:10], v[46:47], v[52:53], v[9:10]
	v_fma_f64 v[15:16], -v[54:55], v[52:53], v[15:16]
	v_fma_f64 v[13:14], v[70:71], v[52:53], v[13:14]
	v_fma_f64 v[20:21], -v[44:45], v[52:53], v[20:21]
	v_fma_f64 v[18:19], v[72:73], v[52:53], v[18:19]
	s_wait_loadcnt 0x0
	v_fma_f64 v[11:12], v[34:35], v[58:59], v[11:12]
	v_fma_f64 v[9:10], v[38:39], v[58:59], v[9:10]
	;; [unrolled: 1-line block ×6, first 2 shown]
	v_fma_f64 v[11:12], -v[38:39], v[60:61], v[11:12]
	v_fma_f64 v[9:10], v[34:35], v[60:61], v[9:10]
	v_fma_f64 v[15:16], -v[42:43], v[60:61], v[15:16]
	v_fma_f64 v[13:14], v[40:41], v[60:61], v[13:14]
	;; [unrolled: 2-line block ×3, first 2 shown]
	s_wait_alu 0xfffe
	s_and_not1_b32 exec_lo, exec_lo, s7
	s_cbranch_execnz .LBB173_14
; %bb.15:
	s_or_b32 exec_lo, exec_lo, s7
.LBB173_16:
	s_wait_alu 0xfffe
	s_or_b32 exec_lo, exec_lo, s6
	s_cbranch_execz .LBB173_18
	s_branch .LBB173_23
.LBB173_17:
                                        ; implicit-def: $vgpr9_vgpr10
                                        ; implicit-def: $vgpr11_vgpr12
                                        ; implicit-def: $vgpr13_vgpr14
                                        ; implicit-def: $vgpr15_vgpr16
                                        ; implicit-def: $vgpr18_vgpr19
                                        ; implicit-def: $vgpr20_vgpr21
.LBB173_18:
	v_mov_b32_e32 v9, 0
	v_dual_mov_b32 v13, 0 :: v_dual_mov_b32 v18, 0
	v_dual_mov_b32 v10, 0 :: v_dual_mov_b32 v11, 0
	;; [unrolled: 1-line block ×4, first 2 shown]
	v_mov_b32_e32 v12, 0
	v_dual_mov_b32 v16, 0 :: v_dual_mov_b32 v21, 0
	s_and_saveexec_b32 s3, s2
	s_cbranch_execz .LBB173_22
; %bb.19:
	v_lshlrev_b64_e32 v[28:29], 2, v[22:23]
	v_mov_b32_e32 v9, 0
	v_dual_mov_b32 v13, 0 :: v_dual_mov_b32 v18, 0
	v_dual_mov_b32 v10, 0 :: v_dual_mov_b32 v11, 0
	s_delay_alu instid0(VALU_DEP_4)
	v_add_co_u32 v28, vcc_lo, s8, v28
	v_dual_mov_b32 v14, 0 :: v_dual_mov_b32 v15, 0
	v_dual_mov_b32 v19, 0 :: v_dual_mov_b32 v20, 0
	v_mov_b32_e32 v12, 0
	v_dual_mov_b32 v16, 0 :: v_dual_mov_b32 v21, 0
	s_wait_alu 0xfffd
	v_add_co_ci_u32_e64 v29, null, s9, v29, vcc_lo
	s_mov_b32 s6, 0
.LBB173_20:                             ; =>This Inner Loop Header: Depth=1
	global_load_b32 v38, v[28:29], off
	s_clause 0x1
	global_load_b128 v[30:33], v[24:25], off
	global_load_b128 v[34:37], v[24:25], off offset:16
	v_add_co_u32 v28, s2, 0x80, v28
	s_wait_alu 0xf1ff
	v_add_co_ci_u32_e64 v29, null, 0, v29, s2
	s_wait_loadcnt 0x2
	v_subrev_nc_u32_e32 v38, s12, v38
	s_wait_loadcnt 0x1
	v_cvt_f64_f32_e32 v[60:61], v30
	v_cvt_f64_f32_e32 v[30:31], v31
	;; [unrolled: 1-line block ×4, first 2 shown]
	v_lshl_add_u32 v38, v38, 1, v38
	s_wait_loadcnt 0x0
	v_cvt_f64_f32_e32 v[64:65], v34
	v_cvt_f64_f32_e32 v[34:35], v35
	s_delay_alu instid0(VALU_DEP_3) | instskip(NEXT) | instid1(VALU_DEP_1)
	v_ashrrev_i32_e32 v39, 31, v38
	v_lshlrev_b64_e32 v[38:39], 4, v[38:39]
	s_wait_kmcnt 0x0
	s_delay_alu instid0(VALU_DEP_1) | instskip(SKIP_1) | instid1(VALU_DEP_2)
	v_add_co_u32 v54, vcc_lo, s4, v38
	s_wait_alu 0xfffd
	v_add_co_ci_u32_e64 v55, null, s5, v39, vcc_lo
	v_add_co_u32 v22, vcc_lo, v22, 32
	s_wait_alu 0xfffd
	v_add_co_ci_u32_e64 v23, null, 0, v23, vcc_lo
	s_clause 0x1
	global_load_b128 v[38:41], v[54:55], off
	global_load_b128 v[42:45], v[54:55], off offset:16
	s_clause 0x2
	global_load_b128 v[46:49], v[24:25], off offset:32
	global_load_b128 v[50:53], v[24:25], off offset:48
	global_load_b64 v[58:59], v[24:25], off offset:64
	global_load_b128 v[54:57], v[54:55], off offset:32
	v_add_co_u32 v24, vcc_lo, 0x900, v24
	s_wait_alu 0xfffd
	v_add_co_ci_u32_e64 v25, null, 0, v25, vcc_lo
	v_cmp_ge_i64_e32 vcc_lo, v[22:23], v[26:27]
	s_wait_alu 0xfffe
	s_or_b32 s6, vcc_lo, s6
	s_wait_loadcnt 0x5
	v_fma_f64 v[11:12], v[60:61], v[38:39], v[11:12]
	v_fma_f64 v[9:10], v[30:31], v[38:39], v[9:10]
	;; [unrolled: 1-line block ×6, first 2 shown]
	v_cvt_f64_f32_e32 v[38:39], v36
	v_cvt_f64_f32_e32 v[36:37], v37
	s_wait_loadcnt 0x3
	v_cvt_f64_f32_e32 v[66:67], v46
	v_cvt_f64_f32_e32 v[46:47], v47
	;; [unrolled: 1-line block ×4, first 2 shown]
	v_fma_f64 v[11:12], -v[30:31], v[40:41], v[11:12]
	v_fma_f64 v[9:10], v[60:61], v[40:41], v[9:10]
	v_fma_f64 v[15:16], -v[32:33], v[40:41], v[15:16]
	v_fma_f64 v[13:14], v[62:63], v[40:41], v[13:14]
	;; [unrolled: 2-line block ×3, first 2 shown]
	s_wait_loadcnt 0x2
	v_cvt_f64_f32_e32 v[30:31], v50
	v_cvt_f64_f32_e32 v[32:33], v51
	;; [unrolled: 1-line block ×4, first 2 shown]
	s_wait_loadcnt 0x1
	v_cvt_f64_f32_e32 v[50:51], v59
	v_fma_f64 v[11:12], v[38:39], v[42:43], v[11:12]
	v_fma_f64 v[9:10], v[36:37], v[42:43], v[9:10]
	;; [unrolled: 1-line block ×6, first 2 shown]
	v_cvt_f64_f32_e32 v[42:43], v58
	v_fma_f64 v[11:12], -v[36:37], v[44:45], v[11:12]
	v_fma_f64 v[9:10], v[38:39], v[44:45], v[9:10]
	v_fma_f64 v[15:16], -v[46:47], v[44:45], v[15:16]
	v_fma_f64 v[13:14], v[66:67], v[44:45], v[13:14]
	;; [unrolled: 2-line block ×3, first 2 shown]
	s_wait_loadcnt 0x0
	v_fma_f64 v[11:12], v[30:31], v[54:55], v[11:12]
	v_fma_f64 v[9:10], v[32:33], v[54:55], v[9:10]
	v_fma_f64 v[15:16], v[34:35], v[54:55], v[15:16]
	v_fma_f64 v[13:14], v[40:41], v[54:55], v[13:14]
	v_fma_f64 v[20:21], v[42:43], v[54:55], v[20:21]
	v_fma_f64 v[18:19], v[50:51], v[54:55], v[18:19]
	v_fma_f64 v[11:12], -v[32:33], v[56:57], v[11:12]
	v_fma_f64 v[9:10], v[30:31], v[56:57], v[9:10]
	v_fma_f64 v[15:16], -v[40:41], v[56:57], v[15:16]
	v_fma_f64 v[13:14], v[34:35], v[56:57], v[13:14]
	v_fma_f64 v[20:21], -v[50:51], v[56:57], v[20:21]
	v_fma_f64 v[18:19], v[42:43], v[56:57], v[18:19]
	s_wait_alu 0xfffe
	s_and_not1_b32 exec_lo, exec_lo, s6
	s_cbranch_execnz .LBB173_20
; %bb.21:
	s_or_b32 exec_lo, exec_lo, s6
.LBB173_22:
	s_wait_alu 0xfffe
	s_or_b32 exec_lo, exec_lo, s3
.LBB173_23:
	v_mbcnt_lo_u32_b32 v34, -1, 0
	s_delay_alu instid0(VALU_DEP_1) | instskip(NEXT) | instid1(VALU_DEP_1)
	v_xor_b32_e32 v22, 16, v34
	v_cmp_gt_i32_e32 vcc_lo, 32, v22
	s_wait_alu 0xfffd
	v_cndmask_b32_e32 v22, v34, v22, vcc_lo
	s_delay_alu instid0(VALU_DEP_1)
	v_lshlrev_b32_e32 v33, 2, v22
	ds_bpermute_b32 v22, v33, v11
	ds_bpermute_b32 v23, v33, v12
	;; [unrolled: 1-line block ×12, first 2 shown]
	s_wait_dscnt 0xa
	v_add_f64_e32 v[11:12], v[11:12], v[22:23]
	v_xor_b32_e32 v22, 8, v34
	s_wait_dscnt 0x8
	v_add_f64_e32 v[9:10], v[9:10], v[24:25]
	s_wait_dscnt 0x6
	v_add_f64_e32 v[15:16], v[15:16], v[26:27]
	;; [unrolled: 2-line block ×3, first 2 shown]
	v_cmp_gt_i32_e32 vcc_lo, 32, v22
	s_wait_dscnt 0x2
	v_add_f64_e32 v[20:21], v[20:21], v[30:31]
	s_wait_dscnt 0x0
	v_add_f64_e32 v[18:19], v[18:19], v[32:33]
	s_wait_alu 0xfffd
	v_cndmask_b32_e32 v22, v34, v22, vcc_lo
	s_delay_alu instid0(VALU_DEP_1)
	v_lshlrev_b32_e32 v33, 2, v22
	ds_bpermute_b32 v22, v33, v11
	ds_bpermute_b32 v23, v33, v12
	;; [unrolled: 1-line block ×12, first 2 shown]
	s_wait_dscnt 0xa
	v_add_f64_e32 v[11:12], v[11:12], v[22:23]
	v_xor_b32_e32 v22, 4, v34
	s_wait_dscnt 0x8
	v_add_f64_e32 v[9:10], v[9:10], v[24:25]
	s_wait_dscnt 0x6
	v_add_f64_e32 v[15:16], v[15:16], v[26:27]
	;; [unrolled: 2-line block ×3, first 2 shown]
	v_cmp_gt_i32_e32 vcc_lo, 32, v22
	s_wait_dscnt 0x2
	v_add_f64_e32 v[20:21], v[20:21], v[30:31]
	s_wait_dscnt 0x0
	v_add_f64_e32 v[18:19], v[18:19], v[32:33]
	s_wait_alu 0xfffd
	v_cndmask_b32_e32 v22, v34, v22, vcc_lo
	s_delay_alu instid0(VALU_DEP_1)
	v_lshlrev_b32_e32 v33, 2, v22
	ds_bpermute_b32 v22, v33, v11
	ds_bpermute_b32 v23, v33, v12
	;; [unrolled: 1-line block ×12, first 2 shown]
	s_wait_dscnt 0xa
	v_add_f64_e32 v[11:12], v[11:12], v[22:23]
	s_wait_dscnt 0x8
	v_add_f64_e32 v[22:23], v[9:10], v[24:25]
	v_xor_b32_e32 v9, 2, v34
	s_wait_dscnt 0x6
	v_add_f64_e32 v[15:16], v[15:16], v[26:27]
	s_wait_dscnt 0x4
	v_add_f64_e32 v[13:14], v[13:14], v[28:29]
	;; [unrolled: 2-line block ×3, first 2 shown]
	v_cmp_gt_i32_e32 vcc_lo, 32, v9
	s_wait_dscnt 0x0
	v_add_f64_e32 v[24:25], v[18:19], v[32:33]
	s_wait_alu 0xfffd
	v_cndmask_b32_e32 v9, v34, v9, vcc_lo
	s_delay_alu instid0(VALU_DEP_1)
	v_lshlrev_b32_e32 v33, 2, v9
	ds_bpermute_b32 v9, v33, v11
	ds_bpermute_b32 v10, v33, v12
	ds_bpermute_b32 v18, v33, v22
	ds_bpermute_b32 v19, v33, v23
	ds_bpermute_b32 v26, v33, v15
	ds_bpermute_b32 v27, v33, v16
	ds_bpermute_b32 v28, v33, v13
	ds_bpermute_b32 v29, v33, v14
	ds_bpermute_b32 v30, v33, v20
	ds_bpermute_b32 v31, v33, v21
	ds_bpermute_b32 v32, v33, v24
	ds_bpermute_b32 v33, v33, v25
	s_wait_dscnt 0xa
	v_add_f64_e32 v[9:10], v[11:12], v[9:10]
	s_wait_dscnt 0x8
	v_add_f64_e32 v[22:23], v[22:23], v[18:19]
	;; [unrolled: 2-line block ×5, first 2 shown]
	v_xor_b32_e32 v20, 1, v34
	s_wait_dscnt 0x0
	v_add_f64_e32 v[15:16], v[24:25], v[32:33]
	s_delay_alu instid0(VALU_DEP_2) | instskip(SKIP_3) | instid1(VALU_DEP_2)
	v_cmp_gt_i32_e32 vcc_lo, 32, v20
	s_wait_alu 0xfffd
	v_cndmask_b32_e32 v20, v34, v20, vcc_lo
	v_cmp_eq_u32_e32 vcc_lo, 31, v0
	v_lshlrev_b32_e32 v29, 2, v20
	ds_bpermute_b32 v20, v29, v9
	ds_bpermute_b32 v21, v29, v10
	;; [unrolled: 1-line block ×12, first 2 shown]
	s_and_b32 exec_lo, exec_lo, vcc_lo
	s_cbranch_execz .LBB173_8
; %bb.24:
	s_wait_dscnt 0x8
	v_add_f64_e32 v[22:23], v[22:23], v[32:33]
	s_wait_dscnt 0x4
	v_add_f64_e32 v[18:19], v[18:19], v[30:31]
	;; [unrolled: 2-line block ×3, first 2 shown]
	v_add_f64_e32 v[9:10], v[9:10], v[20:21]
	v_add_f64_e32 v[11:12], v[11:12], v[24:25]
	v_add_f64_e32 v[20:21], v[13:14], v[26:27]
	v_cmp_eq_f64_e32 vcc_lo, 0, v[1:2]
	v_cmp_eq_f64_e64 s2, 0, v[3:4]
	s_load_b64 s[0:1], s[0:1], 0x60
	v_lshl_add_u32 v17, v17, 1, v17
	v_mul_f64_e64 v[13:14], v[22:23], -v[7:8]
	v_mul_f64_e32 v[22:23], v[5:6], v[22:23]
	v_mul_f64_e64 v[24:25], v[18:19], -v[7:8]
	v_mul_f64_e32 v[18:19], v[5:6], v[18:19]
	;; [unrolled: 2-line block ×3, first 2 shown]
	s_and_b32 s2, vcc_lo, s2
	v_fma_f64 v[13:14], v[5:6], v[9:10], v[13:14]
	v_fma_f64 v[15:16], v[7:8], v[9:10], v[22:23]
	;; [unrolled: 1-line block ×6, first 2 shown]
	v_ashrrev_i32_e32 v18, 31, v17
	s_wait_alu 0xfffe
	s_and_saveexec_b32 s3, s2
	s_wait_alu 0xfffe
	s_xor_b32 s2, exec_lo, s3
	s_cbranch_execz .LBB173_26
; %bb.25:
	v_lshlrev_b64_e32 v[0:1], 4, v[17:18]
                                        ; implicit-def: $vgpr17
	s_wait_kmcnt 0x0
	s_delay_alu instid0(VALU_DEP_1) | instskip(SKIP_1) | instid1(VALU_DEP_2)
	v_add_co_u32 v0, vcc_lo, s0, v0
	s_wait_alu 0xfffd
	v_add_co_ci_u32_e64 v1, null, s1, v1, vcc_lo
	s_clause 0x2
	global_store_b128 v[0:1], v[13:16], off
	global_store_b128 v[0:1], v[9:12], off offset:16
	global_store_b128 v[0:1], v[5:8], off offset:32
                                        ; implicit-def: $vgpr3_vgpr4
                                        ; implicit-def: $vgpr13_vgpr14
                                        ; implicit-def: $vgpr9_vgpr10
                                        ; implicit-def: $vgpr5_vgpr6
.LBB173_26:
	s_wait_alu 0xfffe
	s_and_not1_saveexec_b32 s2, s2
	s_cbranch_execz .LBB173_8
; %bb.27:
	v_lshlrev_b64_e32 v[17:18], 4, v[17:18]
	s_wait_kmcnt 0x0
	s_delay_alu instid0(VALU_DEP_1) | instskip(SKIP_1) | instid1(VALU_DEP_2)
	v_add_co_u32 v29, vcc_lo, s0, v17
	s_wait_alu 0xfffd
	v_add_co_ci_u32_e64 v30, null, s1, v18, vcc_lo
	s_clause 0x2
	global_load_b128 v[17:20], v[29:30], off
	global_load_b128 v[21:24], v[29:30], off offset:16
	global_load_b128 v[25:28], v[29:30], off offset:32
	s_wait_loadcnt 0x2
	v_fma_f64 v[13:14], v[1:2], v[17:18], v[13:14]
	v_fma_f64 v[15:16], v[3:4], v[17:18], v[15:16]
	s_wait_loadcnt 0x1
	v_fma_f64 v[9:10], v[1:2], v[21:22], v[9:10]
	v_fma_f64 v[11:12], v[3:4], v[21:22], v[11:12]
	;; [unrolled: 3-line block ×3, first 2 shown]
	v_fma_f64 v[5:6], -v[3:4], v[19:20], v[13:14]
	v_fma_f64 v[7:8], v[1:2], v[19:20], v[15:16]
	v_fma_f64 v[9:10], -v[3:4], v[23:24], v[9:10]
	v_fma_f64 v[11:12], v[1:2], v[23:24], v[11:12]
	;; [unrolled: 2-line block ×3, first 2 shown]
	s_clause 0x2
	global_store_b128 v[29:30], v[5:8], off
	global_store_b128 v[29:30], v[9:12], off offset:16
	global_store_b128 v[29:30], v[13:16], off offset:32
	s_endpgm
	.section	.rodata,"a",@progbits
	.p2align	6, 0x0
	.amdhsa_kernel _ZN9rocsparseL18bsrxmvn_3x3_kernelILj256ELj32E21rocsparse_complex_numIdEliS1_IfES2_S2_EEvT3_20rocsparse_direction_NS_24const_host_device_scalarIT1_EES4_PKS4_PKT2_SD_SA_PKT4_PKT5_S8_PT6_21rocsparse_index_base_b
		.amdhsa_group_segment_fixed_size 0
		.amdhsa_private_segment_fixed_size 0
		.amdhsa_kernarg_size 112
		.amdhsa_user_sgpr_count 2
		.amdhsa_user_sgpr_dispatch_ptr 0
		.amdhsa_user_sgpr_queue_ptr 0
		.amdhsa_user_sgpr_kernarg_segment_ptr 1
		.amdhsa_user_sgpr_dispatch_id 0
		.amdhsa_user_sgpr_private_segment_size 0
		.amdhsa_wavefront_size32 1
		.amdhsa_uses_dynamic_stack 0
		.amdhsa_enable_private_segment 0
		.amdhsa_system_sgpr_workgroup_id_x 1
		.amdhsa_system_sgpr_workgroup_id_y 0
		.amdhsa_system_sgpr_workgroup_id_z 0
		.amdhsa_system_sgpr_workgroup_info 0
		.amdhsa_system_vgpr_workitem_id 0
		.amdhsa_next_free_vgpr 74
		.amdhsa_next_free_sgpr 14
		.amdhsa_reserve_vcc 1
		.amdhsa_float_round_mode_32 0
		.amdhsa_float_round_mode_16_64 0
		.amdhsa_float_denorm_mode_32 3
		.amdhsa_float_denorm_mode_16_64 3
		.amdhsa_fp16_overflow 0
		.amdhsa_workgroup_processor_mode 1
		.amdhsa_memory_ordered 1
		.amdhsa_forward_progress 1
		.amdhsa_inst_pref_size 29
		.amdhsa_round_robin_scheduling 0
		.amdhsa_exception_fp_ieee_invalid_op 0
		.amdhsa_exception_fp_denorm_src 0
		.amdhsa_exception_fp_ieee_div_zero 0
		.amdhsa_exception_fp_ieee_overflow 0
		.amdhsa_exception_fp_ieee_underflow 0
		.amdhsa_exception_fp_ieee_inexact 0
		.amdhsa_exception_int_div_zero 0
	.end_amdhsa_kernel
	.section	.text._ZN9rocsparseL18bsrxmvn_3x3_kernelILj256ELj32E21rocsparse_complex_numIdEliS1_IfES2_S2_EEvT3_20rocsparse_direction_NS_24const_host_device_scalarIT1_EES4_PKS4_PKT2_SD_SA_PKT4_PKT5_S8_PT6_21rocsparse_index_base_b,"axG",@progbits,_ZN9rocsparseL18bsrxmvn_3x3_kernelILj256ELj32E21rocsparse_complex_numIdEliS1_IfES2_S2_EEvT3_20rocsparse_direction_NS_24const_host_device_scalarIT1_EES4_PKS4_PKT2_SD_SA_PKT4_PKT5_S8_PT6_21rocsparse_index_base_b,comdat
.Lfunc_end173:
	.size	_ZN9rocsparseL18bsrxmvn_3x3_kernelILj256ELj32E21rocsparse_complex_numIdEliS1_IfES2_S2_EEvT3_20rocsparse_direction_NS_24const_host_device_scalarIT1_EES4_PKS4_PKT2_SD_SA_PKT4_PKT5_S8_PT6_21rocsparse_index_base_b, .Lfunc_end173-_ZN9rocsparseL18bsrxmvn_3x3_kernelILj256ELj32E21rocsparse_complex_numIdEliS1_IfES2_S2_EEvT3_20rocsparse_direction_NS_24const_host_device_scalarIT1_EES4_PKS4_PKT2_SD_SA_PKT4_PKT5_S8_PT6_21rocsparse_index_base_b
                                        ; -- End function
	.set _ZN9rocsparseL18bsrxmvn_3x3_kernelILj256ELj32E21rocsparse_complex_numIdEliS1_IfES2_S2_EEvT3_20rocsparse_direction_NS_24const_host_device_scalarIT1_EES4_PKS4_PKT2_SD_SA_PKT4_PKT5_S8_PT6_21rocsparse_index_base_b.num_vgpr, 74
	.set _ZN9rocsparseL18bsrxmvn_3x3_kernelILj256ELj32E21rocsparse_complex_numIdEliS1_IfES2_S2_EEvT3_20rocsparse_direction_NS_24const_host_device_scalarIT1_EES4_PKS4_PKT2_SD_SA_PKT4_PKT5_S8_PT6_21rocsparse_index_base_b.num_agpr, 0
	.set _ZN9rocsparseL18bsrxmvn_3x3_kernelILj256ELj32E21rocsparse_complex_numIdEliS1_IfES2_S2_EEvT3_20rocsparse_direction_NS_24const_host_device_scalarIT1_EES4_PKS4_PKT2_SD_SA_PKT4_PKT5_S8_PT6_21rocsparse_index_base_b.numbered_sgpr, 14
	.set _ZN9rocsparseL18bsrxmvn_3x3_kernelILj256ELj32E21rocsparse_complex_numIdEliS1_IfES2_S2_EEvT3_20rocsparse_direction_NS_24const_host_device_scalarIT1_EES4_PKS4_PKT2_SD_SA_PKT4_PKT5_S8_PT6_21rocsparse_index_base_b.num_named_barrier, 0
	.set _ZN9rocsparseL18bsrxmvn_3x3_kernelILj256ELj32E21rocsparse_complex_numIdEliS1_IfES2_S2_EEvT3_20rocsparse_direction_NS_24const_host_device_scalarIT1_EES4_PKS4_PKT2_SD_SA_PKT4_PKT5_S8_PT6_21rocsparse_index_base_b.private_seg_size, 0
	.set _ZN9rocsparseL18bsrxmvn_3x3_kernelILj256ELj32E21rocsparse_complex_numIdEliS1_IfES2_S2_EEvT3_20rocsparse_direction_NS_24const_host_device_scalarIT1_EES4_PKS4_PKT2_SD_SA_PKT4_PKT5_S8_PT6_21rocsparse_index_base_b.uses_vcc, 1
	.set _ZN9rocsparseL18bsrxmvn_3x3_kernelILj256ELj32E21rocsparse_complex_numIdEliS1_IfES2_S2_EEvT3_20rocsparse_direction_NS_24const_host_device_scalarIT1_EES4_PKS4_PKT2_SD_SA_PKT4_PKT5_S8_PT6_21rocsparse_index_base_b.uses_flat_scratch, 0
	.set _ZN9rocsparseL18bsrxmvn_3x3_kernelILj256ELj32E21rocsparse_complex_numIdEliS1_IfES2_S2_EEvT3_20rocsparse_direction_NS_24const_host_device_scalarIT1_EES4_PKS4_PKT2_SD_SA_PKT4_PKT5_S8_PT6_21rocsparse_index_base_b.has_dyn_sized_stack, 0
	.set _ZN9rocsparseL18bsrxmvn_3x3_kernelILj256ELj32E21rocsparse_complex_numIdEliS1_IfES2_S2_EEvT3_20rocsparse_direction_NS_24const_host_device_scalarIT1_EES4_PKS4_PKT2_SD_SA_PKT4_PKT5_S8_PT6_21rocsparse_index_base_b.has_recursion, 0
	.set _ZN9rocsparseL18bsrxmvn_3x3_kernelILj256ELj32E21rocsparse_complex_numIdEliS1_IfES2_S2_EEvT3_20rocsparse_direction_NS_24const_host_device_scalarIT1_EES4_PKS4_PKT2_SD_SA_PKT4_PKT5_S8_PT6_21rocsparse_index_base_b.has_indirect_call, 0
	.section	.AMDGPU.csdata,"",@progbits
; Kernel info:
; codeLenInByte = 3624
; TotalNumSgprs: 16
; NumVgprs: 74
; ScratchSize: 0
; MemoryBound: 0
; FloatMode: 240
; IeeeMode: 1
; LDSByteSize: 0 bytes/workgroup (compile time only)
; SGPRBlocks: 0
; VGPRBlocks: 9
; NumSGPRsForWavesPerEU: 16
; NumVGPRsForWavesPerEU: 74
; Occupancy: 16
; WaveLimiterHint : 1
; COMPUTE_PGM_RSRC2:SCRATCH_EN: 0
; COMPUTE_PGM_RSRC2:USER_SGPR: 2
; COMPUTE_PGM_RSRC2:TRAP_HANDLER: 0
; COMPUTE_PGM_RSRC2:TGID_X_EN: 1
; COMPUTE_PGM_RSRC2:TGID_Y_EN: 0
; COMPUTE_PGM_RSRC2:TGID_Z_EN: 0
; COMPUTE_PGM_RSRC2:TIDIG_COMP_CNT: 0
	.section	.text._ZN9rocsparseL18bsrxmvn_3x3_kernelILj256ELj64E21rocsparse_complex_numIdEliS1_IfES2_S2_EEvT3_20rocsparse_direction_NS_24const_host_device_scalarIT1_EES4_PKS4_PKT2_SD_SA_PKT4_PKT5_S8_PT6_21rocsparse_index_base_b,"axG",@progbits,_ZN9rocsparseL18bsrxmvn_3x3_kernelILj256ELj64E21rocsparse_complex_numIdEliS1_IfES2_S2_EEvT3_20rocsparse_direction_NS_24const_host_device_scalarIT1_EES4_PKS4_PKT2_SD_SA_PKT4_PKT5_S8_PT6_21rocsparse_index_base_b,comdat
	.globl	_ZN9rocsparseL18bsrxmvn_3x3_kernelILj256ELj64E21rocsparse_complex_numIdEliS1_IfES2_S2_EEvT3_20rocsparse_direction_NS_24const_host_device_scalarIT1_EES4_PKS4_PKT2_SD_SA_PKT4_PKT5_S8_PT6_21rocsparse_index_base_b ; -- Begin function _ZN9rocsparseL18bsrxmvn_3x3_kernelILj256ELj64E21rocsparse_complex_numIdEliS1_IfES2_S2_EEvT3_20rocsparse_direction_NS_24const_host_device_scalarIT1_EES4_PKS4_PKT2_SD_SA_PKT4_PKT5_S8_PT6_21rocsparse_index_base_b
	.p2align	8
	.type	_ZN9rocsparseL18bsrxmvn_3x3_kernelILj256ELj64E21rocsparse_complex_numIdEliS1_IfES2_S2_EEvT3_20rocsparse_direction_NS_24const_host_device_scalarIT1_EES4_PKS4_PKT2_SD_SA_PKT4_PKT5_S8_PT6_21rocsparse_index_base_b,@function
_ZN9rocsparseL18bsrxmvn_3x3_kernelILj256ELj64E21rocsparse_complex_numIdEliS1_IfES2_S2_EEvT3_20rocsparse_direction_NS_24const_host_device_scalarIT1_EES4_PKS4_PKT2_SD_SA_PKT4_PKT5_S8_PT6_21rocsparse_index_base_b: ; @_ZN9rocsparseL18bsrxmvn_3x3_kernelILj256ELj64E21rocsparse_complex_numIdEliS1_IfES2_S2_EEvT3_20rocsparse_direction_NS_24const_host_device_scalarIT1_EES4_PKS4_PKT2_SD_SA_PKT4_PKT5_S8_PT6_21rocsparse_index_base_b
; %bb.0:
	s_clause 0x1
	s_load_b64 s[12:13], s[0:1], 0x68
	s_load_b64 s[2:3], s[0:1], 0x8
	s_add_nc_u64 s[4:5], s[0:1], 8
	s_load_b64 s[6:7], s[0:1], 0x50
	s_wait_kmcnt 0x0
	s_bitcmp1_b32 s13, 0
	s_cselect_b32 s2, s4, s2
	s_cselect_b32 s3, s5, s3
	s_delay_alu instid0(SALU_CYCLE_1)
	v_dual_mov_b32 v1, s2 :: v_dual_mov_b32 v2, s3
	s_add_nc_u64 s[2:3], s[0:1], 0x50
	s_wait_alu 0xfffe
	s_cselect_b32 s2, s2, s6
	s_cselect_b32 s3, s3, s7
	flat_load_b128 v[5:8], v[1:2]
	s_wait_alu 0xfffe
	v_dual_mov_b32 v1, s2 :: v_dual_mov_b32 v2, s3
	flat_load_b128 v[1:4], v[1:2]
	s_wait_loadcnt_dscnt 0x101
	v_cmp_eq_f64_e32 vcc_lo, 0, v[5:6]
	v_cmp_eq_f64_e64 s2, 0, v[7:8]
	s_and_b32 s4, vcc_lo, s2
	s_mov_b32 s2, -1
	s_and_saveexec_b32 s3, s4
	s_cbranch_execz .LBB174_2
; %bb.1:
	s_wait_loadcnt_dscnt 0x0
	v_cmp_neq_f64_e32 vcc_lo, 1.0, v[1:2]
	v_cmp_neq_f64_e64 s2, 0, v[3:4]
	s_wait_alu 0xfffe
	s_or_b32 s2, vcc_lo, s2
	s_wait_alu 0xfffe
	s_or_not1_b32 s2, s2, exec_lo
.LBB174_2:
	s_wait_alu 0xfffe
	s_or_b32 exec_lo, exec_lo, s3
	s_and_saveexec_b32 s3, s2
	s_cbranch_execz .LBB174_8
; %bb.3:
	s_clause 0x1
	s_load_b64 s[4:5], s[0:1], 0x20
	s_load_b64 s[2:3], s[0:1], 0x0
	v_lshrrev_b32_e32 v9, 6, v0
	s_delay_alu instid0(VALU_DEP_1)
	v_lshl_or_b32 v17, ttmp9, 2, v9
	s_wait_kmcnt 0x0
	s_cmp_lg_u64 s[4:5], 0
	s_cbranch_scc0 .LBB174_9
; %bb.4:
	s_load_b32 s6, s[0:1], 0x18
	s_mov_b32 s7, 0
                                        ; implicit-def: $vgpr9
	s_wait_kmcnt 0x0
	v_cmp_gt_i32_e32 vcc_lo, s6, v17
	s_mov_b32 s6, 0
	s_and_saveexec_b32 s8, vcc_lo
	s_delay_alu instid0(SALU_CYCLE_1)
	s_xor_b32 s8, exec_lo, s8
	s_cbranch_execz .LBB174_6
; %bb.5:
	v_ashrrev_i32_e32 v18, 31, v17
	s_mov_b32 s6, exec_lo
	s_delay_alu instid0(VALU_DEP_1) | instskip(NEXT) | instid1(VALU_DEP_1)
	v_lshlrev_b64_e32 v[9:10], 2, v[17:18]
	v_add_co_u32 v9, vcc_lo, s4, v9
	s_delay_alu instid0(VALU_DEP_1)
	v_add_co_ci_u32_e64 v10, null, s5, v10, vcc_lo
	global_load_b32 v9, v[9:10], off
	s_wait_loadcnt 0x0
	v_subrev_nc_u32_e32 v9, s12, v9
.LBB174_6:
	s_or_b32 exec_lo, exec_lo, s8
	s_delay_alu instid0(SALU_CYCLE_1)
	s_and_b32 vcc_lo, exec_lo, s7
	s_wait_alu 0xfffe
	s_cbranch_vccz .LBB174_10
.LBB174_7:
	v_cmp_gt_i32_e32 vcc_lo, s2, v17
	s_and_not1_b32 s2, s6, exec_lo
	s_and_b32 s4, vcc_lo, exec_lo
	s_wait_alu 0xfffe
	s_or_b32 s6, s2, s4
	s_wait_alu 0xfffe
	s_and_b32 exec_lo, exec_lo, s6
	s_cbranch_execnz .LBB174_11
.LBB174_8:
	s_endpgm
.LBB174_9:
	s_mov_b32 s6, 0
                                        ; implicit-def: $vgpr9
	s_cbranch_execnz .LBB174_7
.LBB174_10:
	v_mov_b32_e32 v17, v9
	s_and_b32 exec_lo, exec_lo, s6
	s_cbranch_execz .LBB174_8
.LBB174_11:
	s_load_b256 s[4:11], s[0:1], 0x28
	s_delay_alu instid0(VALU_DEP_1) | instskip(SKIP_1) | instid1(VALU_DEP_2)
	v_ashrrev_i32_e32 v18, 31, v17
	v_and_b32_e32 v0, 63, v0
	v_lshlrev_b64_e32 v[9:10], 3, v[17:18]
	s_wait_kmcnt 0x0
	s_delay_alu instid0(VALU_DEP_1) | instskip(SKIP_1) | instid1(VALU_DEP_2)
	v_add_co_u32 v11, vcc_lo, s4, v9
	s_wait_alu 0xfffd
	v_add_co_ci_u32_e64 v12, null, s5, v10, vcc_lo
	v_add_co_u32 v9, vcc_lo, s6, v9
	s_wait_alu 0xfffd
	v_add_co_ci_u32_e64 v10, null, s7, v10, vcc_lo
	global_load_b64 v[13:14], v[11:12], off
	v_add_co_u32 v11, vcc_lo, v11, 8
	s_wait_alu 0xfffd
	v_add_co_ci_u32_e64 v12, null, 0, v12, vcc_lo
	s_cmp_eq_u64 s[6:7], 0
	s_load_b64 s[4:5], s[0:1], 0x48
	s_cselect_b32 vcc_lo, -1, 0
	s_cmp_eq_u32 s3, 1
	s_wait_alu 0xfffe
	v_dual_cndmask_b32 v10, v10, v12 :: v_dual_cndmask_b32 v9, v9, v11
	global_load_b64 v[9:10], v[9:10], off
	s_wait_loadcnt 0x1
	v_sub_co_u32 v11, vcc_lo, v13, s12
	s_wait_alu 0xfffd
	v_subrev_co_ci_u32_e64 v12, null, 0, v14, vcc_lo
	s_delay_alu instid0(VALU_DEP_2) | instskip(SKIP_1) | instid1(VALU_DEP_2)
	v_add_co_u32 v22, vcc_lo, v11, v0
	s_wait_alu 0xfffd
	v_add_co_ci_u32_e64 v23, null, 0, v12, vcc_lo
	s_delay_alu instid0(VALU_DEP_2) | instskip(SKIP_4) | instid1(VALU_DEP_3)
	v_mad_co_u64_u32 v[24:25], null, 0x48, v22, s[10:11]
	s_wait_loadcnt 0x0
	v_sub_co_u32 v26, vcc_lo, v9, s12
	s_wait_alu 0xfffd
	v_subrev_co_ci_u32_e64 v27, null, 0, v10, vcc_lo
	v_mov_b32_e32 v11, v25
	s_delay_alu instid0(VALU_DEP_2) | instskip(NEXT) | instid1(VALU_DEP_2)
	v_cmp_lt_i64_e64 s2, v[22:23], v[26:27]
	v_mad_co_u64_u32 v[11:12], null, 0x48, v23, v[11:12]
	s_delay_alu instid0(VALU_DEP_1)
	v_mov_b32_e32 v25, v11
	s_cbranch_scc1 .LBB174_17
; %bb.12:
	v_mov_b32_e32 v9, 0
	v_dual_mov_b32 v13, 0 :: v_dual_mov_b32 v18, 0
	v_dual_mov_b32 v10, 0 :: v_dual_mov_b32 v11, 0
	;; [unrolled: 1-line block ×4, first 2 shown]
	v_mov_b32_e32 v12, 0
	v_dual_mov_b32 v16, 0 :: v_dual_mov_b32 v21, 0
	s_and_saveexec_b32 s6, s2
	s_cbranch_execz .LBB174_16
; %bb.13:
	v_lshlrev_b64_e32 v[11:12], 2, v[22:23]
	v_mov_b32_e32 v9, 0
	v_dual_mov_b32 v10, 0 :: v_dual_mov_b32 v29, v23
	v_dual_mov_b32 v15, 0 :: v_dual_mov_b32 v18, 0
	s_delay_alu instid0(VALU_DEP_4)
	v_add_co_u32 v30, vcc_lo, s8, v11
	s_wait_alu 0xfffd
	v_add_co_ci_u32_e64 v31, null, s9, v12, vcc_lo
	v_mov_b32_e32 v11, 0
	v_dual_mov_b32 v12, 0 :: v_dual_mov_b32 v13, 0
	v_dual_mov_b32 v20, 0 :: v_dual_mov_b32 v33, v25
	v_mov_b32_e32 v28, v22
	v_mov_b32_e32 v14, 0
	v_dual_mov_b32 v16, 0 :: v_dual_mov_b32 v19, 0
	v_dual_mov_b32 v21, 0 :: v_dual_mov_b32 v32, v24
	s_mov_b32 s7, 0
.LBB174_14:                             ; =>This Inner Loop Header: Depth=1
	global_load_b32 v46, v[30:31], off
	s_clause 0x2
	global_load_b128 v[34:37], v[32:33], off
	global_load_b128 v[38:41], v[32:33], off offset:16
	global_load_b128 v[42:45], v[32:33], off offset:48
	v_add_co_u32 v30, s3, 0x100, v30
	s_wait_alu 0xf1ff
	v_add_co_ci_u32_e64 v31, null, 0, v31, s3
	s_wait_loadcnt 0x3
	v_subrev_nc_u32_e32 v46, s12, v46
	s_wait_loadcnt 0x2
	v_cvt_f64_f32_e32 v[64:65], v34
	v_cvt_f64_f32_e32 v[34:35], v35
	s_wait_loadcnt 0x1
	v_cvt_f64_f32_e32 v[66:67], v40
	v_cvt_f64_f32_e32 v[40:41], v41
	v_lshl_add_u32 v46, v46, 1, v46
	s_wait_loadcnt 0x0
	v_cvt_f64_f32_e32 v[68:69], v42
	v_cvt_f64_f32_e32 v[42:43], v43
	;; [unrolled: 1-line block ×4, first 2 shown]
	v_ashrrev_i32_e32 v47, 31, v46
	s_delay_alu instid0(VALU_DEP_1) | instskip(SKIP_1) | instid1(VALU_DEP_1)
	v_lshlrev_b64_e32 v[46:47], 4, v[46:47]
	s_wait_kmcnt 0x0
	v_add_co_u32 v58, vcc_lo, s4, v46
	s_wait_alu 0xfffd
	s_delay_alu instid0(VALU_DEP_2)
	v_add_co_ci_u32_e64 v59, null, s5, v47, vcc_lo
	v_add_co_u32 v28, vcc_lo, v28, 64
	s_wait_alu 0xfffd
	v_add_co_ci_u32_e64 v29, null, 0, v29, vcc_lo
	s_clause 0x1
	global_load_b128 v[46:49], v[58:59], off
	global_load_b128 v[50:53], v[58:59], off offset:16
	s_clause 0x1
	global_load_b128 v[54:57], v[32:33], off offset:32
	global_load_b64 v[62:63], v[32:33], off offset:64
	global_load_b128 v[58:61], v[58:59], off offset:32
	v_add_co_u32 v32, vcc_lo, 0x1200, v32
	s_wait_alu 0xfffd
	v_add_co_ci_u32_e64 v33, null, 0, v33, vcc_lo
	v_cmp_ge_i64_e32 vcc_lo, v[28:29], v[26:27]
	s_wait_alu 0xfffe
	s_or_b32 s7, vcc_lo, s7
	s_wait_loadcnt 0x4
	v_fma_f64 v[11:12], v[64:65], v[46:47], v[11:12]
	v_fma_f64 v[9:10], v[34:35], v[46:47], v[9:10]
	;; [unrolled: 1-line block ×6, first 2 shown]
	v_cvt_f64_f32_e32 v[46:47], v36
	v_cvt_f64_f32_e32 v[36:37], v37
	s_wait_loadcnt 0x2
	v_cvt_f64_f32_e32 v[70:71], v54
	v_cvt_f64_f32_e32 v[54:55], v55
	v_fma_f64 v[11:12], -v[34:35], v[48:49], v[11:12]
	v_fma_f64 v[9:10], v[64:65], v[48:49], v[9:10]
	v_fma_f64 v[15:16], -v[40:41], v[48:49], v[15:16]
	v_fma_f64 v[13:14], v[66:67], v[48:49], v[13:14]
	;; [unrolled: 2-line block ×3, first 2 shown]
	v_cvt_f64_f32_e32 v[34:35], v38
	v_cvt_f64_f32_e32 v[38:39], v39
	;; [unrolled: 1-line block ×4, first 2 shown]
	s_wait_loadcnt 0x1
	v_cvt_f64_f32_e32 v[48:49], v62
	v_fma_f64 v[11:12], v[46:47], v[50:51], v[11:12]
	v_fma_f64 v[9:10], v[36:37], v[50:51], v[9:10]
	;; [unrolled: 1-line block ×6, first 2 shown]
	v_cvt_f64_f32_e32 v[50:51], v63
	v_fma_f64 v[11:12], -v[36:37], v[52:53], v[11:12]
	v_fma_f64 v[9:10], v[46:47], v[52:53], v[9:10]
	v_fma_f64 v[15:16], -v[54:55], v[52:53], v[15:16]
	v_fma_f64 v[13:14], v[70:71], v[52:53], v[13:14]
	;; [unrolled: 2-line block ×3, first 2 shown]
	s_wait_loadcnt 0x0
	v_fma_f64 v[11:12], v[34:35], v[58:59], v[11:12]
	v_fma_f64 v[9:10], v[38:39], v[58:59], v[9:10]
	;; [unrolled: 1-line block ×6, first 2 shown]
	v_fma_f64 v[11:12], -v[38:39], v[60:61], v[11:12]
	v_fma_f64 v[9:10], v[34:35], v[60:61], v[9:10]
	v_fma_f64 v[15:16], -v[42:43], v[60:61], v[15:16]
	v_fma_f64 v[13:14], v[40:41], v[60:61], v[13:14]
	;; [unrolled: 2-line block ×3, first 2 shown]
	s_wait_alu 0xfffe
	s_and_not1_b32 exec_lo, exec_lo, s7
	s_cbranch_execnz .LBB174_14
; %bb.15:
	s_or_b32 exec_lo, exec_lo, s7
.LBB174_16:
	s_wait_alu 0xfffe
	s_or_b32 exec_lo, exec_lo, s6
	s_cbranch_execz .LBB174_18
	s_branch .LBB174_23
.LBB174_17:
                                        ; implicit-def: $vgpr9_vgpr10
                                        ; implicit-def: $vgpr11_vgpr12
                                        ; implicit-def: $vgpr13_vgpr14
                                        ; implicit-def: $vgpr15_vgpr16
                                        ; implicit-def: $vgpr18_vgpr19
                                        ; implicit-def: $vgpr20_vgpr21
.LBB174_18:
	v_mov_b32_e32 v9, 0
	v_dual_mov_b32 v13, 0 :: v_dual_mov_b32 v18, 0
	v_dual_mov_b32 v10, 0 :: v_dual_mov_b32 v11, 0
	;; [unrolled: 1-line block ×4, first 2 shown]
	v_mov_b32_e32 v12, 0
	v_dual_mov_b32 v16, 0 :: v_dual_mov_b32 v21, 0
	s_and_saveexec_b32 s3, s2
	s_cbranch_execz .LBB174_22
; %bb.19:
	v_lshlrev_b64_e32 v[28:29], 2, v[22:23]
	v_mov_b32_e32 v9, 0
	v_dual_mov_b32 v13, 0 :: v_dual_mov_b32 v18, 0
	v_dual_mov_b32 v10, 0 :: v_dual_mov_b32 v11, 0
	s_delay_alu instid0(VALU_DEP_4)
	v_add_co_u32 v28, vcc_lo, s8, v28
	v_dual_mov_b32 v14, 0 :: v_dual_mov_b32 v15, 0
	v_dual_mov_b32 v19, 0 :: v_dual_mov_b32 v20, 0
	v_mov_b32_e32 v12, 0
	v_dual_mov_b32 v16, 0 :: v_dual_mov_b32 v21, 0
	s_wait_alu 0xfffd
	v_add_co_ci_u32_e64 v29, null, s9, v29, vcc_lo
	s_mov_b32 s6, 0
.LBB174_20:                             ; =>This Inner Loop Header: Depth=1
	global_load_b32 v38, v[28:29], off
	s_clause 0x1
	global_load_b128 v[30:33], v[24:25], off
	global_load_b128 v[34:37], v[24:25], off offset:16
	v_add_co_u32 v28, s2, 0x100, v28
	s_wait_alu 0xf1ff
	v_add_co_ci_u32_e64 v29, null, 0, v29, s2
	s_wait_loadcnt 0x2
	v_subrev_nc_u32_e32 v38, s12, v38
	s_wait_loadcnt 0x1
	v_cvt_f64_f32_e32 v[60:61], v30
	v_cvt_f64_f32_e32 v[30:31], v31
	;; [unrolled: 1-line block ×4, first 2 shown]
	v_lshl_add_u32 v38, v38, 1, v38
	s_wait_loadcnt 0x0
	v_cvt_f64_f32_e32 v[64:65], v34
	v_cvt_f64_f32_e32 v[34:35], v35
	s_delay_alu instid0(VALU_DEP_3) | instskip(NEXT) | instid1(VALU_DEP_1)
	v_ashrrev_i32_e32 v39, 31, v38
	v_lshlrev_b64_e32 v[38:39], 4, v[38:39]
	s_wait_kmcnt 0x0
	s_delay_alu instid0(VALU_DEP_1) | instskip(SKIP_1) | instid1(VALU_DEP_2)
	v_add_co_u32 v54, vcc_lo, s4, v38
	s_wait_alu 0xfffd
	v_add_co_ci_u32_e64 v55, null, s5, v39, vcc_lo
	v_add_co_u32 v22, vcc_lo, v22, 64
	s_wait_alu 0xfffd
	v_add_co_ci_u32_e64 v23, null, 0, v23, vcc_lo
	s_clause 0x1
	global_load_b128 v[38:41], v[54:55], off
	global_load_b128 v[42:45], v[54:55], off offset:16
	s_clause 0x2
	global_load_b128 v[46:49], v[24:25], off offset:32
	global_load_b128 v[50:53], v[24:25], off offset:48
	global_load_b64 v[58:59], v[24:25], off offset:64
	global_load_b128 v[54:57], v[54:55], off offset:32
	v_add_co_u32 v24, vcc_lo, 0x1200, v24
	s_wait_alu 0xfffd
	v_add_co_ci_u32_e64 v25, null, 0, v25, vcc_lo
	v_cmp_ge_i64_e32 vcc_lo, v[22:23], v[26:27]
	s_wait_alu 0xfffe
	s_or_b32 s6, vcc_lo, s6
	s_wait_loadcnt 0x5
	v_fma_f64 v[11:12], v[60:61], v[38:39], v[11:12]
	v_fma_f64 v[9:10], v[30:31], v[38:39], v[9:10]
	;; [unrolled: 1-line block ×6, first 2 shown]
	v_cvt_f64_f32_e32 v[38:39], v36
	v_cvt_f64_f32_e32 v[36:37], v37
	s_wait_loadcnt 0x3
	v_cvt_f64_f32_e32 v[66:67], v46
	v_cvt_f64_f32_e32 v[46:47], v47
	;; [unrolled: 1-line block ×4, first 2 shown]
	v_fma_f64 v[11:12], -v[30:31], v[40:41], v[11:12]
	v_fma_f64 v[9:10], v[60:61], v[40:41], v[9:10]
	v_fma_f64 v[15:16], -v[32:33], v[40:41], v[15:16]
	v_fma_f64 v[13:14], v[62:63], v[40:41], v[13:14]
	;; [unrolled: 2-line block ×3, first 2 shown]
	s_wait_loadcnt 0x2
	v_cvt_f64_f32_e32 v[30:31], v50
	v_cvt_f64_f32_e32 v[32:33], v51
	;; [unrolled: 1-line block ×4, first 2 shown]
	s_wait_loadcnt 0x1
	v_cvt_f64_f32_e32 v[50:51], v59
	v_fma_f64 v[11:12], v[38:39], v[42:43], v[11:12]
	v_fma_f64 v[9:10], v[36:37], v[42:43], v[9:10]
	;; [unrolled: 1-line block ×6, first 2 shown]
	v_cvt_f64_f32_e32 v[42:43], v58
	v_fma_f64 v[11:12], -v[36:37], v[44:45], v[11:12]
	v_fma_f64 v[9:10], v[38:39], v[44:45], v[9:10]
	v_fma_f64 v[15:16], -v[46:47], v[44:45], v[15:16]
	v_fma_f64 v[13:14], v[66:67], v[44:45], v[13:14]
	;; [unrolled: 2-line block ×3, first 2 shown]
	s_wait_loadcnt 0x0
	v_fma_f64 v[11:12], v[30:31], v[54:55], v[11:12]
	v_fma_f64 v[9:10], v[32:33], v[54:55], v[9:10]
	;; [unrolled: 1-line block ×6, first 2 shown]
	v_fma_f64 v[11:12], -v[32:33], v[56:57], v[11:12]
	v_fma_f64 v[9:10], v[30:31], v[56:57], v[9:10]
	v_fma_f64 v[15:16], -v[40:41], v[56:57], v[15:16]
	v_fma_f64 v[13:14], v[34:35], v[56:57], v[13:14]
	;; [unrolled: 2-line block ×3, first 2 shown]
	s_wait_alu 0xfffe
	s_and_not1_b32 exec_lo, exec_lo, s6
	s_cbranch_execnz .LBB174_20
; %bb.21:
	s_or_b32 exec_lo, exec_lo, s6
.LBB174_22:
	s_wait_alu 0xfffe
	s_or_b32 exec_lo, exec_lo, s3
.LBB174_23:
	v_mbcnt_lo_u32_b32 v34, -1, 0
	s_delay_alu instid0(VALU_DEP_1) | instskip(NEXT) | instid1(VALU_DEP_1)
	v_or_b32_e32 v22, 32, v34
	v_cmp_gt_i32_e32 vcc_lo, 32, v22
	s_wait_alu 0xfffd
	v_cndmask_b32_e32 v22, v34, v22, vcc_lo
	s_delay_alu instid0(VALU_DEP_1)
	v_lshlrev_b32_e32 v33, 2, v22
	ds_bpermute_b32 v22, v33, v11
	ds_bpermute_b32 v23, v33, v12
	ds_bpermute_b32 v24, v33, v9
	ds_bpermute_b32 v25, v33, v10
	ds_bpermute_b32 v26, v33, v15
	ds_bpermute_b32 v27, v33, v16
	ds_bpermute_b32 v28, v33, v13
	ds_bpermute_b32 v29, v33, v14
	ds_bpermute_b32 v30, v33, v20
	ds_bpermute_b32 v31, v33, v21
	ds_bpermute_b32 v32, v33, v18
	ds_bpermute_b32 v33, v33, v19
	s_wait_dscnt 0xa
	v_add_f64_e32 v[11:12], v[11:12], v[22:23]
	v_xor_b32_e32 v22, 16, v34
	s_wait_dscnt 0x8
	v_add_f64_e32 v[9:10], v[9:10], v[24:25]
	s_wait_dscnt 0x6
	v_add_f64_e32 v[15:16], v[15:16], v[26:27]
	s_wait_dscnt 0x4
	v_add_f64_e32 v[13:14], v[13:14], v[28:29]
	v_cmp_gt_i32_e32 vcc_lo, 32, v22
	s_wait_dscnt 0x2
	v_add_f64_e32 v[20:21], v[20:21], v[30:31]
	s_wait_dscnt 0x0
	v_add_f64_e32 v[18:19], v[18:19], v[32:33]
	s_wait_alu 0xfffd
	v_cndmask_b32_e32 v22, v34, v22, vcc_lo
	s_delay_alu instid0(VALU_DEP_1)
	v_lshlrev_b32_e32 v33, 2, v22
	ds_bpermute_b32 v22, v33, v11
	ds_bpermute_b32 v23, v33, v12
	ds_bpermute_b32 v24, v33, v9
	ds_bpermute_b32 v25, v33, v10
	ds_bpermute_b32 v26, v33, v15
	ds_bpermute_b32 v27, v33, v16
	ds_bpermute_b32 v28, v33, v13
	ds_bpermute_b32 v29, v33, v14
	ds_bpermute_b32 v30, v33, v20
	ds_bpermute_b32 v31, v33, v21
	ds_bpermute_b32 v32, v33, v18
	ds_bpermute_b32 v33, v33, v19
	s_wait_dscnt 0xa
	v_add_f64_e32 v[11:12], v[11:12], v[22:23]
	v_xor_b32_e32 v22, 8, v34
	s_wait_dscnt 0x8
	v_add_f64_e32 v[9:10], v[9:10], v[24:25]
	s_wait_dscnt 0x6
	v_add_f64_e32 v[15:16], v[15:16], v[26:27]
	s_wait_dscnt 0x4
	v_add_f64_e32 v[13:14], v[13:14], v[28:29]
	v_cmp_gt_i32_e32 vcc_lo, 32, v22
	s_wait_dscnt 0x2
	v_add_f64_e32 v[20:21], v[20:21], v[30:31]
	s_wait_dscnt 0x0
	v_add_f64_e32 v[18:19], v[18:19], v[32:33]
	;; [unrolled: 30-line block ×3, first 2 shown]
	s_wait_alu 0xfffd
	v_cndmask_b32_e32 v22, v34, v22, vcc_lo
	s_delay_alu instid0(VALU_DEP_1)
	v_lshlrev_b32_e32 v33, 2, v22
	ds_bpermute_b32 v22, v33, v11
	ds_bpermute_b32 v23, v33, v12
	;; [unrolled: 1-line block ×12, first 2 shown]
	s_wait_dscnt 0xa
	v_add_f64_e32 v[11:12], v[11:12], v[22:23]
	s_wait_dscnt 0x8
	v_add_f64_e32 v[22:23], v[9:10], v[24:25]
	v_xor_b32_e32 v9, 2, v34
	s_wait_dscnt 0x6
	v_add_f64_e32 v[15:16], v[15:16], v[26:27]
	s_wait_dscnt 0x4
	v_add_f64_e32 v[13:14], v[13:14], v[28:29]
	;; [unrolled: 2-line block ×3, first 2 shown]
	v_cmp_gt_i32_e32 vcc_lo, 32, v9
	s_wait_dscnt 0x0
	v_add_f64_e32 v[24:25], v[18:19], v[32:33]
	s_wait_alu 0xfffd
	v_cndmask_b32_e32 v9, v34, v9, vcc_lo
	s_delay_alu instid0(VALU_DEP_1)
	v_lshlrev_b32_e32 v33, 2, v9
	ds_bpermute_b32 v9, v33, v11
	ds_bpermute_b32 v10, v33, v12
	;; [unrolled: 1-line block ×12, first 2 shown]
	s_wait_dscnt 0xa
	v_add_f64_e32 v[9:10], v[11:12], v[9:10]
	s_wait_dscnt 0x8
	v_add_f64_e32 v[22:23], v[22:23], v[18:19]
	;; [unrolled: 2-line block ×5, first 2 shown]
	v_xor_b32_e32 v20, 1, v34
	s_wait_dscnt 0x0
	v_add_f64_e32 v[15:16], v[24:25], v[32:33]
	s_delay_alu instid0(VALU_DEP_2) | instskip(SKIP_3) | instid1(VALU_DEP_2)
	v_cmp_gt_i32_e32 vcc_lo, 32, v20
	s_wait_alu 0xfffd
	v_cndmask_b32_e32 v20, v34, v20, vcc_lo
	v_cmp_eq_u32_e32 vcc_lo, 63, v0
	v_lshlrev_b32_e32 v29, 2, v20
	ds_bpermute_b32 v20, v29, v9
	ds_bpermute_b32 v21, v29, v10
	;; [unrolled: 1-line block ×12, first 2 shown]
	s_and_b32 exec_lo, exec_lo, vcc_lo
	s_cbranch_execz .LBB174_8
; %bb.24:
	s_wait_dscnt 0x8
	v_add_f64_e32 v[22:23], v[22:23], v[32:33]
	s_wait_dscnt 0x4
	v_add_f64_e32 v[18:19], v[18:19], v[30:31]
	;; [unrolled: 2-line block ×3, first 2 shown]
	v_add_f64_e32 v[9:10], v[9:10], v[20:21]
	v_add_f64_e32 v[11:12], v[11:12], v[24:25]
	;; [unrolled: 1-line block ×3, first 2 shown]
	v_cmp_eq_f64_e32 vcc_lo, 0, v[1:2]
	v_cmp_eq_f64_e64 s2, 0, v[3:4]
	s_load_b64 s[0:1], s[0:1], 0x60
	v_lshl_add_u32 v17, v17, 1, v17
	v_mul_f64_e64 v[13:14], v[22:23], -v[7:8]
	v_mul_f64_e32 v[22:23], v[5:6], v[22:23]
	v_mul_f64_e64 v[24:25], v[18:19], -v[7:8]
	v_mul_f64_e32 v[18:19], v[5:6], v[18:19]
	;; [unrolled: 2-line block ×3, first 2 shown]
	s_and_b32 s2, vcc_lo, s2
	v_fma_f64 v[13:14], v[5:6], v[9:10], v[13:14]
	v_fma_f64 v[15:16], v[7:8], v[9:10], v[22:23]
	;; [unrolled: 1-line block ×6, first 2 shown]
	v_ashrrev_i32_e32 v18, 31, v17
	s_wait_alu 0xfffe
	s_and_saveexec_b32 s3, s2
	s_wait_alu 0xfffe
	s_xor_b32 s2, exec_lo, s3
	s_cbranch_execz .LBB174_26
; %bb.25:
	v_lshlrev_b64_e32 v[0:1], 4, v[17:18]
                                        ; implicit-def: $vgpr17
	s_wait_kmcnt 0x0
	s_delay_alu instid0(VALU_DEP_1) | instskip(SKIP_1) | instid1(VALU_DEP_2)
	v_add_co_u32 v0, vcc_lo, s0, v0
	s_wait_alu 0xfffd
	v_add_co_ci_u32_e64 v1, null, s1, v1, vcc_lo
	s_clause 0x2
	global_store_b128 v[0:1], v[13:16], off
	global_store_b128 v[0:1], v[9:12], off offset:16
	global_store_b128 v[0:1], v[5:8], off offset:32
                                        ; implicit-def: $vgpr3_vgpr4
                                        ; implicit-def: $vgpr13_vgpr14
                                        ; implicit-def: $vgpr9_vgpr10
                                        ; implicit-def: $vgpr5_vgpr6
.LBB174_26:
	s_wait_alu 0xfffe
	s_and_not1_saveexec_b32 s2, s2
	s_cbranch_execz .LBB174_8
; %bb.27:
	v_lshlrev_b64_e32 v[17:18], 4, v[17:18]
	s_wait_kmcnt 0x0
	s_delay_alu instid0(VALU_DEP_1) | instskip(SKIP_1) | instid1(VALU_DEP_2)
	v_add_co_u32 v29, vcc_lo, s0, v17
	s_wait_alu 0xfffd
	v_add_co_ci_u32_e64 v30, null, s1, v18, vcc_lo
	s_clause 0x2
	global_load_b128 v[17:20], v[29:30], off
	global_load_b128 v[21:24], v[29:30], off offset:16
	global_load_b128 v[25:28], v[29:30], off offset:32
	s_wait_loadcnt 0x2
	v_fma_f64 v[13:14], v[1:2], v[17:18], v[13:14]
	v_fma_f64 v[15:16], v[3:4], v[17:18], v[15:16]
	s_wait_loadcnt 0x1
	v_fma_f64 v[9:10], v[1:2], v[21:22], v[9:10]
	v_fma_f64 v[11:12], v[3:4], v[21:22], v[11:12]
	;; [unrolled: 3-line block ×3, first 2 shown]
	v_fma_f64 v[5:6], -v[3:4], v[19:20], v[13:14]
	v_fma_f64 v[7:8], v[1:2], v[19:20], v[15:16]
	v_fma_f64 v[9:10], -v[3:4], v[23:24], v[9:10]
	v_fma_f64 v[11:12], v[1:2], v[23:24], v[11:12]
	;; [unrolled: 2-line block ×3, first 2 shown]
	s_clause 0x2
	global_store_b128 v[29:30], v[5:8], off
	global_store_b128 v[29:30], v[9:12], off offset:16
	global_store_b128 v[29:30], v[13:16], off offset:32
	s_endpgm
	.section	.rodata,"a",@progbits
	.p2align	6, 0x0
	.amdhsa_kernel _ZN9rocsparseL18bsrxmvn_3x3_kernelILj256ELj64E21rocsparse_complex_numIdEliS1_IfES2_S2_EEvT3_20rocsparse_direction_NS_24const_host_device_scalarIT1_EES4_PKS4_PKT2_SD_SA_PKT4_PKT5_S8_PT6_21rocsparse_index_base_b
		.amdhsa_group_segment_fixed_size 0
		.amdhsa_private_segment_fixed_size 0
		.amdhsa_kernarg_size 112
		.amdhsa_user_sgpr_count 2
		.amdhsa_user_sgpr_dispatch_ptr 0
		.amdhsa_user_sgpr_queue_ptr 0
		.amdhsa_user_sgpr_kernarg_segment_ptr 1
		.amdhsa_user_sgpr_dispatch_id 0
		.amdhsa_user_sgpr_private_segment_size 0
		.amdhsa_wavefront_size32 1
		.amdhsa_uses_dynamic_stack 0
		.amdhsa_enable_private_segment 0
		.amdhsa_system_sgpr_workgroup_id_x 1
		.amdhsa_system_sgpr_workgroup_id_y 0
		.amdhsa_system_sgpr_workgroup_id_z 0
		.amdhsa_system_sgpr_workgroup_info 0
		.amdhsa_system_vgpr_workitem_id 0
		.amdhsa_next_free_vgpr 74
		.amdhsa_next_free_sgpr 14
		.amdhsa_reserve_vcc 1
		.amdhsa_float_round_mode_32 0
		.amdhsa_float_round_mode_16_64 0
		.amdhsa_float_denorm_mode_32 3
		.amdhsa_float_denorm_mode_16_64 3
		.amdhsa_fp16_overflow 0
		.amdhsa_workgroup_processor_mode 1
		.amdhsa_memory_ordered 1
		.amdhsa_forward_progress 1
		.amdhsa_inst_pref_size 30
		.amdhsa_round_robin_scheduling 0
		.amdhsa_exception_fp_ieee_invalid_op 0
		.amdhsa_exception_fp_denorm_src 0
		.amdhsa_exception_fp_ieee_div_zero 0
		.amdhsa_exception_fp_ieee_overflow 0
		.amdhsa_exception_fp_ieee_underflow 0
		.amdhsa_exception_fp_ieee_inexact 0
		.amdhsa_exception_int_div_zero 0
	.end_amdhsa_kernel
	.section	.text._ZN9rocsparseL18bsrxmvn_3x3_kernelILj256ELj64E21rocsparse_complex_numIdEliS1_IfES2_S2_EEvT3_20rocsparse_direction_NS_24const_host_device_scalarIT1_EES4_PKS4_PKT2_SD_SA_PKT4_PKT5_S8_PT6_21rocsparse_index_base_b,"axG",@progbits,_ZN9rocsparseL18bsrxmvn_3x3_kernelILj256ELj64E21rocsparse_complex_numIdEliS1_IfES2_S2_EEvT3_20rocsparse_direction_NS_24const_host_device_scalarIT1_EES4_PKS4_PKT2_SD_SA_PKT4_PKT5_S8_PT6_21rocsparse_index_base_b,comdat
.Lfunc_end174:
	.size	_ZN9rocsparseL18bsrxmvn_3x3_kernelILj256ELj64E21rocsparse_complex_numIdEliS1_IfES2_S2_EEvT3_20rocsparse_direction_NS_24const_host_device_scalarIT1_EES4_PKS4_PKT2_SD_SA_PKT4_PKT5_S8_PT6_21rocsparse_index_base_b, .Lfunc_end174-_ZN9rocsparseL18bsrxmvn_3x3_kernelILj256ELj64E21rocsparse_complex_numIdEliS1_IfES2_S2_EEvT3_20rocsparse_direction_NS_24const_host_device_scalarIT1_EES4_PKS4_PKT2_SD_SA_PKT4_PKT5_S8_PT6_21rocsparse_index_base_b
                                        ; -- End function
	.set _ZN9rocsparseL18bsrxmvn_3x3_kernelILj256ELj64E21rocsparse_complex_numIdEliS1_IfES2_S2_EEvT3_20rocsparse_direction_NS_24const_host_device_scalarIT1_EES4_PKS4_PKT2_SD_SA_PKT4_PKT5_S8_PT6_21rocsparse_index_base_b.num_vgpr, 74
	.set _ZN9rocsparseL18bsrxmvn_3x3_kernelILj256ELj64E21rocsparse_complex_numIdEliS1_IfES2_S2_EEvT3_20rocsparse_direction_NS_24const_host_device_scalarIT1_EES4_PKS4_PKT2_SD_SA_PKT4_PKT5_S8_PT6_21rocsparse_index_base_b.num_agpr, 0
	.set _ZN9rocsparseL18bsrxmvn_3x3_kernelILj256ELj64E21rocsparse_complex_numIdEliS1_IfES2_S2_EEvT3_20rocsparse_direction_NS_24const_host_device_scalarIT1_EES4_PKS4_PKT2_SD_SA_PKT4_PKT5_S8_PT6_21rocsparse_index_base_b.numbered_sgpr, 14
	.set _ZN9rocsparseL18bsrxmvn_3x3_kernelILj256ELj64E21rocsparse_complex_numIdEliS1_IfES2_S2_EEvT3_20rocsparse_direction_NS_24const_host_device_scalarIT1_EES4_PKS4_PKT2_SD_SA_PKT4_PKT5_S8_PT6_21rocsparse_index_base_b.num_named_barrier, 0
	.set _ZN9rocsparseL18bsrxmvn_3x3_kernelILj256ELj64E21rocsparse_complex_numIdEliS1_IfES2_S2_EEvT3_20rocsparse_direction_NS_24const_host_device_scalarIT1_EES4_PKS4_PKT2_SD_SA_PKT4_PKT5_S8_PT6_21rocsparse_index_base_b.private_seg_size, 0
	.set _ZN9rocsparseL18bsrxmvn_3x3_kernelILj256ELj64E21rocsparse_complex_numIdEliS1_IfES2_S2_EEvT3_20rocsparse_direction_NS_24const_host_device_scalarIT1_EES4_PKS4_PKT2_SD_SA_PKT4_PKT5_S8_PT6_21rocsparse_index_base_b.uses_vcc, 1
	.set _ZN9rocsparseL18bsrxmvn_3x3_kernelILj256ELj64E21rocsparse_complex_numIdEliS1_IfES2_S2_EEvT3_20rocsparse_direction_NS_24const_host_device_scalarIT1_EES4_PKS4_PKT2_SD_SA_PKT4_PKT5_S8_PT6_21rocsparse_index_base_b.uses_flat_scratch, 0
	.set _ZN9rocsparseL18bsrxmvn_3x3_kernelILj256ELj64E21rocsparse_complex_numIdEliS1_IfES2_S2_EEvT3_20rocsparse_direction_NS_24const_host_device_scalarIT1_EES4_PKS4_PKT2_SD_SA_PKT4_PKT5_S8_PT6_21rocsparse_index_base_b.has_dyn_sized_stack, 0
	.set _ZN9rocsparseL18bsrxmvn_3x3_kernelILj256ELj64E21rocsparse_complex_numIdEliS1_IfES2_S2_EEvT3_20rocsparse_direction_NS_24const_host_device_scalarIT1_EES4_PKS4_PKT2_SD_SA_PKT4_PKT5_S8_PT6_21rocsparse_index_base_b.has_recursion, 0
	.set _ZN9rocsparseL18bsrxmvn_3x3_kernelILj256ELj64E21rocsparse_complex_numIdEliS1_IfES2_S2_EEvT3_20rocsparse_direction_NS_24const_host_device_scalarIT1_EES4_PKS4_PKT2_SD_SA_PKT4_PKT5_S8_PT6_21rocsparse_index_base_b.has_indirect_call, 0
	.section	.AMDGPU.csdata,"",@progbits
; Kernel info:
; codeLenInByte = 3792
; TotalNumSgprs: 16
; NumVgprs: 74
; ScratchSize: 0
; MemoryBound: 0
; FloatMode: 240
; IeeeMode: 1
; LDSByteSize: 0 bytes/workgroup (compile time only)
; SGPRBlocks: 0
; VGPRBlocks: 9
; NumSGPRsForWavesPerEU: 16
; NumVGPRsForWavesPerEU: 74
; Occupancy: 16
; WaveLimiterHint : 1
; COMPUTE_PGM_RSRC2:SCRATCH_EN: 0
; COMPUTE_PGM_RSRC2:USER_SGPR: 2
; COMPUTE_PGM_RSRC2:TRAP_HANDLER: 0
; COMPUTE_PGM_RSRC2:TGID_X_EN: 1
; COMPUTE_PGM_RSRC2:TGID_Y_EN: 0
; COMPUTE_PGM_RSRC2:TGID_Z_EN: 0
; COMPUTE_PGM_RSRC2:TIDIG_COMP_CNT: 0
	.section	.text._ZN9rocsparseL18bsrxmvn_3x3_kernelILj256ELj4E21rocsparse_complex_numIdEllS1_IfES2_S2_EEvT3_20rocsparse_direction_NS_24const_host_device_scalarIT1_EES4_PKS4_PKT2_SD_SA_PKT4_PKT5_S8_PT6_21rocsparse_index_base_b,"axG",@progbits,_ZN9rocsparseL18bsrxmvn_3x3_kernelILj256ELj4E21rocsparse_complex_numIdEllS1_IfES2_S2_EEvT3_20rocsparse_direction_NS_24const_host_device_scalarIT1_EES4_PKS4_PKT2_SD_SA_PKT4_PKT5_S8_PT6_21rocsparse_index_base_b,comdat
	.globl	_ZN9rocsparseL18bsrxmvn_3x3_kernelILj256ELj4E21rocsparse_complex_numIdEllS1_IfES2_S2_EEvT3_20rocsparse_direction_NS_24const_host_device_scalarIT1_EES4_PKS4_PKT2_SD_SA_PKT4_PKT5_S8_PT6_21rocsparse_index_base_b ; -- Begin function _ZN9rocsparseL18bsrxmvn_3x3_kernelILj256ELj4E21rocsparse_complex_numIdEllS1_IfES2_S2_EEvT3_20rocsparse_direction_NS_24const_host_device_scalarIT1_EES4_PKS4_PKT2_SD_SA_PKT4_PKT5_S8_PT6_21rocsparse_index_base_b
	.p2align	8
	.type	_ZN9rocsparseL18bsrxmvn_3x3_kernelILj256ELj4E21rocsparse_complex_numIdEllS1_IfES2_S2_EEvT3_20rocsparse_direction_NS_24const_host_device_scalarIT1_EES4_PKS4_PKT2_SD_SA_PKT4_PKT5_S8_PT6_21rocsparse_index_base_b,@function
_ZN9rocsparseL18bsrxmvn_3x3_kernelILj256ELj4E21rocsparse_complex_numIdEllS1_IfES2_S2_EEvT3_20rocsparse_direction_NS_24const_host_device_scalarIT1_EES4_PKS4_PKT2_SD_SA_PKT4_PKT5_S8_PT6_21rocsparse_index_base_b: ; @_ZN9rocsparseL18bsrxmvn_3x3_kernelILj256ELj4E21rocsparse_complex_numIdEllS1_IfES2_S2_EEvT3_20rocsparse_direction_NS_24const_host_device_scalarIT1_EES4_PKS4_PKT2_SD_SA_PKT4_PKT5_S8_PT6_21rocsparse_index_base_b
; %bb.0:
	s_clause 0x1
	s_load_b64 s[4:5], s[0:1], 0x70
	s_load_b64 s[2:3], s[0:1], 0x10
	s_add_nc_u64 s[6:7], s[0:1], 16
	s_load_b64 s[8:9], s[0:1], 0x58
	s_wait_kmcnt 0x0
	s_bitcmp1_b32 s5, 0
	s_cselect_b32 s2, s6, s2
	s_cselect_b32 s3, s7, s3
	s_delay_alu instid0(SALU_CYCLE_1)
	v_dual_mov_b32 v1, s2 :: v_dual_mov_b32 v2, s3
	s_add_nc_u64 s[2:3], s[0:1], 0x58
	s_wait_alu 0xfffe
	s_cselect_b32 s2, s2, s8
	s_cselect_b32 s3, s3, s9
	flat_load_b128 v[5:8], v[1:2]
	s_wait_alu 0xfffe
	v_dual_mov_b32 v1, s2 :: v_dual_mov_b32 v2, s3
	flat_load_b128 v[1:4], v[1:2]
	s_wait_loadcnt_dscnt 0x101
	v_cmp_eq_f64_e32 vcc_lo, 0, v[5:6]
	v_cmp_eq_f64_e64 s2, 0, v[7:8]
	s_and_b32 s5, vcc_lo, s2
	s_mov_b32 s2, -1
	s_and_saveexec_b32 s3, s5
	s_cbranch_execz .LBB175_2
; %bb.1:
	s_wait_loadcnt_dscnt 0x0
	v_cmp_neq_f64_e32 vcc_lo, 1.0, v[1:2]
	v_cmp_neq_f64_e64 s2, 0, v[3:4]
	s_wait_alu 0xfffe
	s_or_b32 s2, vcc_lo, s2
	s_wait_alu 0xfffe
	s_or_not1_b32 s2, s2, exec_lo
.LBB175_2:
	s_wait_alu 0xfffe
	s_or_b32 exec_lo, exec_lo, s3
	s_and_saveexec_b32 s3, s2
	s_cbranch_execz .LBB175_8
; %bb.3:
	s_load_b64 s[2:3], s[0:1], 0x28
	v_lshrrev_b32_e32 v9, 2, v0
	v_mov_b32_e32 v12, 0
	s_delay_alu instid0(VALU_DEP_2)
	v_lshl_or_b32 v11, ttmp9, 6, v9
	s_wait_kmcnt 0x0
	s_cmp_lg_u64 s[2:3], 0
	s_cbranch_scc0 .LBB175_9
; %bb.4:
	s_load_b64 s[6:7], s[0:1], 0x20
                                        ; implicit-def: $vgpr17_vgpr18
                                        ; implicit-def: $vgpr9_vgpr10
	s_wait_kmcnt 0x0
	v_cmp_gt_i64_e32 vcc_lo, s[6:7], v[11:12]
	s_mov_b32 s7, 0
	s_mov_b32 s6, 0
	s_and_saveexec_b32 s5, vcc_lo
	s_delay_alu instid0(SALU_CYCLE_1)
	s_xor_b32 s8, exec_lo, s5
	s_cbranch_execz .LBB175_6
; %bb.5:
	v_lshlrev_b64_e32 v[9:10], 3, v[11:12]
	s_mov_b32 s5, 0
	s_mov_b32 s6, exec_lo
	s_delay_alu instid0(VALU_DEP_1) | instskip(NEXT) | instid1(VALU_DEP_1)
	v_add_co_u32 v9, vcc_lo, s2, v9
	v_add_co_ci_u32_e64 v10, null, s3, v10, vcc_lo
	global_load_b64 v[9:10], v[9:10], off
	s_wait_loadcnt 0x0
	v_sub_co_u32 v17, vcc_lo, v9, s4
	s_wait_alu 0xfffd
	v_subrev_co_ci_u32_e64 v18, null, 0, v10, vcc_lo
	v_dual_mov_b32 v10, s5 :: v_dual_mov_b32 v9, s4
.LBB175_6:
	s_or_b32 exec_lo, exec_lo, s8
	s_wait_alu 0xfffe
	s_and_b32 vcc_lo, exec_lo, s7
	s_wait_alu 0xfffe
	s_cbranch_vccnz .LBB175_10
.LBB175_7:
	s_and_b32 exec_lo, exec_lo, s6
	s_cbranch_execnz .LBB175_13
.LBB175_8:
	s_endpgm
.LBB175_9:
	s_mov_b32 s6, 0
                                        ; implicit-def: $vgpr17_vgpr18
                                        ; implicit-def: $vgpr9_vgpr10
	s_cbranch_execz .LBB175_7
.LBB175_10:
	s_load_b64 s[2:3], s[0:1], 0x0
	s_wait_kmcnt 0x0
	v_cmp_gt_i64_e32 vcc_lo, s[2:3], v[11:12]
	s_and_saveexec_b32 s2, vcc_lo
; %bb.11:
	s_mov_b32 s5, 0
	s_or_b32 s6, s6, exec_lo
; %bb.12:
	s_wait_alu 0xfffe
	s_or_b32 exec_lo, exec_lo, s2
	v_dual_mov_b32 v10, s5 :: v_dual_mov_b32 v9, s4
	v_dual_mov_b32 v18, v12 :: v_dual_mov_b32 v17, v11
	s_and_b32 exec_lo, exec_lo, s6
	s_cbranch_execz .LBB175_8
.LBB175_13:
	s_load_b256 s[4:11], s[0:1], 0x30
	s_delay_alu instid0(VALU_DEP_1) | instskip(SKIP_2) | instid1(VALU_DEP_2)
	v_lshlrev_b64_e32 v[11:12], 3, v[17:18]
	v_and_b32_e32 v0, 3, v0
	s_wait_kmcnt 0x0
	v_add_co_u32 v13, vcc_lo, s4, v11
	s_wait_alu 0xfffd
	s_delay_alu instid0(VALU_DEP_3)
	v_add_co_ci_u32_e64 v14, null, s5, v12, vcc_lo
	v_add_co_u32 v11, vcc_lo, s6, v11
	s_wait_alu 0xfffd
	v_add_co_ci_u32_e64 v12, null, s7, v12, vcc_lo
	global_load_b64 v[15:16], v[13:14], off
	v_add_co_u32 v13, vcc_lo, v13, 8
	s_wait_alu 0xfffd
	v_add_co_ci_u32_e64 v14, null, 0, v14, vcc_lo
	s_cmp_eq_u64 s[6:7], 0
	s_cselect_b32 vcc_lo, -1, 0
	s_wait_alu 0xfffe
	v_dual_cndmask_b32 v12, v12, v14 :: v_dual_cndmask_b32 v11, v11, v13
	global_load_b64 v[19:20], v[11:12], off
	s_clause 0x1
	s_load_b32 s3, s[0:1], 0x8
	s_load_b64 s[4:5], s[0:1], 0x50
	s_wait_kmcnt 0x0
	s_cmp_eq_u32 s3, 1
	s_wait_loadcnt 0x1
	v_sub_co_u32 v11, vcc_lo, v15, v9
	s_wait_alu 0xfffd
	v_sub_co_ci_u32_e64 v12, null, v16, v10, vcc_lo
	s_delay_alu instid0(VALU_DEP_2) | instskip(SKIP_1) | instid1(VALU_DEP_2)
	v_add_co_u32 v11, vcc_lo, v11, v0
	s_wait_alu 0xfffd
	v_add_co_ci_u32_e64 v12, null, 0, v12, vcc_lo
	s_delay_alu instid0(VALU_DEP_2) | instskip(NEXT) | instid1(VALU_DEP_1)
	v_mad_co_u64_u32 v[13:14], null, 0x48, v11, s[10:11]
	v_mad_co_u64_u32 v[14:15], null, 0x48, v12, v[14:15]
	s_wait_loadcnt 0x0
	v_sub_co_u32 v15, vcc_lo, v19, v9
	s_wait_alu 0xfffd
	v_sub_co_ci_u32_e64 v16, null, v20, v10, vcc_lo
	s_delay_alu instid0(VALU_DEP_1)
	v_cmp_lt_i64_e64 s2, v[11:12], v[15:16]
	s_cbranch_scc1 .LBB175_19
; %bb.14:
	v_mov_b32_e32 v19, 0
	v_mov_b32_e32 v23, 0
	v_dual_mov_b32 v27, 0 :: v_dual_mov_b32 v20, 0
	v_dual_mov_b32 v21, 0 :: v_dual_mov_b32 v24, 0
	;; [unrolled: 1-line block ×4, first 2 shown]
	v_mov_b32_e32 v26, 0
	v_mov_b32_e32 v30, 0
	s_and_saveexec_b32 s6, s2
	s_cbranch_execz .LBB175_18
; %bb.15:
	v_lshlrev_b64_e32 v[21:22], 3, v[11:12]
	v_mov_b32_e32 v25, 0
	v_dual_mov_b32 v19, 0 :: v_dual_mov_b32 v32, v12
	v_dual_mov_b32 v26, 0 :: v_dual_mov_b32 v27, 0
	s_delay_alu instid0(VALU_DEP_4)
	v_add_co_u32 v33, vcc_lo, s8, v21
	s_wait_alu 0xfffd
	v_add_co_ci_u32_e64 v34, null, s9, v22, vcc_lo
	v_mov_b32_e32 v21, 0
	v_dual_mov_b32 v22, 0 :: v_dual_mov_b32 v23, 0
	v_dual_mov_b32 v29, 0 :: v_dual_mov_b32 v36, v14
	;; [unrolled: 1-line block ×3, first 2 shown]
	v_mov_b32_e32 v24, 0
	v_mov_b32_e32 v28, 0
	v_dual_mov_b32 v30, 0 :: v_dual_mov_b32 v35, v13
	s_mov_b32 s7, 0
.LBB175_16:                             ; =>This Inner Loop Header: Depth=1
	global_load_b64 v[49:50], v[33:34], off
	s_clause 0x2
	global_load_b128 v[37:40], v[35:36], off
	global_load_b128 v[41:44], v[35:36], off offset:16
	global_load_b128 v[45:48], v[35:36], off offset:48
	v_add_co_u32 v33, s3, v33, 32
	s_wait_alu 0xf1ff
	v_add_co_ci_u32_e64 v34, null, 0, v34, s3
	s_wait_loadcnt 0x3
	v_sub_co_u32 v49, vcc_lo, v49, v9
	s_wait_alu 0xfffd
	v_sub_co_ci_u32_e64 v50, null, v50, v10, vcc_lo
	s_wait_loadcnt 0x2
	v_cvt_f64_f32_e32 v[67:68], v37
	v_mad_co_u64_u32 v[61:62], null, v49, 48, s[4:5]
	v_cvt_f64_f32_e32 v[37:38], v38
	s_wait_loadcnt 0x1
	v_cvt_f64_f32_e32 v[69:70], v43
	v_cvt_f64_f32_e32 v[43:44], v44
	s_wait_loadcnt 0x0
	v_cvt_f64_f32_e32 v[71:72], v45
	v_cvt_f64_f32_e32 v[45:46], v46
	v_cvt_f64_f32_e32 v[75:76], v47
	v_mov_b32_e32 v49, v62
	v_cvt_f64_f32_e32 v[47:48], v48
	v_add_co_u32 v31, vcc_lo, v31, 4
	s_wait_alu 0xfffd
	v_add_co_ci_u32_e64 v32, null, 0, v32, vcc_lo
	v_mad_co_u64_u32 v[49:50], null, v50, 48, v[49:50]
	s_delay_alu instid0(VALU_DEP_1)
	v_mov_b32_e32 v62, v49
	s_clause 0x1
	global_load_b128 v[49:52], v[61:62], off
	global_load_b128 v[53:56], v[61:62], off offset:16
	s_clause 0x1
	global_load_b128 v[57:60], v[35:36], off offset:32
	global_load_b64 v[65:66], v[35:36], off offset:64
	global_load_b128 v[61:64], v[61:62], off offset:32
	v_add_co_u32 v35, vcc_lo, 0x120, v35
	s_wait_alu 0xfffd
	v_add_co_ci_u32_e64 v36, null, 0, v36, vcc_lo
	v_cmp_ge_i64_e32 vcc_lo, v[31:32], v[15:16]
	s_wait_alu 0xfffe
	s_or_b32 s7, vcc_lo, s7
	s_wait_loadcnt 0x4
	v_fma_f64 v[21:22], v[67:68], v[49:50], v[21:22]
	v_fma_f64 v[19:20], v[37:38], v[49:50], v[19:20]
	;; [unrolled: 1-line block ×6, first 2 shown]
	v_cvt_f64_f32_e32 v[49:50], v39
	v_cvt_f64_f32_e32 v[39:40], v40
	s_wait_loadcnt 0x2
	v_cvt_f64_f32_e32 v[73:74], v57
	v_cvt_f64_f32_e32 v[57:58], v58
	v_fma_f64 v[21:22], -v[37:38], v[51:52], v[21:22]
	v_fma_f64 v[19:20], v[67:68], v[51:52], v[19:20]
	v_fma_f64 v[25:26], -v[43:44], v[51:52], v[25:26]
	v_fma_f64 v[23:24], v[69:70], v[51:52], v[23:24]
	;; [unrolled: 2-line block ×3, first 2 shown]
	v_cvt_f64_f32_e32 v[37:38], v41
	v_cvt_f64_f32_e32 v[41:42], v42
	;; [unrolled: 1-line block ×4, first 2 shown]
	s_wait_loadcnt 0x1
	v_cvt_f64_f32_e32 v[51:52], v65
	v_fma_f64 v[21:22], v[49:50], v[53:54], v[21:22]
	v_fma_f64 v[19:20], v[39:40], v[53:54], v[19:20]
	;; [unrolled: 1-line block ×6, first 2 shown]
	v_cvt_f64_f32_e32 v[53:54], v66
	v_fma_f64 v[21:22], -v[39:40], v[55:56], v[21:22]
	v_fma_f64 v[19:20], v[49:50], v[55:56], v[19:20]
	v_fma_f64 v[25:26], -v[57:58], v[55:56], v[25:26]
	v_fma_f64 v[23:24], v[73:74], v[55:56], v[23:24]
	;; [unrolled: 2-line block ×3, first 2 shown]
	s_wait_loadcnt 0x0
	v_fma_f64 v[21:22], v[37:38], v[61:62], v[21:22]
	v_fma_f64 v[19:20], v[41:42], v[61:62], v[19:20]
	;; [unrolled: 1-line block ×6, first 2 shown]
	v_fma_f64 v[21:22], -v[41:42], v[63:64], v[21:22]
	v_fma_f64 v[19:20], v[37:38], v[63:64], v[19:20]
	v_fma_f64 v[25:26], -v[45:46], v[63:64], v[25:26]
	v_fma_f64 v[23:24], v[43:44], v[63:64], v[23:24]
	;; [unrolled: 2-line block ×3, first 2 shown]
	s_wait_alu 0xfffe
	s_and_not1_b32 exec_lo, exec_lo, s7
	s_cbranch_execnz .LBB175_16
; %bb.17:
	s_or_b32 exec_lo, exec_lo, s7
.LBB175_18:
	s_wait_alu 0xfffe
	s_or_b32 exec_lo, exec_lo, s6
	s_cbranch_execz .LBB175_20
	s_branch .LBB175_25
.LBB175_19:
                                        ; implicit-def: $vgpr19_vgpr20
                                        ; implicit-def: $vgpr21_vgpr22
                                        ; implicit-def: $vgpr23_vgpr24
                                        ; implicit-def: $vgpr25_vgpr26
                                        ; implicit-def: $vgpr27_vgpr28
                                        ; implicit-def: $vgpr29_vgpr30
.LBB175_20:
	v_mov_b32_e32 v19, 0
	v_mov_b32_e32 v23, 0
	v_dual_mov_b32 v27, 0 :: v_dual_mov_b32 v20, 0
	v_dual_mov_b32 v21, 0 :: v_dual_mov_b32 v24, 0
	;; [unrolled: 1-line block ×4, first 2 shown]
	v_mov_b32_e32 v26, 0
	v_mov_b32_e32 v30, 0
	s_and_saveexec_b32 s3, s2
	s_cbranch_execz .LBB175_24
; %bb.21:
	v_lshlrev_b64_e32 v[31:32], 3, v[11:12]
	v_mov_b32_e32 v19, 0
	v_mov_b32_e32 v23, 0
	v_dual_mov_b32 v27, 0 :: v_dual_mov_b32 v20, 0
	v_mov_b32_e32 v21, 0
	v_add_co_u32 v31, vcc_lo, s8, v31
	v_dual_mov_b32 v24, 0 :: v_dual_mov_b32 v25, 0
	v_dual_mov_b32 v28, 0 :: v_dual_mov_b32 v29, 0
	v_mov_b32_e32 v22, 0
	v_mov_b32_e32 v26, 0
	;; [unrolled: 1-line block ×3, first 2 shown]
	s_wait_alu 0xfffd
	v_add_co_ci_u32_e64 v32, null, s9, v32, vcc_lo
	s_mov_b32 s6, 0
.LBB175_22:                             ; =>This Inner Loop Header: Depth=1
	global_load_b64 v[41:42], v[31:32], off
	s_clause 0x1
	global_load_b128 v[33:36], v[13:14], off
	global_load_b128 v[37:40], v[13:14], off offset:16
	v_add_co_u32 v31, s2, v31, 32
	s_wait_alu 0xf1ff
	v_add_co_ci_u32_e64 v32, null, 0, v32, s2
	s_wait_loadcnt 0x2
	v_sub_co_u32 v41, vcc_lo, v41, v9
	s_wait_alu 0xfffd
	v_sub_co_ci_u32_e64 v42, null, v42, v10, vcc_lo
	s_wait_loadcnt 0x1
	v_cvt_f64_f32_e32 v[63:64], v33
	v_mad_co_u64_u32 v[57:58], null, v41, 48, s[4:5]
	v_cvt_f64_f32_e32 v[33:34], v34
	v_cvt_f64_f32_e32 v[65:66], v35
	;; [unrolled: 1-line block ×3, first 2 shown]
	s_wait_loadcnt 0x0
	v_cvt_f64_f32_e32 v[67:68], v37
	v_cvt_f64_f32_e32 v[37:38], v38
	v_add_co_u32 v11, vcc_lo, v11, 4
	v_mov_b32_e32 v41, v58
	s_wait_alu 0xfffd
	v_add_co_ci_u32_e64 v12, null, 0, v12, vcc_lo
	s_delay_alu instid0(VALU_DEP_2) | instskip(NEXT) | instid1(VALU_DEP_1)
	v_mad_co_u64_u32 v[41:42], null, v42, 48, v[41:42]
	v_mov_b32_e32 v58, v41
	s_clause 0x1
	global_load_b128 v[41:44], v[57:58], off
	global_load_b128 v[45:48], v[57:58], off offset:16
	s_clause 0x2
	global_load_b128 v[49:52], v[13:14], off offset:32
	global_load_b128 v[53:56], v[13:14], off offset:48
	global_load_b64 v[61:62], v[13:14], off offset:64
	global_load_b128 v[57:60], v[57:58], off offset:32
	v_add_co_u32 v13, vcc_lo, 0x120, v13
	s_wait_alu 0xfffd
	v_add_co_ci_u32_e64 v14, null, 0, v14, vcc_lo
	v_cmp_ge_i64_e32 vcc_lo, v[11:12], v[15:16]
	s_wait_alu 0xfffe
	s_or_b32 s6, vcc_lo, s6
	s_wait_loadcnt 0x5
	v_fma_f64 v[21:22], v[63:64], v[41:42], v[21:22]
	v_fma_f64 v[19:20], v[33:34], v[41:42], v[19:20]
	;; [unrolled: 1-line block ×6, first 2 shown]
	v_cvt_f64_f32_e32 v[41:42], v39
	v_cvt_f64_f32_e32 v[39:40], v40
	s_wait_loadcnt 0x3
	v_cvt_f64_f32_e32 v[69:70], v49
	v_cvt_f64_f32_e32 v[49:50], v50
	;; [unrolled: 1-line block ×4, first 2 shown]
	v_fma_f64 v[21:22], -v[33:34], v[43:44], v[21:22]
	v_fma_f64 v[19:20], v[63:64], v[43:44], v[19:20]
	v_fma_f64 v[25:26], -v[35:36], v[43:44], v[25:26]
	v_fma_f64 v[23:24], v[65:66], v[43:44], v[23:24]
	;; [unrolled: 2-line block ×3, first 2 shown]
	s_wait_loadcnt 0x2
	v_cvt_f64_f32_e32 v[33:34], v53
	v_cvt_f64_f32_e32 v[35:36], v54
	;; [unrolled: 1-line block ×4, first 2 shown]
	s_wait_loadcnt 0x1
	v_cvt_f64_f32_e32 v[53:54], v62
	v_fma_f64 v[21:22], v[41:42], v[45:46], v[21:22]
	v_fma_f64 v[19:20], v[39:40], v[45:46], v[19:20]
	;; [unrolled: 1-line block ×6, first 2 shown]
	v_cvt_f64_f32_e32 v[45:46], v61
	v_fma_f64 v[21:22], -v[39:40], v[47:48], v[21:22]
	v_fma_f64 v[19:20], v[41:42], v[47:48], v[19:20]
	v_fma_f64 v[25:26], -v[49:50], v[47:48], v[25:26]
	v_fma_f64 v[23:24], v[69:70], v[47:48], v[23:24]
	;; [unrolled: 2-line block ×3, first 2 shown]
	s_wait_loadcnt 0x0
	v_fma_f64 v[21:22], v[33:34], v[57:58], v[21:22]
	v_fma_f64 v[19:20], v[35:36], v[57:58], v[19:20]
	;; [unrolled: 1-line block ×6, first 2 shown]
	v_fma_f64 v[21:22], -v[35:36], v[59:60], v[21:22]
	v_fma_f64 v[19:20], v[33:34], v[59:60], v[19:20]
	v_fma_f64 v[25:26], -v[43:44], v[59:60], v[25:26]
	v_fma_f64 v[23:24], v[37:38], v[59:60], v[23:24]
	;; [unrolled: 2-line block ×3, first 2 shown]
	s_wait_alu 0xfffe
	s_and_not1_b32 exec_lo, exec_lo, s6
	s_cbranch_execnz .LBB175_22
; %bb.23:
	s_or_b32 exec_lo, exec_lo, s6
.LBB175_24:
	s_wait_alu 0xfffe
	s_or_b32 exec_lo, exec_lo, s3
.LBB175_25:
	v_mbcnt_lo_u32_b32 v37, -1, 0
	s_delay_alu instid0(VALU_DEP_1) | instskip(NEXT) | instid1(VALU_DEP_1)
	v_xor_b32_e32 v9, 2, v37
	v_cmp_gt_i32_e32 vcc_lo, 32, v9
	s_wait_alu 0xfffd
	v_cndmask_b32_e32 v9, v37, v9, vcc_lo
	s_delay_alu instid0(VALU_DEP_1)
	v_lshlrev_b32_e32 v31, 2, v9
	ds_bpermute_b32 v9, v31, v21
	ds_bpermute_b32 v10, v31, v22
	;; [unrolled: 1-line block ×12, first 2 shown]
	s_wait_dscnt 0xa
	v_add_f64_e32 v[9:10], v[21:22], v[9:10]
	v_xor_b32_e32 v21, 1, v37
	s_wait_dscnt 0x8
	v_add_f64_e32 v[31:32], v[19:20], v[11:12]
	s_wait_dscnt 0x6
	v_add_f64_e32 v[11:12], v[25:26], v[13:14]
	;; [unrolled: 2-line block ×3, first 2 shown]
	v_cmp_gt_i32_e32 vcc_lo, 32, v21
	s_wait_dscnt 0x2
	v_add_f64_e32 v[13:14], v[29:30], v[33:34]
	s_wait_dscnt 0x0
	v_add_f64_e32 v[15:16], v[27:28], v[35:36]
	s_wait_alu 0xfffd
	v_cndmask_b32_e32 v21, v37, v21, vcc_lo
	v_cmp_eq_u32_e32 vcc_lo, 3, v0
	s_delay_alu instid0(VALU_DEP_2)
	v_lshlrev_b32_e32 v28, 2, v21
	ds_bpermute_b32 v21, v28, v9
	ds_bpermute_b32 v22, v28, v10
	;; [unrolled: 1-line block ×12, first 2 shown]
	s_and_b32 exec_lo, exec_lo, vcc_lo
	s_cbranch_execz .LBB175_8
; %bb.26:
	s_wait_dscnt 0x8
	v_add_f64_e32 v[31:32], v[31:32], v[33:34]
	s_wait_dscnt 0x4
	v_add_f64_e32 v[19:20], v[19:20], v[29:30]
	;; [unrolled: 2-line block ×3, first 2 shown]
	v_add_f64_e32 v[9:10], v[9:10], v[21:22]
	v_add_f64_e32 v[11:12], v[11:12], v[23:24]
	;; [unrolled: 1-line block ×3, first 2 shown]
	v_cmp_eq_f64_e32 vcc_lo, 0, v[1:2]
	v_cmp_eq_f64_e64 s2, 0, v[3:4]
	s_load_b64 s[0:1], s[0:1], 0x68
	v_mul_f64_e64 v[13:14], v[31:32], -v[7:8]
	v_mul_f64_e32 v[23:24], v[5:6], v[31:32]
	v_mul_f64_e64 v[25:26], v[19:20], -v[7:8]
	v_mul_f64_e32 v[19:20], v[5:6], v[19:20]
	;; [unrolled: 2-line block ×3, first 2 shown]
	s_and_b32 s2, vcc_lo, s2
	v_fma_f64 v[13:14], v[5:6], v[9:10], v[13:14]
	v_fma_f64 v[15:16], v[7:8], v[9:10], v[23:24]
	;; [unrolled: 1-line block ×6, first 2 shown]
	s_wait_alu 0xfffe
	s_and_saveexec_b32 s3, s2
	s_wait_alu 0xfffe
	s_xor_b32 s2, exec_lo, s3
	s_cbranch_execz .LBB175_28
; %bb.27:
	s_wait_kmcnt 0x0
	v_mad_co_u64_u32 v[0:1], null, v17, 48, s[0:1]
	s_delay_alu instid0(VALU_DEP_1)
	v_mad_co_u64_u32 v[1:2], null, v18, 48, v[1:2]
                                        ; implicit-def: $vgpr17_vgpr18
	s_clause 0x2
	global_store_b128 v[0:1], v[13:16], off
	global_store_b128 v[0:1], v[9:12], off offset:16
	global_store_b128 v[0:1], v[5:8], off offset:32
                                        ; implicit-def: $vgpr3_vgpr4
                                        ; implicit-def: $vgpr13_vgpr14
                                        ; implicit-def: $vgpr9_vgpr10
                                        ; implicit-def: $vgpr5_vgpr6
.LBB175_28:
	s_wait_alu 0xfffe
	s_and_not1_saveexec_b32 s2, s2
	s_cbranch_execz .LBB175_8
; %bb.29:
	s_wait_kmcnt 0x0
	v_mad_co_u64_u32 v[29:30], null, v17, 48, s[0:1]
	s_delay_alu instid0(VALU_DEP_1) | instskip(NEXT) | instid1(VALU_DEP_1)
	v_mov_b32_e32 v0, v30
	v_mad_co_u64_u32 v[17:18], null, v18, 48, v[0:1]
	s_delay_alu instid0(VALU_DEP_1)
	v_mov_b32_e32 v30, v17
	s_clause 0x2
	global_load_b128 v[17:20], v[29:30], off
	global_load_b128 v[21:24], v[29:30], off offset:16
	global_load_b128 v[25:28], v[29:30], off offset:32
	s_wait_loadcnt 0x2
	v_fma_f64 v[13:14], v[1:2], v[17:18], v[13:14]
	v_fma_f64 v[15:16], v[3:4], v[17:18], v[15:16]
	s_wait_loadcnt 0x1
	v_fma_f64 v[9:10], v[1:2], v[21:22], v[9:10]
	v_fma_f64 v[11:12], v[3:4], v[21:22], v[11:12]
	;; [unrolled: 3-line block ×3, first 2 shown]
	v_fma_f64 v[5:6], -v[3:4], v[19:20], v[13:14]
	v_fma_f64 v[7:8], v[1:2], v[19:20], v[15:16]
	v_fma_f64 v[9:10], -v[3:4], v[23:24], v[9:10]
	v_fma_f64 v[11:12], v[1:2], v[23:24], v[11:12]
	;; [unrolled: 2-line block ×3, first 2 shown]
	s_clause 0x2
	global_store_b128 v[29:30], v[5:8], off
	global_store_b128 v[29:30], v[9:12], off offset:16
	global_store_b128 v[29:30], v[13:16], off offset:32
	s_endpgm
	.section	.rodata,"a",@progbits
	.p2align	6, 0x0
	.amdhsa_kernel _ZN9rocsparseL18bsrxmvn_3x3_kernelILj256ELj4E21rocsparse_complex_numIdEllS1_IfES2_S2_EEvT3_20rocsparse_direction_NS_24const_host_device_scalarIT1_EES4_PKS4_PKT2_SD_SA_PKT4_PKT5_S8_PT6_21rocsparse_index_base_b
		.amdhsa_group_segment_fixed_size 0
		.amdhsa_private_segment_fixed_size 0
		.amdhsa_kernarg_size 120
		.amdhsa_user_sgpr_count 2
		.amdhsa_user_sgpr_dispatch_ptr 0
		.amdhsa_user_sgpr_queue_ptr 0
		.amdhsa_user_sgpr_kernarg_segment_ptr 1
		.amdhsa_user_sgpr_dispatch_id 0
		.amdhsa_user_sgpr_private_segment_size 0
		.amdhsa_wavefront_size32 1
		.amdhsa_uses_dynamic_stack 0
		.amdhsa_enable_private_segment 0
		.amdhsa_system_sgpr_workgroup_id_x 1
		.amdhsa_system_sgpr_workgroup_id_y 0
		.amdhsa_system_sgpr_workgroup_id_z 0
		.amdhsa_system_sgpr_workgroup_info 0
		.amdhsa_system_vgpr_workitem_id 0
		.amdhsa_next_free_vgpr 77
		.amdhsa_next_free_sgpr 12
		.amdhsa_reserve_vcc 1
		.amdhsa_float_round_mode_32 0
		.amdhsa_float_round_mode_16_64 0
		.amdhsa_float_denorm_mode_32 3
		.amdhsa_float_denorm_mode_16_64 3
		.amdhsa_fp16_overflow 0
		.amdhsa_workgroup_processor_mode 1
		.amdhsa_memory_ordered 1
		.amdhsa_forward_progress 1
		.amdhsa_inst_pref_size 25
		.amdhsa_round_robin_scheduling 0
		.amdhsa_exception_fp_ieee_invalid_op 0
		.amdhsa_exception_fp_denorm_src 0
		.amdhsa_exception_fp_ieee_div_zero 0
		.amdhsa_exception_fp_ieee_overflow 0
		.amdhsa_exception_fp_ieee_underflow 0
		.amdhsa_exception_fp_ieee_inexact 0
		.amdhsa_exception_int_div_zero 0
	.end_amdhsa_kernel
	.section	.text._ZN9rocsparseL18bsrxmvn_3x3_kernelILj256ELj4E21rocsparse_complex_numIdEllS1_IfES2_S2_EEvT3_20rocsparse_direction_NS_24const_host_device_scalarIT1_EES4_PKS4_PKT2_SD_SA_PKT4_PKT5_S8_PT6_21rocsparse_index_base_b,"axG",@progbits,_ZN9rocsparseL18bsrxmvn_3x3_kernelILj256ELj4E21rocsparse_complex_numIdEllS1_IfES2_S2_EEvT3_20rocsparse_direction_NS_24const_host_device_scalarIT1_EES4_PKS4_PKT2_SD_SA_PKT4_PKT5_S8_PT6_21rocsparse_index_base_b,comdat
.Lfunc_end175:
	.size	_ZN9rocsparseL18bsrxmvn_3x3_kernelILj256ELj4E21rocsparse_complex_numIdEllS1_IfES2_S2_EEvT3_20rocsparse_direction_NS_24const_host_device_scalarIT1_EES4_PKS4_PKT2_SD_SA_PKT4_PKT5_S8_PT6_21rocsparse_index_base_b, .Lfunc_end175-_ZN9rocsparseL18bsrxmvn_3x3_kernelILj256ELj4E21rocsparse_complex_numIdEllS1_IfES2_S2_EEvT3_20rocsparse_direction_NS_24const_host_device_scalarIT1_EES4_PKS4_PKT2_SD_SA_PKT4_PKT5_S8_PT6_21rocsparse_index_base_b
                                        ; -- End function
	.set _ZN9rocsparseL18bsrxmvn_3x3_kernelILj256ELj4E21rocsparse_complex_numIdEllS1_IfES2_S2_EEvT3_20rocsparse_direction_NS_24const_host_device_scalarIT1_EES4_PKS4_PKT2_SD_SA_PKT4_PKT5_S8_PT6_21rocsparse_index_base_b.num_vgpr, 77
	.set _ZN9rocsparseL18bsrxmvn_3x3_kernelILj256ELj4E21rocsparse_complex_numIdEllS1_IfES2_S2_EEvT3_20rocsparse_direction_NS_24const_host_device_scalarIT1_EES4_PKS4_PKT2_SD_SA_PKT4_PKT5_S8_PT6_21rocsparse_index_base_b.num_agpr, 0
	.set _ZN9rocsparseL18bsrxmvn_3x3_kernelILj256ELj4E21rocsparse_complex_numIdEllS1_IfES2_S2_EEvT3_20rocsparse_direction_NS_24const_host_device_scalarIT1_EES4_PKS4_PKT2_SD_SA_PKT4_PKT5_S8_PT6_21rocsparse_index_base_b.numbered_sgpr, 12
	.set _ZN9rocsparseL18bsrxmvn_3x3_kernelILj256ELj4E21rocsparse_complex_numIdEllS1_IfES2_S2_EEvT3_20rocsparse_direction_NS_24const_host_device_scalarIT1_EES4_PKS4_PKT2_SD_SA_PKT4_PKT5_S8_PT6_21rocsparse_index_base_b.num_named_barrier, 0
	.set _ZN9rocsparseL18bsrxmvn_3x3_kernelILj256ELj4E21rocsparse_complex_numIdEllS1_IfES2_S2_EEvT3_20rocsparse_direction_NS_24const_host_device_scalarIT1_EES4_PKS4_PKT2_SD_SA_PKT4_PKT5_S8_PT6_21rocsparse_index_base_b.private_seg_size, 0
	.set _ZN9rocsparseL18bsrxmvn_3x3_kernelILj256ELj4E21rocsparse_complex_numIdEllS1_IfES2_S2_EEvT3_20rocsparse_direction_NS_24const_host_device_scalarIT1_EES4_PKS4_PKT2_SD_SA_PKT4_PKT5_S8_PT6_21rocsparse_index_base_b.uses_vcc, 1
	.set _ZN9rocsparseL18bsrxmvn_3x3_kernelILj256ELj4E21rocsparse_complex_numIdEllS1_IfES2_S2_EEvT3_20rocsparse_direction_NS_24const_host_device_scalarIT1_EES4_PKS4_PKT2_SD_SA_PKT4_PKT5_S8_PT6_21rocsparse_index_base_b.uses_flat_scratch, 0
	.set _ZN9rocsparseL18bsrxmvn_3x3_kernelILj256ELj4E21rocsparse_complex_numIdEllS1_IfES2_S2_EEvT3_20rocsparse_direction_NS_24const_host_device_scalarIT1_EES4_PKS4_PKT2_SD_SA_PKT4_PKT5_S8_PT6_21rocsparse_index_base_b.has_dyn_sized_stack, 0
	.set _ZN9rocsparseL18bsrxmvn_3x3_kernelILj256ELj4E21rocsparse_complex_numIdEllS1_IfES2_S2_EEvT3_20rocsparse_direction_NS_24const_host_device_scalarIT1_EES4_PKS4_PKT2_SD_SA_PKT4_PKT5_S8_PT6_21rocsparse_index_base_b.has_recursion, 0
	.set _ZN9rocsparseL18bsrxmvn_3x3_kernelILj256ELj4E21rocsparse_complex_numIdEllS1_IfES2_S2_EEvT3_20rocsparse_direction_NS_24const_host_device_scalarIT1_EES4_PKS4_PKT2_SD_SA_PKT4_PKT5_S8_PT6_21rocsparse_index_base_b.has_indirect_call, 0
	.section	.AMDGPU.csdata,"",@progbits
; Kernel info:
; codeLenInByte = 3120
; TotalNumSgprs: 14
; NumVgprs: 77
; ScratchSize: 0
; MemoryBound: 0
; FloatMode: 240
; IeeeMode: 1
; LDSByteSize: 0 bytes/workgroup (compile time only)
; SGPRBlocks: 0
; VGPRBlocks: 9
; NumSGPRsForWavesPerEU: 14
; NumVGPRsForWavesPerEU: 77
; Occupancy: 16
; WaveLimiterHint : 1
; COMPUTE_PGM_RSRC2:SCRATCH_EN: 0
; COMPUTE_PGM_RSRC2:USER_SGPR: 2
; COMPUTE_PGM_RSRC2:TRAP_HANDLER: 0
; COMPUTE_PGM_RSRC2:TGID_X_EN: 1
; COMPUTE_PGM_RSRC2:TGID_Y_EN: 0
; COMPUTE_PGM_RSRC2:TGID_Z_EN: 0
; COMPUTE_PGM_RSRC2:TIDIG_COMP_CNT: 0
	.section	.text._ZN9rocsparseL18bsrxmvn_3x3_kernelILj256ELj8E21rocsparse_complex_numIdEllS1_IfES2_S2_EEvT3_20rocsparse_direction_NS_24const_host_device_scalarIT1_EES4_PKS4_PKT2_SD_SA_PKT4_PKT5_S8_PT6_21rocsparse_index_base_b,"axG",@progbits,_ZN9rocsparseL18bsrxmvn_3x3_kernelILj256ELj8E21rocsparse_complex_numIdEllS1_IfES2_S2_EEvT3_20rocsparse_direction_NS_24const_host_device_scalarIT1_EES4_PKS4_PKT2_SD_SA_PKT4_PKT5_S8_PT6_21rocsparse_index_base_b,comdat
	.globl	_ZN9rocsparseL18bsrxmvn_3x3_kernelILj256ELj8E21rocsparse_complex_numIdEllS1_IfES2_S2_EEvT3_20rocsparse_direction_NS_24const_host_device_scalarIT1_EES4_PKS4_PKT2_SD_SA_PKT4_PKT5_S8_PT6_21rocsparse_index_base_b ; -- Begin function _ZN9rocsparseL18bsrxmvn_3x3_kernelILj256ELj8E21rocsparse_complex_numIdEllS1_IfES2_S2_EEvT3_20rocsparse_direction_NS_24const_host_device_scalarIT1_EES4_PKS4_PKT2_SD_SA_PKT4_PKT5_S8_PT6_21rocsparse_index_base_b
	.p2align	8
	.type	_ZN9rocsparseL18bsrxmvn_3x3_kernelILj256ELj8E21rocsparse_complex_numIdEllS1_IfES2_S2_EEvT3_20rocsparse_direction_NS_24const_host_device_scalarIT1_EES4_PKS4_PKT2_SD_SA_PKT4_PKT5_S8_PT6_21rocsparse_index_base_b,@function
_ZN9rocsparseL18bsrxmvn_3x3_kernelILj256ELj8E21rocsparse_complex_numIdEllS1_IfES2_S2_EEvT3_20rocsparse_direction_NS_24const_host_device_scalarIT1_EES4_PKS4_PKT2_SD_SA_PKT4_PKT5_S8_PT6_21rocsparse_index_base_b: ; @_ZN9rocsparseL18bsrxmvn_3x3_kernelILj256ELj8E21rocsparse_complex_numIdEllS1_IfES2_S2_EEvT3_20rocsparse_direction_NS_24const_host_device_scalarIT1_EES4_PKS4_PKT2_SD_SA_PKT4_PKT5_S8_PT6_21rocsparse_index_base_b
; %bb.0:
	s_clause 0x1
	s_load_b64 s[4:5], s[0:1], 0x70
	s_load_b64 s[2:3], s[0:1], 0x10
	s_add_nc_u64 s[6:7], s[0:1], 16
	s_load_b64 s[8:9], s[0:1], 0x58
	s_wait_kmcnt 0x0
	s_bitcmp1_b32 s5, 0
	s_cselect_b32 s2, s6, s2
	s_cselect_b32 s3, s7, s3
	s_delay_alu instid0(SALU_CYCLE_1)
	v_dual_mov_b32 v1, s2 :: v_dual_mov_b32 v2, s3
	s_add_nc_u64 s[2:3], s[0:1], 0x58
	s_wait_alu 0xfffe
	s_cselect_b32 s2, s2, s8
	s_cselect_b32 s3, s3, s9
	flat_load_b128 v[5:8], v[1:2]
	s_wait_alu 0xfffe
	v_dual_mov_b32 v1, s2 :: v_dual_mov_b32 v2, s3
	flat_load_b128 v[1:4], v[1:2]
	s_wait_loadcnt_dscnt 0x101
	v_cmp_eq_f64_e32 vcc_lo, 0, v[5:6]
	v_cmp_eq_f64_e64 s2, 0, v[7:8]
	s_and_b32 s5, vcc_lo, s2
	s_mov_b32 s2, -1
	s_and_saveexec_b32 s3, s5
	s_cbranch_execz .LBB176_2
; %bb.1:
	s_wait_loadcnt_dscnt 0x0
	v_cmp_neq_f64_e32 vcc_lo, 1.0, v[1:2]
	v_cmp_neq_f64_e64 s2, 0, v[3:4]
	s_wait_alu 0xfffe
	s_or_b32 s2, vcc_lo, s2
	s_wait_alu 0xfffe
	s_or_not1_b32 s2, s2, exec_lo
.LBB176_2:
	s_wait_alu 0xfffe
	s_or_b32 exec_lo, exec_lo, s3
	s_and_saveexec_b32 s3, s2
	s_cbranch_execz .LBB176_8
; %bb.3:
	s_load_b64 s[2:3], s[0:1], 0x28
	v_lshrrev_b32_e32 v9, 3, v0
	v_mov_b32_e32 v12, 0
	s_delay_alu instid0(VALU_DEP_2)
	v_lshl_or_b32 v11, ttmp9, 5, v9
	s_wait_kmcnt 0x0
	s_cmp_lg_u64 s[2:3], 0
	s_cbranch_scc0 .LBB176_9
; %bb.4:
	s_load_b64 s[6:7], s[0:1], 0x20
                                        ; implicit-def: $vgpr17_vgpr18
                                        ; implicit-def: $vgpr9_vgpr10
	s_wait_kmcnt 0x0
	v_cmp_gt_i64_e32 vcc_lo, s[6:7], v[11:12]
	s_mov_b32 s7, 0
	s_mov_b32 s6, 0
	s_and_saveexec_b32 s5, vcc_lo
	s_delay_alu instid0(SALU_CYCLE_1)
	s_xor_b32 s8, exec_lo, s5
	s_cbranch_execz .LBB176_6
; %bb.5:
	v_lshlrev_b64_e32 v[9:10], 3, v[11:12]
	s_mov_b32 s5, 0
	s_mov_b32 s6, exec_lo
	s_delay_alu instid0(VALU_DEP_1) | instskip(NEXT) | instid1(VALU_DEP_1)
	v_add_co_u32 v9, vcc_lo, s2, v9
	v_add_co_ci_u32_e64 v10, null, s3, v10, vcc_lo
	global_load_b64 v[9:10], v[9:10], off
	s_wait_loadcnt 0x0
	v_sub_co_u32 v17, vcc_lo, v9, s4
	s_wait_alu 0xfffd
	v_subrev_co_ci_u32_e64 v18, null, 0, v10, vcc_lo
	v_dual_mov_b32 v10, s5 :: v_dual_mov_b32 v9, s4
.LBB176_6:
	s_or_b32 exec_lo, exec_lo, s8
	s_wait_alu 0xfffe
	s_and_b32 vcc_lo, exec_lo, s7
	s_wait_alu 0xfffe
	s_cbranch_vccnz .LBB176_10
.LBB176_7:
	s_and_b32 exec_lo, exec_lo, s6
	s_cbranch_execnz .LBB176_13
.LBB176_8:
	s_endpgm
.LBB176_9:
	s_mov_b32 s6, 0
                                        ; implicit-def: $vgpr17_vgpr18
                                        ; implicit-def: $vgpr9_vgpr10
	s_cbranch_execz .LBB176_7
.LBB176_10:
	s_load_b64 s[2:3], s[0:1], 0x0
	s_wait_kmcnt 0x0
	v_cmp_gt_i64_e32 vcc_lo, s[2:3], v[11:12]
	s_and_saveexec_b32 s2, vcc_lo
; %bb.11:
	s_mov_b32 s5, 0
	s_or_b32 s6, s6, exec_lo
; %bb.12:
	s_wait_alu 0xfffe
	s_or_b32 exec_lo, exec_lo, s2
	v_dual_mov_b32 v10, s5 :: v_dual_mov_b32 v9, s4
	v_dual_mov_b32 v18, v12 :: v_dual_mov_b32 v17, v11
	s_and_b32 exec_lo, exec_lo, s6
	s_cbranch_execz .LBB176_8
.LBB176_13:
	s_load_b256 s[4:11], s[0:1], 0x30
	s_delay_alu instid0(VALU_DEP_1) | instskip(SKIP_2) | instid1(VALU_DEP_2)
	v_lshlrev_b64_e32 v[11:12], 3, v[17:18]
	v_and_b32_e32 v0, 7, v0
	s_wait_kmcnt 0x0
	v_add_co_u32 v13, vcc_lo, s4, v11
	s_wait_alu 0xfffd
	s_delay_alu instid0(VALU_DEP_3)
	v_add_co_ci_u32_e64 v14, null, s5, v12, vcc_lo
	v_add_co_u32 v11, vcc_lo, s6, v11
	s_wait_alu 0xfffd
	v_add_co_ci_u32_e64 v12, null, s7, v12, vcc_lo
	global_load_b64 v[15:16], v[13:14], off
	v_add_co_u32 v13, vcc_lo, v13, 8
	s_wait_alu 0xfffd
	v_add_co_ci_u32_e64 v14, null, 0, v14, vcc_lo
	s_cmp_eq_u64 s[6:7], 0
	s_cselect_b32 vcc_lo, -1, 0
	s_wait_alu 0xfffe
	v_dual_cndmask_b32 v12, v12, v14 :: v_dual_cndmask_b32 v11, v11, v13
	global_load_b64 v[19:20], v[11:12], off
	s_clause 0x1
	s_load_b32 s3, s[0:1], 0x8
	s_load_b64 s[4:5], s[0:1], 0x50
	s_wait_kmcnt 0x0
	s_cmp_eq_u32 s3, 1
	s_wait_loadcnt 0x1
	v_sub_co_u32 v11, vcc_lo, v15, v9
	s_wait_alu 0xfffd
	v_sub_co_ci_u32_e64 v12, null, v16, v10, vcc_lo
	s_delay_alu instid0(VALU_DEP_2) | instskip(SKIP_1) | instid1(VALU_DEP_2)
	v_add_co_u32 v11, vcc_lo, v11, v0
	s_wait_alu 0xfffd
	v_add_co_ci_u32_e64 v12, null, 0, v12, vcc_lo
	s_delay_alu instid0(VALU_DEP_2) | instskip(NEXT) | instid1(VALU_DEP_1)
	v_mad_co_u64_u32 v[13:14], null, 0x48, v11, s[10:11]
	v_mad_co_u64_u32 v[14:15], null, 0x48, v12, v[14:15]
	s_wait_loadcnt 0x0
	v_sub_co_u32 v15, vcc_lo, v19, v9
	s_wait_alu 0xfffd
	v_sub_co_ci_u32_e64 v16, null, v20, v10, vcc_lo
	s_delay_alu instid0(VALU_DEP_1)
	v_cmp_lt_i64_e64 s2, v[11:12], v[15:16]
	s_cbranch_scc1 .LBB176_19
; %bb.14:
	v_mov_b32_e32 v19, 0
	v_mov_b32_e32 v23, 0
	v_dual_mov_b32 v27, 0 :: v_dual_mov_b32 v20, 0
	v_dual_mov_b32 v21, 0 :: v_dual_mov_b32 v24, 0
	;; [unrolled: 1-line block ×4, first 2 shown]
	v_mov_b32_e32 v26, 0
	v_mov_b32_e32 v30, 0
	s_and_saveexec_b32 s6, s2
	s_cbranch_execz .LBB176_18
; %bb.15:
	v_lshlrev_b64_e32 v[21:22], 3, v[11:12]
	v_mov_b32_e32 v25, 0
	v_dual_mov_b32 v19, 0 :: v_dual_mov_b32 v32, v12
	v_dual_mov_b32 v26, 0 :: v_dual_mov_b32 v27, 0
	s_delay_alu instid0(VALU_DEP_4)
	v_add_co_u32 v33, vcc_lo, s8, v21
	s_wait_alu 0xfffd
	v_add_co_ci_u32_e64 v34, null, s9, v22, vcc_lo
	v_mov_b32_e32 v21, 0
	v_dual_mov_b32 v22, 0 :: v_dual_mov_b32 v23, 0
	v_dual_mov_b32 v29, 0 :: v_dual_mov_b32 v36, v14
	;; [unrolled: 1-line block ×3, first 2 shown]
	v_mov_b32_e32 v24, 0
	v_mov_b32_e32 v28, 0
	v_dual_mov_b32 v30, 0 :: v_dual_mov_b32 v35, v13
	s_mov_b32 s7, 0
.LBB176_16:                             ; =>This Inner Loop Header: Depth=1
	global_load_b64 v[49:50], v[33:34], off
	s_clause 0x2
	global_load_b128 v[37:40], v[35:36], off
	global_load_b128 v[41:44], v[35:36], off offset:16
	global_load_b128 v[45:48], v[35:36], off offset:48
	v_add_co_u32 v33, s3, v33, 64
	s_wait_alu 0xf1ff
	v_add_co_ci_u32_e64 v34, null, 0, v34, s3
	s_wait_loadcnt 0x3
	v_sub_co_u32 v49, vcc_lo, v49, v9
	s_wait_alu 0xfffd
	v_sub_co_ci_u32_e64 v50, null, v50, v10, vcc_lo
	s_wait_loadcnt 0x2
	v_cvt_f64_f32_e32 v[67:68], v37
	v_mad_co_u64_u32 v[61:62], null, v49, 48, s[4:5]
	v_cvt_f64_f32_e32 v[37:38], v38
	s_wait_loadcnt 0x1
	v_cvt_f64_f32_e32 v[69:70], v43
	v_cvt_f64_f32_e32 v[43:44], v44
	s_wait_loadcnt 0x0
	v_cvt_f64_f32_e32 v[71:72], v45
	v_cvt_f64_f32_e32 v[45:46], v46
	;; [unrolled: 1-line block ×3, first 2 shown]
	v_mov_b32_e32 v49, v62
	v_cvt_f64_f32_e32 v[47:48], v48
	v_add_co_u32 v31, vcc_lo, v31, 8
	s_wait_alu 0xfffd
	v_add_co_ci_u32_e64 v32, null, 0, v32, vcc_lo
	v_mad_co_u64_u32 v[49:50], null, v50, 48, v[49:50]
	s_delay_alu instid0(VALU_DEP_1)
	v_mov_b32_e32 v62, v49
	s_clause 0x1
	global_load_b128 v[49:52], v[61:62], off
	global_load_b128 v[53:56], v[61:62], off offset:16
	s_clause 0x1
	global_load_b128 v[57:60], v[35:36], off offset:32
	global_load_b64 v[65:66], v[35:36], off offset:64
	global_load_b128 v[61:64], v[61:62], off offset:32
	v_add_co_u32 v35, vcc_lo, 0x240, v35
	s_wait_alu 0xfffd
	v_add_co_ci_u32_e64 v36, null, 0, v36, vcc_lo
	v_cmp_ge_i64_e32 vcc_lo, v[31:32], v[15:16]
	s_wait_alu 0xfffe
	s_or_b32 s7, vcc_lo, s7
	s_wait_loadcnt 0x4
	v_fma_f64 v[21:22], v[67:68], v[49:50], v[21:22]
	v_fma_f64 v[19:20], v[37:38], v[49:50], v[19:20]
	;; [unrolled: 1-line block ×6, first 2 shown]
	v_cvt_f64_f32_e32 v[49:50], v39
	v_cvt_f64_f32_e32 v[39:40], v40
	s_wait_loadcnt 0x2
	v_cvt_f64_f32_e32 v[73:74], v57
	v_cvt_f64_f32_e32 v[57:58], v58
	v_fma_f64 v[21:22], -v[37:38], v[51:52], v[21:22]
	v_fma_f64 v[19:20], v[67:68], v[51:52], v[19:20]
	v_fma_f64 v[25:26], -v[43:44], v[51:52], v[25:26]
	v_fma_f64 v[23:24], v[69:70], v[51:52], v[23:24]
	;; [unrolled: 2-line block ×3, first 2 shown]
	v_cvt_f64_f32_e32 v[37:38], v41
	v_cvt_f64_f32_e32 v[41:42], v42
	v_cvt_f64_f32_e32 v[43:44], v59
	v_cvt_f64_f32_e32 v[45:46], v60
	s_wait_loadcnt 0x1
	v_cvt_f64_f32_e32 v[51:52], v65
	v_fma_f64 v[21:22], v[49:50], v[53:54], v[21:22]
	v_fma_f64 v[19:20], v[39:40], v[53:54], v[19:20]
	;; [unrolled: 1-line block ×6, first 2 shown]
	v_cvt_f64_f32_e32 v[53:54], v66
	v_fma_f64 v[21:22], -v[39:40], v[55:56], v[21:22]
	v_fma_f64 v[19:20], v[49:50], v[55:56], v[19:20]
	v_fma_f64 v[25:26], -v[57:58], v[55:56], v[25:26]
	v_fma_f64 v[23:24], v[73:74], v[55:56], v[23:24]
	;; [unrolled: 2-line block ×3, first 2 shown]
	s_wait_loadcnt 0x0
	v_fma_f64 v[21:22], v[37:38], v[61:62], v[21:22]
	v_fma_f64 v[19:20], v[41:42], v[61:62], v[19:20]
	;; [unrolled: 1-line block ×6, first 2 shown]
	v_fma_f64 v[21:22], -v[41:42], v[63:64], v[21:22]
	v_fma_f64 v[19:20], v[37:38], v[63:64], v[19:20]
	v_fma_f64 v[25:26], -v[45:46], v[63:64], v[25:26]
	v_fma_f64 v[23:24], v[43:44], v[63:64], v[23:24]
	;; [unrolled: 2-line block ×3, first 2 shown]
	s_wait_alu 0xfffe
	s_and_not1_b32 exec_lo, exec_lo, s7
	s_cbranch_execnz .LBB176_16
; %bb.17:
	s_or_b32 exec_lo, exec_lo, s7
.LBB176_18:
	s_wait_alu 0xfffe
	s_or_b32 exec_lo, exec_lo, s6
	s_cbranch_execz .LBB176_20
	s_branch .LBB176_25
.LBB176_19:
                                        ; implicit-def: $vgpr19_vgpr20
                                        ; implicit-def: $vgpr21_vgpr22
                                        ; implicit-def: $vgpr23_vgpr24
                                        ; implicit-def: $vgpr25_vgpr26
                                        ; implicit-def: $vgpr27_vgpr28
                                        ; implicit-def: $vgpr29_vgpr30
.LBB176_20:
	v_mov_b32_e32 v19, 0
	v_mov_b32_e32 v23, 0
	v_dual_mov_b32 v27, 0 :: v_dual_mov_b32 v20, 0
	v_dual_mov_b32 v21, 0 :: v_dual_mov_b32 v24, 0
	;; [unrolled: 1-line block ×4, first 2 shown]
	v_mov_b32_e32 v26, 0
	v_mov_b32_e32 v30, 0
	s_and_saveexec_b32 s3, s2
	s_cbranch_execz .LBB176_24
; %bb.21:
	v_lshlrev_b64_e32 v[31:32], 3, v[11:12]
	v_mov_b32_e32 v19, 0
	v_mov_b32_e32 v23, 0
	v_dual_mov_b32 v27, 0 :: v_dual_mov_b32 v20, 0
	v_mov_b32_e32 v21, 0
	v_add_co_u32 v31, vcc_lo, s8, v31
	v_dual_mov_b32 v24, 0 :: v_dual_mov_b32 v25, 0
	v_dual_mov_b32 v28, 0 :: v_dual_mov_b32 v29, 0
	v_mov_b32_e32 v22, 0
	v_mov_b32_e32 v26, 0
	;; [unrolled: 1-line block ×3, first 2 shown]
	s_wait_alu 0xfffd
	v_add_co_ci_u32_e64 v32, null, s9, v32, vcc_lo
	s_mov_b32 s6, 0
.LBB176_22:                             ; =>This Inner Loop Header: Depth=1
	global_load_b64 v[41:42], v[31:32], off
	s_clause 0x1
	global_load_b128 v[33:36], v[13:14], off
	global_load_b128 v[37:40], v[13:14], off offset:16
	v_add_co_u32 v31, s2, v31, 64
	s_wait_alu 0xf1ff
	v_add_co_ci_u32_e64 v32, null, 0, v32, s2
	s_wait_loadcnt 0x2
	v_sub_co_u32 v41, vcc_lo, v41, v9
	s_wait_alu 0xfffd
	v_sub_co_ci_u32_e64 v42, null, v42, v10, vcc_lo
	s_wait_loadcnt 0x1
	v_cvt_f64_f32_e32 v[63:64], v33
	v_mad_co_u64_u32 v[57:58], null, v41, 48, s[4:5]
	v_cvt_f64_f32_e32 v[33:34], v34
	v_cvt_f64_f32_e32 v[65:66], v35
	;; [unrolled: 1-line block ×3, first 2 shown]
	s_wait_loadcnt 0x0
	v_cvt_f64_f32_e32 v[67:68], v37
	v_cvt_f64_f32_e32 v[37:38], v38
	v_add_co_u32 v11, vcc_lo, v11, 8
	v_mov_b32_e32 v41, v58
	s_wait_alu 0xfffd
	v_add_co_ci_u32_e64 v12, null, 0, v12, vcc_lo
	s_delay_alu instid0(VALU_DEP_2) | instskip(NEXT) | instid1(VALU_DEP_1)
	v_mad_co_u64_u32 v[41:42], null, v42, 48, v[41:42]
	v_mov_b32_e32 v58, v41
	s_clause 0x1
	global_load_b128 v[41:44], v[57:58], off
	global_load_b128 v[45:48], v[57:58], off offset:16
	s_clause 0x2
	global_load_b128 v[49:52], v[13:14], off offset:32
	global_load_b128 v[53:56], v[13:14], off offset:48
	global_load_b64 v[61:62], v[13:14], off offset:64
	global_load_b128 v[57:60], v[57:58], off offset:32
	v_add_co_u32 v13, vcc_lo, 0x240, v13
	s_wait_alu 0xfffd
	v_add_co_ci_u32_e64 v14, null, 0, v14, vcc_lo
	v_cmp_ge_i64_e32 vcc_lo, v[11:12], v[15:16]
	s_wait_alu 0xfffe
	s_or_b32 s6, vcc_lo, s6
	s_wait_loadcnt 0x5
	v_fma_f64 v[21:22], v[63:64], v[41:42], v[21:22]
	v_fma_f64 v[19:20], v[33:34], v[41:42], v[19:20]
	;; [unrolled: 1-line block ×6, first 2 shown]
	v_cvt_f64_f32_e32 v[41:42], v39
	v_cvt_f64_f32_e32 v[39:40], v40
	s_wait_loadcnt 0x3
	v_cvt_f64_f32_e32 v[69:70], v49
	v_cvt_f64_f32_e32 v[49:50], v50
	;; [unrolled: 1-line block ×4, first 2 shown]
	v_fma_f64 v[21:22], -v[33:34], v[43:44], v[21:22]
	v_fma_f64 v[19:20], v[63:64], v[43:44], v[19:20]
	v_fma_f64 v[25:26], -v[35:36], v[43:44], v[25:26]
	v_fma_f64 v[23:24], v[65:66], v[43:44], v[23:24]
	;; [unrolled: 2-line block ×3, first 2 shown]
	s_wait_loadcnt 0x2
	v_cvt_f64_f32_e32 v[33:34], v53
	v_cvt_f64_f32_e32 v[35:36], v54
	v_cvt_f64_f32_e32 v[37:38], v55
	v_cvt_f64_f32_e32 v[43:44], v56
	s_wait_loadcnt 0x1
	v_cvt_f64_f32_e32 v[53:54], v62
	v_fma_f64 v[21:22], v[41:42], v[45:46], v[21:22]
	v_fma_f64 v[19:20], v[39:40], v[45:46], v[19:20]
	;; [unrolled: 1-line block ×6, first 2 shown]
	v_cvt_f64_f32_e32 v[45:46], v61
	v_fma_f64 v[21:22], -v[39:40], v[47:48], v[21:22]
	v_fma_f64 v[19:20], v[41:42], v[47:48], v[19:20]
	v_fma_f64 v[25:26], -v[49:50], v[47:48], v[25:26]
	v_fma_f64 v[23:24], v[69:70], v[47:48], v[23:24]
	v_fma_f64 v[29:30], -v[51:52], v[47:48], v[29:30]
	v_fma_f64 v[27:28], v[71:72], v[47:48], v[27:28]
	s_wait_loadcnt 0x0
	v_fma_f64 v[21:22], v[33:34], v[57:58], v[21:22]
	v_fma_f64 v[19:20], v[35:36], v[57:58], v[19:20]
	;; [unrolled: 1-line block ×6, first 2 shown]
	v_fma_f64 v[21:22], -v[35:36], v[59:60], v[21:22]
	v_fma_f64 v[19:20], v[33:34], v[59:60], v[19:20]
	v_fma_f64 v[25:26], -v[43:44], v[59:60], v[25:26]
	v_fma_f64 v[23:24], v[37:38], v[59:60], v[23:24]
	;; [unrolled: 2-line block ×3, first 2 shown]
	s_wait_alu 0xfffe
	s_and_not1_b32 exec_lo, exec_lo, s6
	s_cbranch_execnz .LBB176_22
; %bb.23:
	s_or_b32 exec_lo, exec_lo, s6
.LBB176_24:
	s_wait_alu 0xfffe
	s_or_b32 exec_lo, exec_lo, s3
.LBB176_25:
	v_mbcnt_lo_u32_b32 v35, -1, 0
	s_delay_alu instid0(VALU_DEP_1) | instskip(NEXT) | instid1(VALU_DEP_1)
	v_xor_b32_e32 v9, 4, v35
	v_cmp_gt_i32_e32 vcc_lo, 32, v9
	s_wait_alu 0xfffd
	v_cndmask_b32_e32 v9, v35, v9, vcc_lo
	s_delay_alu instid0(VALU_DEP_1)
	v_lshlrev_b32_e32 v34, 2, v9
	ds_bpermute_b32 v11, v34, v19
	ds_bpermute_b32 v12, v34, v20
	s_wait_dscnt 0x0
	v_add_f64_e32 v[11:12], v[19:20], v[11:12]
	v_xor_b32_e32 v19, 2, v35
	s_delay_alu instid0(VALU_DEP_1)
	v_cmp_gt_i32_e32 vcc_lo, 32, v19
	s_wait_alu 0xfffd
	v_cndmask_b32_e32 v19, v35, v19, vcc_lo
	ds_bpermute_b32 v9, v34, v21
	ds_bpermute_b32 v10, v34, v22
	;; [unrolled: 1-line block ×10, first 2 shown]
	s_wait_dscnt 0x8
	v_add_f64_e32 v[9:10], v[21:22], v[9:10]
	s_wait_dscnt 0x6
	v_add_f64_e32 v[13:14], v[25:26], v[13:14]
	;; [unrolled: 2-line block ×5, first 2 shown]
	v_lshlrev_b32_e32 v34, 2, v19
	ds_bpermute_b32 v23, v34, v11
	ds_bpermute_b32 v24, v34, v12
	s_wait_dscnt 0x0
	v_add_f64_e32 v[23:24], v[11:12], v[23:24]
	ds_bpermute_b32 v19, v34, v9
	ds_bpermute_b32 v20, v34, v10
	;; [unrolled: 1-line block ×10, first 2 shown]
	s_wait_dscnt 0x8
	v_add_f64_e32 v[9:10], v[9:10], v[19:20]
	s_wait_dscnt 0x6
	v_add_f64_e32 v[11:12], v[13:14], v[27:28]
	;; [unrolled: 2-line block ×4, first 2 shown]
	v_xor_b32_e32 v21, 1, v35
	s_wait_dscnt 0x0
	v_add_f64_e32 v[15:16], v[25:26], v[33:34]
	s_delay_alu instid0(VALU_DEP_2) | instskip(SKIP_3) | instid1(VALU_DEP_2)
	v_cmp_gt_i32_e32 vcc_lo, 32, v21
	s_wait_alu 0xfffd
	v_cndmask_b32_e32 v21, v35, v21, vcc_lo
	v_cmp_eq_u32_e32 vcc_lo, 7, v0
	v_lshlrev_b32_e32 v30, 2, v21
	ds_bpermute_b32 v33, v30, v23
	ds_bpermute_b32 v34, v30, v24
	;; [unrolled: 1-line block ×12, first 2 shown]
	s_and_b32 exec_lo, exec_lo, vcc_lo
	s_cbranch_execz .LBB176_8
; %bb.26:
	s_wait_dscnt 0xa
	v_add_f64_e32 v[23:24], v[23:24], v[33:34]
	s_wait_dscnt 0x4
	v_add_f64_e32 v[19:20], v[19:20], v[31:32]
	;; [unrolled: 2-line block ×3, first 2 shown]
	v_add_f64_e32 v[9:10], v[9:10], v[21:22]
	v_add_f64_e32 v[11:12], v[11:12], v[25:26]
	;; [unrolled: 1-line block ×3, first 2 shown]
	v_cmp_eq_f64_e32 vcc_lo, 0, v[1:2]
	v_cmp_eq_f64_e64 s2, 0, v[3:4]
	s_load_b64 s[0:1], s[0:1], 0x68
	v_mul_f64_e64 v[13:14], v[23:24], -v[7:8]
	v_mul_f64_e32 v[23:24], v[5:6], v[23:24]
	v_mul_f64_e64 v[25:26], v[19:20], -v[7:8]
	v_mul_f64_e32 v[19:20], v[5:6], v[19:20]
	;; [unrolled: 2-line block ×3, first 2 shown]
	s_and_b32 s2, vcc_lo, s2
	v_fma_f64 v[13:14], v[5:6], v[9:10], v[13:14]
	v_fma_f64 v[15:16], v[7:8], v[9:10], v[23:24]
	;; [unrolled: 1-line block ×6, first 2 shown]
	s_wait_alu 0xfffe
	s_and_saveexec_b32 s3, s2
	s_wait_alu 0xfffe
	s_xor_b32 s2, exec_lo, s3
	s_cbranch_execz .LBB176_28
; %bb.27:
	s_wait_kmcnt 0x0
	v_mad_co_u64_u32 v[0:1], null, v17, 48, s[0:1]
	s_delay_alu instid0(VALU_DEP_1)
	v_mad_co_u64_u32 v[1:2], null, v18, 48, v[1:2]
                                        ; implicit-def: $vgpr17_vgpr18
	s_clause 0x2
	global_store_b128 v[0:1], v[13:16], off
	global_store_b128 v[0:1], v[9:12], off offset:16
	global_store_b128 v[0:1], v[5:8], off offset:32
                                        ; implicit-def: $vgpr3_vgpr4
                                        ; implicit-def: $vgpr13_vgpr14
                                        ; implicit-def: $vgpr9_vgpr10
                                        ; implicit-def: $vgpr5_vgpr6
.LBB176_28:
	s_wait_alu 0xfffe
	s_and_not1_saveexec_b32 s2, s2
	s_cbranch_execz .LBB176_8
; %bb.29:
	s_wait_kmcnt 0x0
	v_mad_co_u64_u32 v[29:30], null, v17, 48, s[0:1]
	s_delay_alu instid0(VALU_DEP_1) | instskip(NEXT) | instid1(VALU_DEP_1)
	v_mov_b32_e32 v0, v30
	v_mad_co_u64_u32 v[17:18], null, v18, 48, v[0:1]
	s_delay_alu instid0(VALU_DEP_1)
	v_mov_b32_e32 v30, v17
	s_clause 0x2
	global_load_b128 v[17:20], v[29:30], off
	global_load_b128 v[21:24], v[29:30], off offset:16
	global_load_b128 v[25:28], v[29:30], off offset:32
	s_wait_loadcnt 0x2
	v_fma_f64 v[13:14], v[1:2], v[17:18], v[13:14]
	v_fma_f64 v[15:16], v[3:4], v[17:18], v[15:16]
	s_wait_loadcnt 0x1
	v_fma_f64 v[9:10], v[1:2], v[21:22], v[9:10]
	v_fma_f64 v[11:12], v[3:4], v[21:22], v[11:12]
	;; [unrolled: 3-line block ×3, first 2 shown]
	v_fma_f64 v[5:6], -v[3:4], v[19:20], v[13:14]
	v_fma_f64 v[7:8], v[1:2], v[19:20], v[15:16]
	v_fma_f64 v[9:10], -v[3:4], v[23:24], v[9:10]
	v_fma_f64 v[11:12], v[1:2], v[23:24], v[11:12]
	;; [unrolled: 2-line block ×3, first 2 shown]
	s_clause 0x2
	global_store_b128 v[29:30], v[5:8], off
	global_store_b128 v[29:30], v[9:12], off offset:16
	global_store_b128 v[29:30], v[13:16], off offset:32
	s_endpgm
	.section	.rodata,"a",@progbits
	.p2align	6, 0x0
	.amdhsa_kernel _ZN9rocsparseL18bsrxmvn_3x3_kernelILj256ELj8E21rocsparse_complex_numIdEllS1_IfES2_S2_EEvT3_20rocsparse_direction_NS_24const_host_device_scalarIT1_EES4_PKS4_PKT2_SD_SA_PKT4_PKT5_S8_PT6_21rocsparse_index_base_b
		.amdhsa_group_segment_fixed_size 0
		.amdhsa_private_segment_fixed_size 0
		.amdhsa_kernarg_size 120
		.amdhsa_user_sgpr_count 2
		.amdhsa_user_sgpr_dispatch_ptr 0
		.amdhsa_user_sgpr_queue_ptr 0
		.amdhsa_user_sgpr_kernarg_segment_ptr 1
		.amdhsa_user_sgpr_dispatch_id 0
		.amdhsa_user_sgpr_private_segment_size 0
		.amdhsa_wavefront_size32 1
		.amdhsa_uses_dynamic_stack 0
		.amdhsa_enable_private_segment 0
		.amdhsa_system_sgpr_workgroup_id_x 1
		.amdhsa_system_sgpr_workgroup_id_y 0
		.amdhsa_system_sgpr_workgroup_id_z 0
		.amdhsa_system_sgpr_workgroup_info 0
		.amdhsa_system_vgpr_workitem_id 0
		.amdhsa_next_free_vgpr 77
		.amdhsa_next_free_sgpr 12
		.amdhsa_reserve_vcc 1
		.amdhsa_float_round_mode_32 0
		.amdhsa_float_round_mode_16_64 0
		.amdhsa_float_denorm_mode_32 3
		.amdhsa_float_denorm_mode_16_64 3
		.amdhsa_fp16_overflow 0
		.amdhsa_workgroup_processor_mode 1
		.amdhsa_memory_ordered 1
		.amdhsa_forward_progress 1
		.amdhsa_inst_pref_size 26
		.amdhsa_round_robin_scheduling 0
		.amdhsa_exception_fp_ieee_invalid_op 0
		.amdhsa_exception_fp_denorm_src 0
		.amdhsa_exception_fp_ieee_div_zero 0
		.amdhsa_exception_fp_ieee_overflow 0
		.amdhsa_exception_fp_ieee_underflow 0
		.amdhsa_exception_fp_ieee_inexact 0
		.amdhsa_exception_int_div_zero 0
	.end_amdhsa_kernel
	.section	.text._ZN9rocsparseL18bsrxmvn_3x3_kernelILj256ELj8E21rocsparse_complex_numIdEllS1_IfES2_S2_EEvT3_20rocsparse_direction_NS_24const_host_device_scalarIT1_EES4_PKS4_PKT2_SD_SA_PKT4_PKT5_S8_PT6_21rocsparse_index_base_b,"axG",@progbits,_ZN9rocsparseL18bsrxmvn_3x3_kernelILj256ELj8E21rocsparse_complex_numIdEllS1_IfES2_S2_EEvT3_20rocsparse_direction_NS_24const_host_device_scalarIT1_EES4_PKS4_PKT2_SD_SA_PKT4_PKT5_S8_PT6_21rocsparse_index_base_b,comdat
.Lfunc_end176:
	.size	_ZN9rocsparseL18bsrxmvn_3x3_kernelILj256ELj8E21rocsparse_complex_numIdEllS1_IfES2_S2_EEvT3_20rocsparse_direction_NS_24const_host_device_scalarIT1_EES4_PKS4_PKT2_SD_SA_PKT4_PKT5_S8_PT6_21rocsparse_index_base_b, .Lfunc_end176-_ZN9rocsparseL18bsrxmvn_3x3_kernelILj256ELj8E21rocsparse_complex_numIdEllS1_IfES2_S2_EEvT3_20rocsparse_direction_NS_24const_host_device_scalarIT1_EES4_PKS4_PKT2_SD_SA_PKT4_PKT5_S8_PT6_21rocsparse_index_base_b
                                        ; -- End function
	.set _ZN9rocsparseL18bsrxmvn_3x3_kernelILj256ELj8E21rocsparse_complex_numIdEllS1_IfES2_S2_EEvT3_20rocsparse_direction_NS_24const_host_device_scalarIT1_EES4_PKS4_PKT2_SD_SA_PKT4_PKT5_S8_PT6_21rocsparse_index_base_b.num_vgpr, 77
	.set _ZN9rocsparseL18bsrxmvn_3x3_kernelILj256ELj8E21rocsparse_complex_numIdEllS1_IfES2_S2_EEvT3_20rocsparse_direction_NS_24const_host_device_scalarIT1_EES4_PKS4_PKT2_SD_SA_PKT4_PKT5_S8_PT6_21rocsparse_index_base_b.num_agpr, 0
	.set _ZN9rocsparseL18bsrxmvn_3x3_kernelILj256ELj8E21rocsparse_complex_numIdEllS1_IfES2_S2_EEvT3_20rocsparse_direction_NS_24const_host_device_scalarIT1_EES4_PKS4_PKT2_SD_SA_PKT4_PKT5_S8_PT6_21rocsparse_index_base_b.numbered_sgpr, 12
	.set _ZN9rocsparseL18bsrxmvn_3x3_kernelILj256ELj8E21rocsparse_complex_numIdEllS1_IfES2_S2_EEvT3_20rocsparse_direction_NS_24const_host_device_scalarIT1_EES4_PKS4_PKT2_SD_SA_PKT4_PKT5_S8_PT6_21rocsparse_index_base_b.num_named_barrier, 0
	.set _ZN9rocsparseL18bsrxmvn_3x3_kernelILj256ELj8E21rocsparse_complex_numIdEllS1_IfES2_S2_EEvT3_20rocsparse_direction_NS_24const_host_device_scalarIT1_EES4_PKS4_PKT2_SD_SA_PKT4_PKT5_S8_PT6_21rocsparse_index_base_b.private_seg_size, 0
	.set _ZN9rocsparseL18bsrxmvn_3x3_kernelILj256ELj8E21rocsparse_complex_numIdEllS1_IfES2_S2_EEvT3_20rocsparse_direction_NS_24const_host_device_scalarIT1_EES4_PKS4_PKT2_SD_SA_PKT4_PKT5_S8_PT6_21rocsparse_index_base_b.uses_vcc, 1
	.set _ZN9rocsparseL18bsrxmvn_3x3_kernelILj256ELj8E21rocsparse_complex_numIdEllS1_IfES2_S2_EEvT3_20rocsparse_direction_NS_24const_host_device_scalarIT1_EES4_PKS4_PKT2_SD_SA_PKT4_PKT5_S8_PT6_21rocsparse_index_base_b.uses_flat_scratch, 0
	.set _ZN9rocsparseL18bsrxmvn_3x3_kernelILj256ELj8E21rocsparse_complex_numIdEllS1_IfES2_S2_EEvT3_20rocsparse_direction_NS_24const_host_device_scalarIT1_EES4_PKS4_PKT2_SD_SA_PKT4_PKT5_S8_PT6_21rocsparse_index_base_b.has_dyn_sized_stack, 0
	.set _ZN9rocsparseL18bsrxmvn_3x3_kernelILj256ELj8E21rocsparse_complex_numIdEllS1_IfES2_S2_EEvT3_20rocsparse_direction_NS_24const_host_device_scalarIT1_EES4_PKS4_PKT2_SD_SA_PKT4_PKT5_S8_PT6_21rocsparse_index_base_b.has_recursion, 0
	.set _ZN9rocsparseL18bsrxmvn_3x3_kernelILj256ELj8E21rocsparse_complex_numIdEllS1_IfES2_S2_EEvT3_20rocsparse_direction_NS_24const_host_device_scalarIT1_EES4_PKS4_PKT2_SD_SA_PKT4_PKT5_S8_PT6_21rocsparse_index_base_b.has_indirect_call, 0
	.section	.AMDGPU.csdata,"",@progbits
; Kernel info:
; codeLenInByte = 3288
; TotalNumSgprs: 14
; NumVgprs: 77
; ScratchSize: 0
; MemoryBound: 0
; FloatMode: 240
; IeeeMode: 1
; LDSByteSize: 0 bytes/workgroup (compile time only)
; SGPRBlocks: 0
; VGPRBlocks: 9
; NumSGPRsForWavesPerEU: 14
; NumVGPRsForWavesPerEU: 77
; Occupancy: 16
; WaveLimiterHint : 1
; COMPUTE_PGM_RSRC2:SCRATCH_EN: 0
; COMPUTE_PGM_RSRC2:USER_SGPR: 2
; COMPUTE_PGM_RSRC2:TRAP_HANDLER: 0
; COMPUTE_PGM_RSRC2:TGID_X_EN: 1
; COMPUTE_PGM_RSRC2:TGID_Y_EN: 0
; COMPUTE_PGM_RSRC2:TGID_Z_EN: 0
; COMPUTE_PGM_RSRC2:TIDIG_COMP_CNT: 0
	.section	.text._ZN9rocsparseL18bsrxmvn_3x3_kernelILj256ELj16E21rocsparse_complex_numIdEllS1_IfES2_S2_EEvT3_20rocsparse_direction_NS_24const_host_device_scalarIT1_EES4_PKS4_PKT2_SD_SA_PKT4_PKT5_S8_PT6_21rocsparse_index_base_b,"axG",@progbits,_ZN9rocsparseL18bsrxmvn_3x3_kernelILj256ELj16E21rocsparse_complex_numIdEllS1_IfES2_S2_EEvT3_20rocsparse_direction_NS_24const_host_device_scalarIT1_EES4_PKS4_PKT2_SD_SA_PKT4_PKT5_S8_PT6_21rocsparse_index_base_b,comdat
	.globl	_ZN9rocsparseL18bsrxmvn_3x3_kernelILj256ELj16E21rocsparse_complex_numIdEllS1_IfES2_S2_EEvT3_20rocsparse_direction_NS_24const_host_device_scalarIT1_EES4_PKS4_PKT2_SD_SA_PKT4_PKT5_S8_PT6_21rocsparse_index_base_b ; -- Begin function _ZN9rocsparseL18bsrxmvn_3x3_kernelILj256ELj16E21rocsparse_complex_numIdEllS1_IfES2_S2_EEvT3_20rocsparse_direction_NS_24const_host_device_scalarIT1_EES4_PKS4_PKT2_SD_SA_PKT4_PKT5_S8_PT6_21rocsparse_index_base_b
	.p2align	8
	.type	_ZN9rocsparseL18bsrxmvn_3x3_kernelILj256ELj16E21rocsparse_complex_numIdEllS1_IfES2_S2_EEvT3_20rocsparse_direction_NS_24const_host_device_scalarIT1_EES4_PKS4_PKT2_SD_SA_PKT4_PKT5_S8_PT6_21rocsparse_index_base_b,@function
_ZN9rocsparseL18bsrxmvn_3x3_kernelILj256ELj16E21rocsparse_complex_numIdEllS1_IfES2_S2_EEvT3_20rocsparse_direction_NS_24const_host_device_scalarIT1_EES4_PKS4_PKT2_SD_SA_PKT4_PKT5_S8_PT6_21rocsparse_index_base_b: ; @_ZN9rocsparseL18bsrxmvn_3x3_kernelILj256ELj16E21rocsparse_complex_numIdEllS1_IfES2_S2_EEvT3_20rocsparse_direction_NS_24const_host_device_scalarIT1_EES4_PKS4_PKT2_SD_SA_PKT4_PKT5_S8_PT6_21rocsparse_index_base_b
; %bb.0:
	s_clause 0x1
	s_load_b64 s[4:5], s[0:1], 0x70
	s_load_b64 s[2:3], s[0:1], 0x10
	s_add_nc_u64 s[6:7], s[0:1], 16
	s_load_b64 s[8:9], s[0:1], 0x58
	s_wait_kmcnt 0x0
	s_bitcmp1_b32 s5, 0
	s_cselect_b32 s2, s6, s2
	s_cselect_b32 s3, s7, s3
	s_delay_alu instid0(SALU_CYCLE_1)
	v_dual_mov_b32 v1, s2 :: v_dual_mov_b32 v2, s3
	s_add_nc_u64 s[2:3], s[0:1], 0x58
	s_wait_alu 0xfffe
	s_cselect_b32 s2, s2, s8
	s_cselect_b32 s3, s3, s9
	flat_load_b128 v[5:8], v[1:2]
	s_wait_alu 0xfffe
	v_dual_mov_b32 v1, s2 :: v_dual_mov_b32 v2, s3
	flat_load_b128 v[1:4], v[1:2]
	s_wait_loadcnt_dscnt 0x101
	v_cmp_eq_f64_e32 vcc_lo, 0, v[5:6]
	v_cmp_eq_f64_e64 s2, 0, v[7:8]
	s_and_b32 s5, vcc_lo, s2
	s_mov_b32 s2, -1
	s_and_saveexec_b32 s3, s5
	s_cbranch_execz .LBB177_2
; %bb.1:
	s_wait_loadcnt_dscnt 0x0
	v_cmp_neq_f64_e32 vcc_lo, 1.0, v[1:2]
	v_cmp_neq_f64_e64 s2, 0, v[3:4]
	s_wait_alu 0xfffe
	s_or_b32 s2, vcc_lo, s2
	s_wait_alu 0xfffe
	s_or_not1_b32 s2, s2, exec_lo
.LBB177_2:
	s_wait_alu 0xfffe
	s_or_b32 exec_lo, exec_lo, s3
	s_and_saveexec_b32 s3, s2
	s_cbranch_execz .LBB177_8
; %bb.3:
	s_load_b64 s[2:3], s[0:1], 0x28
	v_lshrrev_b32_e32 v9, 4, v0
	v_mov_b32_e32 v12, 0
	s_delay_alu instid0(VALU_DEP_2)
	v_lshl_or_b32 v11, ttmp9, 4, v9
	s_wait_kmcnt 0x0
	s_cmp_lg_u64 s[2:3], 0
	s_cbranch_scc0 .LBB177_9
; %bb.4:
	s_load_b64 s[6:7], s[0:1], 0x20
                                        ; implicit-def: $vgpr17_vgpr18
                                        ; implicit-def: $vgpr9_vgpr10
	s_wait_kmcnt 0x0
	v_cmp_gt_i64_e32 vcc_lo, s[6:7], v[11:12]
	s_mov_b32 s7, 0
	s_mov_b32 s6, 0
	s_and_saveexec_b32 s5, vcc_lo
	s_delay_alu instid0(SALU_CYCLE_1)
	s_xor_b32 s8, exec_lo, s5
	s_cbranch_execz .LBB177_6
; %bb.5:
	v_lshlrev_b64_e32 v[9:10], 3, v[11:12]
	s_mov_b32 s5, 0
	s_mov_b32 s6, exec_lo
	s_delay_alu instid0(VALU_DEP_1) | instskip(NEXT) | instid1(VALU_DEP_1)
	v_add_co_u32 v9, vcc_lo, s2, v9
	v_add_co_ci_u32_e64 v10, null, s3, v10, vcc_lo
	global_load_b64 v[9:10], v[9:10], off
	s_wait_loadcnt 0x0
	v_sub_co_u32 v17, vcc_lo, v9, s4
	s_wait_alu 0xfffd
	v_subrev_co_ci_u32_e64 v18, null, 0, v10, vcc_lo
	v_dual_mov_b32 v10, s5 :: v_dual_mov_b32 v9, s4
.LBB177_6:
	s_or_b32 exec_lo, exec_lo, s8
	s_wait_alu 0xfffe
	s_and_b32 vcc_lo, exec_lo, s7
	s_wait_alu 0xfffe
	s_cbranch_vccnz .LBB177_10
.LBB177_7:
	s_and_b32 exec_lo, exec_lo, s6
	s_cbranch_execnz .LBB177_13
.LBB177_8:
	s_endpgm
.LBB177_9:
	s_mov_b32 s6, 0
                                        ; implicit-def: $vgpr17_vgpr18
                                        ; implicit-def: $vgpr9_vgpr10
	s_cbranch_execz .LBB177_7
.LBB177_10:
	s_load_b64 s[2:3], s[0:1], 0x0
	s_wait_kmcnt 0x0
	v_cmp_gt_i64_e32 vcc_lo, s[2:3], v[11:12]
	s_and_saveexec_b32 s2, vcc_lo
; %bb.11:
	s_mov_b32 s5, 0
	s_or_b32 s6, s6, exec_lo
; %bb.12:
	s_wait_alu 0xfffe
	s_or_b32 exec_lo, exec_lo, s2
	v_dual_mov_b32 v10, s5 :: v_dual_mov_b32 v9, s4
	v_dual_mov_b32 v18, v12 :: v_dual_mov_b32 v17, v11
	s_and_b32 exec_lo, exec_lo, s6
	s_cbranch_execz .LBB177_8
.LBB177_13:
	s_load_b256 s[4:11], s[0:1], 0x30
	s_delay_alu instid0(VALU_DEP_1) | instskip(SKIP_2) | instid1(VALU_DEP_2)
	v_lshlrev_b64_e32 v[11:12], 3, v[17:18]
	v_and_b32_e32 v0, 15, v0
	s_wait_kmcnt 0x0
	v_add_co_u32 v13, vcc_lo, s4, v11
	s_wait_alu 0xfffd
	s_delay_alu instid0(VALU_DEP_3)
	v_add_co_ci_u32_e64 v14, null, s5, v12, vcc_lo
	v_add_co_u32 v11, vcc_lo, s6, v11
	s_wait_alu 0xfffd
	v_add_co_ci_u32_e64 v12, null, s7, v12, vcc_lo
	global_load_b64 v[15:16], v[13:14], off
	v_add_co_u32 v13, vcc_lo, v13, 8
	s_wait_alu 0xfffd
	v_add_co_ci_u32_e64 v14, null, 0, v14, vcc_lo
	s_cmp_eq_u64 s[6:7], 0
	s_cselect_b32 vcc_lo, -1, 0
	s_wait_alu 0xfffe
	v_dual_cndmask_b32 v12, v12, v14 :: v_dual_cndmask_b32 v11, v11, v13
	global_load_b64 v[11:12], v[11:12], off
	s_clause 0x1
	s_load_b32 s3, s[0:1], 0x8
	s_load_b64 s[4:5], s[0:1], 0x50
	s_wait_kmcnt 0x0
	s_cmp_eq_u32 s3, 1
	s_wait_loadcnt 0x1
	v_sub_co_u32 v13, vcc_lo, v15, v9
	s_wait_alu 0xfffd
	v_sub_co_ci_u32_e64 v14, null, v16, v10, vcc_lo
	s_delay_alu instid0(VALU_DEP_2) | instskip(SKIP_1) | instid1(VALU_DEP_2)
	v_add_co_u32 v13, vcc_lo, v13, v0
	s_wait_alu 0xfffd
	v_add_co_ci_u32_e64 v14, null, 0, v14, vcc_lo
	s_delay_alu instid0(VALU_DEP_2) | instskip(SKIP_4) | instid1(VALU_DEP_3)
	v_mad_co_u64_u32 v[15:16], null, 0x48, v13, s[10:11]
	s_wait_loadcnt 0x0
	v_sub_co_u32 v23, vcc_lo, v11, v9
	s_wait_alu 0xfffd
	v_sub_co_ci_u32_e64 v24, null, v12, v10, vcc_lo
	v_mad_co_u64_u32 v[19:20], null, 0x48, v14, v[16:17]
	s_delay_alu instid0(VALU_DEP_2) | instskip(NEXT) | instid1(VALU_DEP_2)
	v_cmp_lt_i64_e64 s2, v[13:14], v[23:24]
	v_mov_b32_e32 v16, v19
	s_cbranch_scc1 .LBB177_19
; %bb.14:
	v_mov_b32_e32 v11, 0
	v_mov_b32_e32 v21, 0
	v_dual_mov_b32 v27, 0 :: v_dual_mov_b32 v12, 0
	v_dual_mov_b32 v19, 0 :: v_dual_mov_b32 v22, 0
	;; [unrolled: 1-line block ×4, first 2 shown]
	v_mov_b32_e32 v26, 0
	v_mov_b32_e32 v30, 0
	s_and_saveexec_b32 s6, s2
	s_cbranch_execz .LBB177_18
; %bb.15:
	v_lshlrev_b64_e32 v[19:20], 3, v[13:14]
	v_mov_b32_e32 v25, 0
	v_dual_mov_b32 v11, 0 :: v_dual_mov_b32 v32, v14
	v_dual_mov_b32 v26, 0 :: v_dual_mov_b32 v27, 0
	s_delay_alu instid0(VALU_DEP_4)
	v_add_co_u32 v33, vcc_lo, s8, v19
	s_wait_alu 0xfffd
	v_add_co_ci_u32_e64 v34, null, s9, v20, vcc_lo
	v_mov_b32_e32 v19, 0
	v_dual_mov_b32 v20, 0 :: v_dual_mov_b32 v21, 0
	v_dual_mov_b32 v29, 0 :: v_dual_mov_b32 v36, v16
	;; [unrolled: 1-line block ×3, first 2 shown]
	v_mov_b32_e32 v22, 0
	v_mov_b32_e32 v28, 0
	v_dual_mov_b32 v30, 0 :: v_dual_mov_b32 v35, v15
	s_mov_b32 s7, 0
.LBB177_16:                             ; =>This Inner Loop Header: Depth=1
	global_load_b64 v[49:50], v[33:34], off
	s_clause 0x2
	global_load_b128 v[37:40], v[35:36], off
	global_load_b128 v[41:44], v[35:36], off offset:16
	global_load_b128 v[45:48], v[35:36], off offset:48
	v_add_co_u32 v33, s3, 0x80, v33
	s_wait_alu 0xf1ff
	v_add_co_ci_u32_e64 v34, null, 0, v34, s3
	s_wait_loadcnt 0x3
	v_sub_co_u32 v49, vcc_lo, v49, v9
	s_wait_alu 0xfffd
	v_sub_co_ci_u32_e64 v50, null, v50, v10, vcc_lo
	s_wait_loadcnt 0x2
	v_cvt_f64_f32_e32 v[67:68], v37
	v_mad_co_u64_u32 v[61:62], null, v49, 48, s[4:5]
	v_cvt_f64_f32_e32 v[37:38], v38
	s_wait_loadcnt 0x1
	v_cvt_f64_f32_e32 v[69:70], v43
	v_cvt_f64_f32_e32 v[43:44], v44
	s_wait_loadcnt 0x0
	v_cvt_f64_f32_e32 v[71:72], v45
	v_cvt_f64_f32_e32 v[45:46], v46
	v_cvt_f64_f32_e32 v[75:76], v47
	v_mov_b32_e32 v49, v62
	v_cvt_f64_f32_e32 v[47:48], v48
	v_add_co_u32 v31, vcc_lo, v31, 16
	s_wait_alu 0xfffd
	v_add_co_ci_u32_e64 v32, null, 0, v32, vcc_lo
	v_mad_co_u64_u32 v[49:50], null, v50, 48, v[49:50]
	s_delay_alu instid0(VALU_DEP_1)
	v_mov_b32_e32 v62, v49
	s_clause 0x1
	global_load_b128 v[49:52], v[61:62], off
	global_load_b128 v[53:56], v[61:62], off offset:16
	s_clause 0x1
	global_load_b128 v[57:60], v[35:36], off offset:32
	global_load_b64 v[65:66], v[35:36], off offset:64
	global_load_b128 v[61:64], v[61:62], off offset:32
	v_add_co_u32 v35, vcc_lo, 0x480, v35
	s_wait_alu 0xfffd
	v_add_co_ci_u32_e64 v36, null, 0, v36, vcc_lo
	v_cmp_ge_i64_e32 vcc_lo, v[31:32], v[23:24]
	s_wait_alu 0xfffe
	s_or_b32 s7, vcc_lo, s7
	s_wait_loadcnt 0x4
	v_fma_f64 v[19:20], v[67:68], v[49:50], v[19:20]
	v_fma_f64 v[11:12], v[37:38], v[49:50], v[11:12]
	v_fma_f64 v[25:26], v[69:70], v[49:50], v[25:26]
	v_fma_f64 v[21:22], v[43:44], v[49:50], v[21:22]
	v_fma_f64 v[29:30], v[71:72], v[49:50], v[29:30]
	v_fma_f64 v[27:28], v[45:46], v[49:50], v[27:28]
	v_cvt_f64_f32_e32 v[49:50], v39
	v_cvt_f64_f32_e32 v[39:40], v40
	s_wait_loadcnt 0x2
	v_cvt_f64_f32_e32 v[73:74], v57
	v_cvt_f64_f32_e32 v[57:58], v58
	v_fma_f64 v[19:20], -v[37:38], v[51:52], v[19:20]
	v_fma_f64 v[11:12], v[67:68], v[51:52], v[11:12]
	v_fma_f64 v[25:26], -v[43:44], v[51:52], v[25:26]
	v_fma_f64 v[21:22], v[69:70], v[51:52], v[21:22]
	;; [unrolled: 2-line block ×3, first 2 shown]
	v_cvt_f64_f32_e32 v[37:38], v41
	v_cvt_f64_f32_e32 v[41:42], v42
	;; [unrolled: 1-line block ×4, first 2 shown]
	s_wait_loadcnt 0x1
	v_cvt_f64_f32_e32 v[51:52], v65
	v_fma_f64 v[19:20], v[49:50], v[53:54], v[19:20]
	v_fma_f64 v[11:12], v[39:40], v[53:54], v[11:12]
	;; [unrolled: 1-line block ×6, first 2 shown]
	v_cvt_f64_f32_e32 v[53:54], v66
	v_fma_f64 v[19:20], -v[39:40], v[55:56], v[19:20]
	v_fma_f64 v[11:12], v[49:50], v[55:56], v[11:12]
	v_fma_f64 v[25:26], -v[57:58], v[55:56], v[25:26]
	v_fma_f64 v[21:22], v[73:74], v[55:56], v[21:22]
	;; [unrolled: 2-line block ×3, first 2 shown]
	s_wait_loadcnt 0x0
	v_fma_f64 v[19:20], v[37:38], v[61:62], v[19:20]
	v_fma_f64 v[11:12], v[41:42], v[61:62], v[11:12]
	;; [unrolled: 1-line block ×6, first 2 shown]
	v_fma_f64 v[19:20], -v[41:42], v[63:64], v[19:20]
	v_fma_f64 v[11:12], v[37:38], v[63:64], v[11:12]
	v_fma_f64 v[25:26], -v[45:46], v[63:64], v[25:26]
	v_fma_f64 v[21:22], v[43:44], v[63:64], v[21:22]
	;; [unrolled: 2-line block ×3, first 2 shown]
	s_wait_alu 0xfffe
	s_and_not1_b32 exec_lo, exec_lo, s7
	s_cbranch_execnz .LBB177_16
; %bb.17:
	s_or_b32 exec_lo, exec_lo, s7
.LBB177_18:
	s_wait_alu 0xfffe
	s_or_b32 exec_lo, exec_lo, s6
	s_cbranch_execz .LBB177_20
	s_branch .LBB177_25
.LBB177_19:
                                        ; implicit-def: $vgpr11_vgpr12
                                        ; implicit-def: $vgpr19_vgpr20
                                        ; implicit-def: $vgpr21_vgpr22
                                        ; implicit-def: $vgpr25_vgpr26
                                        ; implicit-def: $vgpr27_vgpr28
                                        ; implicit-def: $vgpr29_vgpr30
.LBB177_20:
	v_mov_b32_e32 v11, 0
	v_mov_b32_e32 v21, 0
	v_dual_mov_b32 v27, 0 :: v_dual_mov_b32 v12, 0
	v_dual_mov_b32 v19, 0 :: v_dual_mov_b32 v22, 0
	;; [unrolled: 1-line block ×4, first 2 shown]
	v_mov_b32_e32 v26, 0
	v_mov_b32_e32 v30, 0
	s_and_saveexec_b32 s3, s2
	s_cbranch_execz .LBB177_24
; %bb.21:
	v_lshlrev_b64_e32 v[31:32], 3, v[13:14]
	v_mov_b32_e32 v11, 0
	v_mov_b32_e32 v21, 0
	v_dual_mov_b32 v27, 0 :: v_dual_mov_b32 v12, 0
	v_mov_b32_e32 v19, 0
	v_add_co_u32 v31, vcc_lo, s8, v31
	v_dual_mov_b32 v22, 0 :: v_dual_mov_b32 v25, 0
	v_dual_mov_b32 v28, 0 :: v_dual_mov_b32 v29, 0
	v_mov_b32_e32 v20, 0
	v_mov_b32_e32 v26, 0
	;; [unrolled: 1-line block ×3, first 2 shown]
	s_wait_alu 0xfffd
	v_add_co_ci_u32_e64 v32, null, s9, v32, vcc_lo
	s_mov_b32 s6, 0
.LBB177_22:                             ; =>This Inner Loop Header: Depth=1
	global_load_b64 v[41:42], v[31:32], off
	s_clause 0x1
	global_load_b128 v[33:36], v[15:16], off
	global_load_b128 v[37:40], v[15:16], off offset:16
	v_add_co_u32 v31, s2, 0x80, v31
	s_wait_alu 0xf1ff
	v_add_co_ci_u32_e64 v32, null, 0, v32, s2
	s_wait_loadcnt 0x2
	v_sub_co_u32 v41, vcc_lo, v41, v9
	s_wait_alu 0xfffd
	v_sub_co_ci_u32_e64 v42, null, v42, v10, vcc_lo
	s_wait_loadcnt 0x1
	v_cvt_f64_f32_e32 v[63:64], v33
	v_mad_co_u64_u32 v[57:58], null, v41, 48, s[4:5]
	v_cvt_f64_f32_e32 v[33:34], v34
	v_cvt_f64_f32_e32 v[65:66], v35
	;; [unrolled: 1-line block ×3, first 2 shown]
	s_wait_loadcnt 0x0
	v_cvt_f64_f32_e32 v[67:68], v37
	v_cvt_f64_f32_e32 v[37:38], v38
	v_add_co_u32 v13, vcc_lo, v13, 16
	v_mov_b32_e32 v41, v58
	s_wait_alu 0xfffd
	v_add_co_ci_u32_e64 v14, null, 0, v14, vcc_lo
	s_delay_alu instid0(VALU_DEP_2) | instskip(NEXT) | instid1(VALU_DEP_1)
	v_mad_co_u64_u32 v[41:42], null, v42, 48, v[41:42]
	v_mov_b32_e32 v58, v41
	s_clause 0x1
	global_load_b128 v[41:44], v[57:58], off
	global_load_b128 v[45:48], v[57:58], off offset:16
	s_clause 0x2
	global_load_b128 v[49:52], v[15:16], off offset:32
	global_load_b128 v[53:56], v[15:16], off offset:48
	global_load_b64 v[61:62], v[15:16], off offset:64
	global_load_b128 v[57:60], v[57:58], off offset:32
	v_add_co_u32 v15, vcc_lo, 0x480, v15
	s_wait_alu 0xfffd
	v_add_co_ci_u32_e64 v16, null, 0, v16, vcc_lo
	v_cmp_ge_i64_e32 vcc_lo, v[13:14], v[23:24]
	s_wait_alu 0xfffe
	s_or_b32 s6, vcc_lo, s6
	s_wait_loadcnt 0x5
	v_fma_f64 v[19:20], v[63:64], v[41:42], v[19:20]
	v_fma_f64 v[11:12], v[33:34], v[41:42], v[11:12]
	v_fma_f64 v[25:26], v[65:66], v[41:42], v[25:26]
	v_fma_f64 v[21:22], v[35:36], v[41:42], v[21:22]
	v_fma_f64 v[29:30], v[67:68], v[41:42], v[29:30]
	v_fma_f64 v[27:28], v[37:38], v[41:42], v[27:28]
	v_cvt_f64_f32_e32 v[41:42], v39
	v_cvt_f64_f32_e32 v[39:40], v40
	s_wait_loadcnt 0x3
	v_cvt_f64_f32_e32 v[69:70], v49
	v_cvt_f64_f32_e32 v[49:50], v50
	;; [unrolled: 1-line block ×4, first 2 shown]
	v_fma_f64 v[19:20], -v[33:34], v[43:44], v[19:20]
	v_fma_f64 v[11:12], v[63:64], v[43:44], v[11:12]
	v_fma_f64 v[25:26], -v[35:36], v[43:44], v[25:26]
	v_fma_f64 v[21:22], v[65:66], v[43:44], v[21:22]
	;; [unrolled: 2-line block ×3, first 2 shown]
	s_wait_loadcnt 0x2
	v_cvt_f64_f32_e32 v[33:34], v53
	v_cvt_f64_f32_e32 v[35:36], v54
	v_cvt_f64_f32_e32 v[37:38], v55
	v_cvt_f64_f32_e32 v[43:44], v56
	s_wait_loadcnt 0x1
	v_cvt_f64_f32_e32 v[53:54], v62
	v_fma_f64 v[19:20], v[41:42], v[45:46], v[19:20]
	v_fma_f64 v[11:12], v[39:40], v[45:46], v[11:12]
	;; [unrolled: 1-line block ×6, first 2 shown]
	v_cvt_f64_f32_e32 v[45:46], v61
	v_fma_f64 v[19:20], -v[39:40], v[47:48], v[19:20]
	v_fma_f64 v[11:12], v[41:42], v[47:48], v[11:12]
	v_fma_f64 v[25:26], -v[49:50], v[47:48], v[25:26]
	v_fma_f64 v[21:22], v[69:70], v[47:48], v[21:22]
	;; [unrolled: 2-line block ×3, first 2 shown]
	s_wait_loadcnt 0x0
	v_fma_f64 v[19:20], v[33:34], v[57:58], v[19:20]
	v_fma_f64 v[11:12], v[35:36], v[57:58], v[11:12]
	;; [unrolled: 1-line block ×6, first 2 shown]
	v_fma_f64 v[19:20], -v[35:36], v[59:60], v[19:20]
	v_fma_f64 v[11:12], v[33:34], v[59:60], v[11:12]
	v_fma_f64 v[25:26], -v[43:44], v[59:60], v[25:26]
	v_fma_f64 v[21:22], v[37:38], v[59:60], v[21:22]
	;; [unrolled: 2-line block ×3, first 2 shown]
	s_wait_alu 0xfffe
	s_and_not1_b32 exec_lo, exec_lo, s6
	s_cbranch_execnz .LBB177_22
; %bb.23:
	s_or_b32 exec_lo, exec_lo, s6
.LBB177_24:
	s_wait_alu 0xfffe
	s_or_b32 exec_lo, exec_lo, s3
.LBB177_25:
	v_mbcnt_lo_u32_b32 v35, -1, 0
	s_delay_alu instid0(VALU_DEP_1) | instskip(NEXT) | instid1(VALU_DEP_1)
	v_xor_b32_e32 v9, 8, v35
	v_cmp_gt_i32_e32 vcc_lo, 32, v9
	s_wait_alu 0xfffd
	v_cndmask_b32_e32 v9, v35, v9, vcc_lo
	s_delay_alu instid0(VALU_DEP_1)
	v_lshlrev_b32_e32 v34, 2, v9
	ds_bpermute_b32 v13, v34, v11
	ds_bpermute_b32 v14, v34, v12
	;; [unrolled: 1-line block ×6, first 2 shown]
	s_wait_dscnt 0x4
	v_add_f64_e32 v[11:12], v[11:12], v[13:14]
	s_wait_dscnt 0x2
	v_add_f64_e32 v[13:14], v[25:26], v[15:16]
	;; [unrolled: 2-line block ×3, first 2 shown]
	v_xor_b32_e32 v23, 4, v35
	s_delay_alu instid0(VALU_DEP_1)
	v_cmp_gt_i32_e32 vcc_lo, 32, v23
	s_wait_alu 0xfffd
	v_cndmask_b32_e32 v23, v35, v23, vcc_lo
	ds_bpermute_b32 v9, v34, v19
	ds_bpermute_b32 v10, v34, v20
	;; [unrolled: 1-line block ×6, first 2 shown]
	s_wait_dscnt 0x4
	v_add_f64_e32 v[9:10], v[19:20], v[9:10]
	s_wait_dscnt 0x2
	v_add_f64_e32 v[19:20], v[29:30], v[31:32]
	;; [unrolled: 2-line block ×3, first 2 shown]
	v_lshlrev_b32_e32 v34, 2, v23
	ds_bpermute_b32 v25, v34, v11
	ds_bpermute_b32 v26, v34, v12
	;; [unrolled: 1-line block ×6, first 2 shown]
	s_wait_dscnt 0x4
	v_add_f64_e32 v[11:12], v[11:12], v[25:26]
	s_wait_dscnt 0x2
	v_add_f64_e32 v[13:14], v[13:14], v[27:28]
	;; [unrolled: 2-line block ×3, first 2 shown]
	ds_bpermute_b32 v23, v34, v9
	ds_bpermute_b32 v24, v34, v10
	;; [unrolled: 1-line block ×6, first 2 shown]
	s_wait_dscnt 0x4
	v_add_f64_e32 v[9:10], v[9:10], v[23:24]
	s_wait_dscnt 0x2
	v_add_f64_e32 v[25:26], v[19:20], v[31:32]
	v_xor_b32_e32 v19, 2, v35
	s_wait_dscnt 0x0
	v_add_f64_e32 v[21:22], v[21:22], v[33:34]
	s_delay_alu instid0(VALU_DEP_2) | instskip(SKIP_2) | instid1(VALU_DEP_1)
	v_cmp_gt_i32_e32 vcc_lo, 32, v19
	s_wait_alu 0xfffd
	v_cndmask_b32_e32 v19, v35, v19, vcc_lo
	v_lshlrev_b32_e32 v34, 2, v19
	ds_bpermute_b32 v23, v34, v11
	ds_bpermute_b32 v24, v34, v12
	;; [unrolled: 1-line block ×12, first 2 shown]
	s_wait_dscnt 0xa
	v_add_f64_e32 v[23:24], v[11:12], v[23:24]
	s_wait_dscnt 0x8
	v_add_f64_e32 v[11:12], v[13:14], v[27:28]
	;; [unrolled: 2-line block ×3, first 2 shown]
	v_add_f64_e32 v[19:20], v[15:16], v[29:30]
	s_wait_dscnt 0x2
	v_add_f64_e32 v[13:14], v[25:26], v[31:32]
	s_wait_dscnt 0x0
	v_add_f64_e32 v[15:16], v[21:22], v[33:34]
	v_xor_b32_e32 v21, 1, v35
	s_delay_alu instid0(VALU_DEP_1) | instskip(SKIP_3) | instid1(VALU_DEP_2)
	v_cmp_gt_i32_e32 vcc_lo, 32, v21
	s_wait_alu 0xfffd
	v_cndmask_b32_e32 v21, v35, v21, vcc_lo
	v_cmp_eq_u32_e32 vcc_lo, 15, v0
	v_lshlrev_b32_e32 v30, 2, v21
	ds_bpermute_b32 v33, v30, v23
	ds_bpermute_b32 v34, v30, v24
	;; [unrolled: 1-line block ×12, first 2 shown]
	s_and_b32 exec_lo, exec_lo, vcc_lo
	s_cbranch_execz .LBB177_8
; %bb.26:
	s_wait_dscnt 0xa
	v_add_f64_e32 v[23:24], v[23:24], v[33:34]
	s_wait_dscnt 0x4
	v_add_f64_e32 v[19:20], v[19:20], v[31:32]
	;; [unrolled: 2-line block ×3, first 2 shown]
	v_add_f64_e32 v[9:10], v[9:10], v[21:22]
	v_add_f64_e32 v[11:12], v[11:12], v[25:26]
	v_add_f64_e32 v[21:22], v[13:14], v[27:28]
	v_cmp_eq_f64_e32 vcc_lo, 0, v[1:2]
	v_cmp_eq_f64_e64 s2, 0, v[3:4]
	s_load_b64 s[0:1], s[0:1], 0x68
	v_mul_f64_e64 v[13:14], v[23:24], -v[7:8]
	v_mul_f64_e32 v[23:24], v[5:6], v[23:24]
	v_mul_f64_e64 v[25:26], v[19:20], -v[7:8]
	v_mul_f64_e32 v[19:20], v[5:6], v[19:20]
	;; [unrolled: 2-line block ×3, first 2 shown]
	s_and_b32 s2, vcc_lo, s2
	v_fma_f64 v[13:14], v[5:6], v[9:10], v[13:14]
	v_fma_f64 v[15:16], v[7:8], v[9:10], v[23:24]
	v_fma_f64 v[9:10], v[5:6], v[11:12], v[25:26]
	v_fma_f64 v[11:12], v[7:8], v[11:12], v[19:20]
	v_fma_f64 v[5:6], v[5:6], v[21:22], v[27:28]
	v_fma_f64 v[7:8], v[7:8], v[21:22], v[29:30]
	s_wait_alu 0xfffe
	s_and_saveexec_b32 s3, s2
	s_wait_alu 0xfffe
	s_xor_b32 s2, exec_lo, s3
	s_cbranch_execz .LBB177_28
; %bb.27:
	s_wait_kmcnt 0x0
	v_mad_co_u64_u32 v[0:1], null, v17, 48, s[0:1]
	s_delay_alu instid0(VALU_DEP_1)
	v_mad_co_u64_u32 v[1:2], null, v18, 48, v[1:2]
                                        ; implicit-def: $vgpr17_vgpr18
	s_clause 0x2
	global_store_b128 v[0:1], v[13:16], off
	global_store_b128 v[0:1], v[9:12], off offset:16
	global_store_b128 v[0:1], v[5:8], off offset:32
                                        ; implicit-def: $vgpr3_vgpr4
                                        ; implicit-def: $vgpr13_vgpr14
                                        ; implicit-def: $vgpr9_vgpr10
                                        ; implicit-def: $vgpr5_vgpr6
.LBB177_28:
	s_wait_alu 0xfffe
	s_and_not1_saveexec_b32 s2, s2
	s_cbranch_execz .LBB177_8
; %bb.29:
	s_wait_kmcnt 0x0
	v_mad_co_u64_u32 v[29:30], null, v17, 48, s[0:1]
	s_delay_alu instid0(VALU_DEP_1) | instskip(NEXT) | instid1(VALU_DEP_1)
	v_mov_b32_e32 v0, v30
	v_mad_co_u64_u32 v[17:18], null, v18, 48, v[0:1]
	s_delay_alu instid0(VALU_DEP_1)
	v_mov_b32_e32 v30, v17
	s_clause 0x2
	global_load_b128 v[17:20], v[29:30], off
	global_load_b128 v[21:24], v[29:30], off offset:16
	global_load_b128 v[25:28], v[29:30], off offset:32
	s_wait_loadcnt 0x2
	v_fma_f64 v[13:14], v[1:2], v[17:18], v[13:14]
	v_fma_f64 v[15:16], v[3:4], v[17:18], v[15:16]
	s_wait_loadcnt 0x1
	v_fma_f64 v[9:10], v[1:2], v[21:22], v[9:10]
	v_fma_f64 v[11:12], v[3:4], v[21:22], v[11:12]
	;; [unrolled: 3-line block ×3, first 2 shown]
	v_fma_f64 v[5:6], -v[3:4], v[19:20], v[13:14]
	v_fma_f64 v[7:8], v[1:2], v[19:20], v[15:16]
	v_fma_f64 v[9:10], -v[3:4], v[23:24], v[9:10]
	v_fma_f64 v[11:12], v[1:2], v[23:24], v[11:12]
	;; [unrolled: 2-line block ×3, first 2 shown]
	s_clause 0x2
	global_store_b128 v[29:30], v[5:8], off
	global_store_b128 v[29:30], v[9:12], off offset:16
	global_store_b128 v[29:30], v[13:16], off offset:32
	s_endpgm
	.section	.rodata,"a",@progbits
	.p2align	6, 0x0
	.amdhsa_kernel _ZN9rocsparseL18bsrxmvn_3x3_kernelILj256ELj16E21rocsparse_complex_numIdEllS1_IfES2_S2_EEvT3_20rocsparse_direction_NS_24const_host_device_scalarIT1_EES4_PKS4_PKT2_SD_SA_PKT4_PKT5_S8_PT6_21rocsparse_index_base_b
		.amdhsa_group_segment_fixed_size 0
		.amdhsa_private_segment_fixed_size 0
		.amdhsa_kernarg_size 120
		.amdhsa_user_sgpr_count 2
		.amdhsa_user_sgpr_dispatch_ptr 0
		.amdhsa_user_sgpr_queue_ptr 0
		.amdhsa_user_sgpr_kernarg_segment_ptr 1
		.amdhsa_user_sgpr_dispatch_id 0
		.amdhsa_user_sgpr_private_segment_size 0
		.amdhsa_wavefront_size32 1
		.amdhsa_uses_dynamic_stack 0
		.amdhsa_enable_private_segment 0
		.amdhsa_system_sgpr_workgroup_id_x 1
		.amdhsa_system_sgpr_workgroup_id_y 0
		.amdhsa_system_sgpr_workgroup_id_z 0
		.amdhsa_system_sgpr_workgroup_info 0
		.amdhsa_system_vgpr_workitem_id 0
		.amdhsa_next_free_vgpr 77
		.amdhsa_next_free_sgpr 12
		.amdhsa_reserve_vcc 1
		.amdhsa_float_round_mode_32 0
		.amdhsa_float_round_mode_16_64 0
		.amdhsa_float_denorm_mode_32 3
		.amdhsa_float_denorm_mode_16_64 3
		.amdhsa_fp16_overflow 0
		.amdhsa_workgroup_processor_mode 1
		.amdhsa_memory_ordered 1
		.amdhsa_forward_progress 1
		.amdhsa_inst_pref_size 28
		.amdhsa_round_robin_scheduling 0
		.amdhsa_exception_fp_ieee_invalid_op 0
		.amdhsa_exception_fp_denorm_src 0
		.amdhsa_exception_fp_ieee_div_zero 0
		.amdhsa_exception_fp_ieee_overflow 0
		.amdhsa_exception_fp_ieee_underflow 0
		.amdhsa_exception_fp_ieee_inexact 0
		.amdhsa_exception_int_div_zero 0
	.end_amdhsa_kernel
	.section	.text._ZN9rocsparseL18bsrxmvn_3x3_kernelILj256ELj16E21rocsparse_complex_numIdEllS1_IfES2_S2_EEvT3_20rocsparse_direction_NS_24const_host_device_scalarIT1_EES4_PKS4_PKT2_SD_SA_PKT4_PKT5_S8_PT6_21rocsparse_index_base_b,"axG",@progbits,_ZN9rocsparseL18bsrxmvn_3x3_kernelILj256ELj16E21rocsparse_complex_numIdEllS1_IfES2_S2_EEvT3_20rocsparse_direction_NS_24const_host_device_scalarIT1_EES4_PKS4_PKT2_SD_SA_PKT4_PKT5_S8_PT6_21rocsparse_index_base_b,comdat
.Lfunc_end177:
	.size	_ZN9rocsparseL18bsrxmvn_3x3_kernelILj256ELj16E21rocsparse_complex_numIdEllS1_IfES2_S2_EEvT3_20rocsparse_direction_NS_24const_host_device_scalarIT1_EES4_PKS4_PKT2_SD_SA_PKT4_PKT5_S8_PT6_21rocsparse_index_base_b, .Lfunc_end177-_ZN9rocsparseL18bsrxmvn_3x3_kernelILj256ELj16E21rocsparse_complex_numIdEllS1_IfES2_S2_EEvT3_20rocsparse_direction_NS_24const_host_device_scalarIT1_EES4_PKS4_PKT2_SD_SA_PKT4_PKT5_S8_PT6_21rocsparse_index_base_b
                                        ; -- End function
	.set _ZN9rocsparseL18bsrxmvn_3x3_kernelILj256ELj16E21rocsparse_complex_numIdEllS1_IfES2_S2_EEvT3_20rocsparse_direction_NS_24const_host_device_scalarIT1_EES4_PKS4_PKT2_SD_SA_PKT4_PKT5_S8_PT6_21rocsparse_index_base_b.num_vgpr, 77
	.set _ZN9rocsparseL18bsrxmvn_3x3_kernelILj256ELj16E21rocsparse_complex_numIdEllS1_IfES2_S2_EEvT3_20rocsparse_direction_NS_24const_host_device_scalarIT1_EES4_PKS4_PKT2_SD_SA_PKT4_PKT5_S8_PT6_21rocsparse_index_base_b.num_agpr, 0
	.set _ZN9rocsparseL18bsrxmvn_3x3_kernelILj256ELj16E21rocsparse_complex_numIdEllS1_IfES2_S2_EEvT3_20rocsparse_direction_NS_24const_host_device_scalarIT1_EES4_PKS4_PKT2_SD_SA_PKT4_PKT5_S8_PT6_21rocsparse_index_base_b.numbered_sgpr, 12
	.set _ZN9rocsparseL18bsrxmvn_3x3_kernelILj256ELj16E21rocsparse_complex_numIdEllS1_IfES2_S2_EEvT3_20rocsparse_direction_NS_24const_host_device_scalarIT1_EES4_PKS4_PKT2_SD_SA_PKT4_PKT5_S8_PT6_21rocsparse_index_base_b.num_named_barrier, 0
	.set _ZN9rocsparseL18bsrxmvn_3x3_kernelILj256ELj16E21rocsparse_complex_numIdEllS1_IfES2_S2_EEvT3_20rocsparse_direction_NS_24const_host_device_scalarIT1_EES4_PKS4_PKT2_SD_SA_PKT4_PKT5_S8_PT6_21rocsparse_index_base_b.private_seg_size, 0
	.set _ZN9rocsparseL18bsrxmvn_3x3_kernelILj256ELj16E21rocsparse_complex_numIdEllS1_IfES2_S2_EEvT3_20rocsparse_direction_NS_24const_host_device_scalarIT1_EES4_PKS4_PKT2_SD_SA_PKT4_PKT5_S8_PT6_21rocsparse_index_base_b.uses_vcc, 1
	.set _ZN9rocsparseL18bsrxmvn_3x3_kernelILj256ELj16E21rocsparse_complex_numIdEllS1_IfES2_S2_EEvT3_20rocsparse_direction_NS_24const_host_device_scalarIT1_EES4_PKS4_PKT2_SD_SA_PKT4_PKT5_S8_PT6_21rocsparse_index_base_b.uses_flat_scratch, 0
	.set _ZN9rocsparseL18bsrxmvn_3x3_kernelILj256ELj16E21rocsparse_complex_numIdEllS1_IfES2_S2_EEvT3_20rocsparse_direction_NS_24const_host_device_scalarIT1_EES4_PKS4_PKT2_SD_SA_PKT4_PKT5_S8_PT6_21rocsparse_index_base_b.has_dyn_sized_stack, 0
	.set _ZN9rocsparseL18bsrxmvn_3x3_kernelILj256ELj16E21rocsparse_complex_numIdEllS1_IfES2_S2_EEvT3_20rocsparse_direction_NS_24const_host_device_scalarIT1_EES4_PKS4_PKT2_SD_SA_PKT4_PKT5_S8_PT6_21rocsparse_index_base_b.has_recursion, 0
	.set _ZN9rocsparseL18bsrxmvn_3x3_kernelILj256ELj16E21rocsparse_complex_numIdEllS1_IfES2_S2_EEvT3_20rocsparse_direction_NS_24const_host_device_scalarIT1_EES4_PKS4_PKT2_SD_SA_PKT4_PKT5_S8_PT6_21rocsparse_index_base_b.has_indirect_call, 0
	.section	.AMDGPU.csdata,"",@progbits
; Kernel info:
; codeLenInByte = 3464
; TotalNumSgprs: 14
; NumVgprs: 77
; ScratchSize: 0
; MemoryBound: 0
; FloatMode: 240
; IeeeMode: 1
; LDSByteSize: 0 bytes/workgroup (compile time only)
; SGPRBlocks: 0
; VGPRBlocks: 9
; NumSGPRsForWavesPerEU: 14
; NumVGPRsForWavesPerEU: 77
; Occupancy: 16
; WaveLimiterHint : 1
; COMPUTE_PGM_RSRC2:SCRATCH_EN: 0
; COMPUTE_PGM_RSRC2:USER_SGPR: 2
; COMPUTE_PGM_RSRC2:TRAP_HANDLER: 0
; COMPUTE_PGM_RSRC2:TGID_X_EN: 1
; COMPUTE_PGM_RSRC2:TGID_Y_EN: 0
; COMPUTE_PGM_RSRC2:TGID_Z_EN: 0
; COMPUTE_PGM_RSRC2:TIDIG_COMP_CNT: 0
	.section	.text._ZN9rocsparseL18bsrxmvn_3x3_kernelILj256ELj32E21rocsparse_complex_numIdEllS1_IfES2_S2_EEvT3_20rocsparse_direction_NS_24const_host_device_scalarIT1_EES4_PKS4_PKT2_SD_SA_PKT4_PKT5_S8_PT6_21rocsparse_index_base_b,"axG",@progbits,_ZN9rocsparseL18bsrxmvn_3x3_kernelILj256ELj32E21rocsparse_complex_numIdEllS1_IfES2_S2_EEvT3_20rocsparse_direction_NS_24const_host_device_scalarIT1_EES4_PKS4_PKT2_SD_SA_PKT4_PKT5_S8_PT6_21rocsparse_index_base_b,comdat
	.globl	_ZN9rocsparseL18bsrxmvn_3x3_kernelILj256ELj32E21rocsparse_complex_numIdEllS1_IfES2_S2_EEvT3_20rocsparse_direction_NS_24const_host_device_scalarIT1_EES4_PKS4_PKT2_SD_SA_PKT4_PKT5_S8_PT6_21rocsparse_index_base_b ; -- Begin function _ZN9rocsparseL18bsrxmvn_3x3_kernelILj256ELj32E21rocsparse_complex_numIdEllS1_IfES2_S2_EEvT3_20rocsparse_direction_NS_24const_host_device_scalarIT1_EES4_PKS4_PKT2_SD_SA_PKT4_PKT5_S8_PT6_21rocsparse_index_base_b
	.p2align	8
	.type	_ZN9rocsparseL18bsrxmvn_3x3_kernelILj256ELj32E21rocsparse_complex_numIdEllS1_IfES2_S2_EEvT3_20rocsparse_direction_NS_24const_host_device_scalarIT1_EES4_PKS4_PKT2_SD_SA_PKT4_PKT5_S8_PT6_21rocsparse_index_base_b,@function
_ZN9rocsparseL18bsrxmvn_3x3_kernelILj256ELj32E21rocsparse_complex_numIdEllS1_IfES2_S2_EEvT3_20rocsparse_direction_NS_24const_host_device_scalarIT1_EES4_PKS4_PKT2_SD_SA_PKT4_PKT5_S8_PT6_21rocsparse_index_base_b: ; @_ZN9rocsparseL18bsrxmvn_3x3_kernelILj256ELj32E21rocsparse_complex_numIdEllS1_IfES2_S2_EEvT3_20rocsparse_direction_NS_24const_host_device_scalarIT1_EES4_PKS4_PKT2_SD_SA_PKT4_PKT5_S8_PT6_21rocsparse_index_base_b
; %bb.0:
	s_clause 0x1
	s_load_b64 s[4:5], s[0:1], 0x70
	s_load_b64 s[2:3], s[0:1], 0x10
	s_add_nc_u64 s[6:7], s[0:1], 16
	s_load_b64 s[8:9], s[0:1], 0x58
	s_wait_kmcnt 0x0
	s_bitcmp1_b32 s5, 0
	s_cselect_b32 s2, s6, s2
	s_cselect_b32 s3, s7, s3
	s_delay_alu instid0(SALU_CYCLE_1)
	v_dual_mov_b32 v1, s2 :: v_dual_mov_b32 v2, s3
	s_add_nc_u64 s[2:3], s[0:1], 0x58
	s_wait_alu 0xfffe
	s_cselect_b32 s2, s2, s8
	s_cselect_b32 s3, s3, s9
	flat_load_b128 v[5:8], v[1:2]
	s_wait_alu 0xfffe
	v_dual_mov_b32 v1, s2 :: v_dual_mov_b32 v2, s3
	flat_load_b128 v[1:4], v[1:2]
	s_wait_loadcnt_dscnt 0x101
	v_cmp_eq_f64_e32 vcc_lo, 0, v[5:6]
	v_cmp_eq_f64_e64 s2, 0, v[7:8]
	s_and_b32 s5, vcc_lo, s2
	s_mov_b32 s2, -1
	s_and_saveexec_b32 s3, s5
	s_cbranch_execz .LBB178_2
; %bb.1:
	s_wait_loadcnt_dscnt 0x0
	v_cmp_neq_f64_e32 vcc_lo, 1.0, v[1:2]
	v_cmp_neq_f64_e64 s2, 0, v[3:4]
	s_wait_alu 0xfffe
	s_or_b32 s2, vcc_lo, s2
	s_wait_alu 0xfffe
	s_or_not1_b32 s2, s2, exec_lo
.LBB178_2:
	s_wait_alu 0xfffe
	s_or_b32 exec_lo, exec_lo, s3
	s_and_saveexec_b32 s3, s2
	s_cbranch_execz .LBB178_8
; %bb.3:
	s_load_b64 s[2:3], s[0:1], 0x28
	v_lshrrev_b32_e32 v9, 5, v0
	v_mov_b32_e32 v12, 0
	s_delay_alu instid0(VALU_DEP_2)
	v_lshl_or_b32 v11, ttmp9, 3, v9
	s_wait_kmcnt 0x0
	s_cmp_lg_u64 s[2:3], 0
	s_cbranch_scc0 .LBB178_9
; %bb.4:
	s_load_b64 s[6:7], s[0:1], 0x20
                                        ; implicit-def: $vgpr17_vgpr18
                                        ; implicit-def: $vgpr9_vgpr10
	s_wait_kmcnt 0x0
	v_cmp_gt_i64_e32 vcc_lo, s[6:7], v[11:12]
	s_mov_b32 s7, 0
	s_mov_b32 s6, 0
	s_and_saveexec_b32 s5, vcc_lo
	s_delay_alu instid0(SALU_CYCLE_1)
	s_xor_b32 s8, exec_lo, s5
	s_cbranch_execz .LBB178_6
; %bb.5:
	v_lshlrev_b64_e32 v[9:10], 3, v[11:12]
	s_mov_b32 s5, 0
	s_mov_b32 s6, exec_lo
	s_delay_alu instid0(VALU_DEP_1) | instskip(NEXT) | instid1(VALU_DEP_1)
	v_add_co_u32 v9, vcc_lo, s2, v9
	v_add_co_ci_u32_e64 v10, null, s3, v10, vcc_lo
	global_load_b64 v[9:10], v[9:10], off
	s_wait_loadcnt 0x0
	v_sub_co_u32 v17, vcc_lo, v9, s4
	s_wait_alu 0xfffd
	v_subrev_co_ci_u32_e64 v18, null, 0, v10, vcc_lo
	v_dual_mov_b32 v10, s5 :: v_dual_mov_b32 v9, s4
.LBB178_6:
	s_or_b32 exec_lo, exec_lo, s8
	s_wait_alu 0xfffe
	s_and_b32 vcc_lo, exec_lo, s7
	s_wait_alu 0xfffe
	s_cbranch_vccnz .LBB178_10
.LBB178_7:
	s_and_b32 exec_lo, exec_lo, s6
	s_cbranch_execnz .LBB178_13
.LBB178_8:
	s_endpgm
.LBB178_9:
	s_mov_b32 s6, 0
                                        ; implicit-def: $vgpr17_vgpr18
                                        ; implicit-def: $vgpr9_vgpr10
	s_cbranch_execz .LBB178_7
.LBB178_10:
	s_load_b64 s[2:3], s[0:1], 0x0
	s_wait_kmcnt 0x0
	v_cmp_gt_i64_e32 vcc_lo, s[2:3], v[11:12]
	s_and_saveexec_b32 s2, vcc_lo
; %bb.11:
	s_mov_b32 s5, 0
	s_or_b32 s6, s6, exec_lo
; %bb.12:
	s_wait_alu 0xfffe
	s_or_b32 exec_lo, exec_lo, s2
	v_dual_mov_b32 v10, s5 :: v_dual_mov_b32 v9, s4
	v_dual_mov_b32 v18, v12 :: v_dual_mov_b32 v17, v11
	s_and_b32 exec_lo, exec_lo, s6
	s_cbranch_execz .LBB178_8
.LBB178_13:
	s_load_b256 s[4:11], s[0:1], 0x30
	s_delay_alu instid0(VALU_DEP_1) | instskip(SKIP_2) | instid1(VALU_DEP_2)
	v_lshlrev_b64_e32 v[11:12], 3, v[17:18]
	v_and_b32_e32 v0, 31, v0
	s_wait_kmcnt 0x0
	v_add_co_u32 v13, vcc_lo, s4, v11
	s_wait_alu 0xfffd
	s_delay_alu instid0(VALU_DEP_3)
	v_add_co_ci_u32_e64 v14, null, s5, v12, vcc_lo
	v_add_co_u32 v11, vcc_lo, s6, v11
	s_wait_alu 0xfffd
	v_add_co_ci_u32_e64 v12, null, s7, v12, vcc_lo
	global_load_b64 v[15:16], v[13:14], off
	v_add_co_u32 v13, vcc_lo, v13, 8
	s_wait_alu 0xfffd
	v_add_co_ci_u32_e64 v14, null, 0, v14, vcc_lo
	s_cmp_eq_u64 s[6:7], 0
	s_cselect_b32 vcc_lo, -1, 0
	s_wait_alu 0xfffe
	v_dual_cndmask_b32 v12, v12, v14 :: v_dual_cndmask_b32 v11, v11, v13
	global_load_b64 v[11:12], v[11:12], off
	s_clause 0x1
	s_load_b32 s3, s[0:1], 0x8
	s_load_b64 s[4:5], s[0:1], 0x50
	s_wait_kmcnt 0x0
	s_cmp_eq_u32 s3, 1
	s_wait_loadcnt 0x1
	v_sub_co_u32 v13, vcc_lo, v15, v9
	s_wait_alu 0xfffd
	v_sub_co_ci_u32_e64 v14, null, v16, v10, vcc_lo
	s_delay_alu instid0(VALU_DEP_2) | instskip(SKIP_1) | instid1(VALU_DEP_2)
	v_add_co_u32 v25, vcc_lo, v13, v0
	s_wait_alu 0xfffd
	v_add_co_ci_u32_e64 v26, null, 0, v14, vcc_lo
	s_delay_alu instid0(VALU_DEP_2) | instskip(SKIP_4) | instid1(VALU_DEP_3)
	v_mad_co_u64_u32 v[27:28], null, 0x48, v25, s[10:11]
	s_wait_loadcnt 0x0
	v_sub_co_u32 v29, vcc_lo, v11, v9
	s_wait_alu 0xfffd
	v_sub_co_ci_u32_e64 v30, null, v12, v10, vcc_lo
	v_mov_b32_e32 v13, v28
	s_delay_alu instid0(VALU_DEP_2) | instskip(NEXT) | instid1(VALU_DEP_2)
	v_cmp_lt_i64_e64 s2, v[25:26], v[29:30]
	v_mad_co_u64_u32 v[13:14], null, 0x48, v26, v[13:14]
	s_delay_alu instid0(VALU_DEP_1)
	v_mov_b32_e32 v28, v13
	s_cbranch_scc1 .LBB178_19
; %bb.14:
	v_mov_b32_e32 v11, 0
	v_mov_b32_e32 v15, 0
	v_dual_mov_b32 v21, 0 :: v_dual_mov_b32 v12, 0
	v_dual_mov_b32 v13, 0 :: v_dual_mov_b32 v16, 0
	;; [unrolled: 1-line block ×4, first 2 shown]
	v_mov_b32_e32 v20, 0
	v_mov_b32_e32 v24, 0
	s_and_saveexec_b32 s6, s2
	s_cbranch_execz .LBB178_18
; %bb.15:
	v_lshlrev_b64_e32 v[13:14], 3, v[25:26]
	v_mov_b32_e32 v19, 0
	v_dual_mov_b32 v11, 0 :: v_dual_mov_b32 v32, v26
	v_dual_mov_b32 v20, 0 :: v_dual_mov_b32 v21, 0
	s_delay_alu instid0(VALU_DEP_4)
	v_add_co_u32 v33, vcc_lo, s8, v13
	s_wait_alu 0xfffd
	v_add_co_ci_u32_e64 v34, null, s9, v14, vcc_lo
	v_mov_b32_e32 v13, 0
	v_dual_mov_b32 v14, 0 :: v_dual_mov_b32 v15, 0
	v_dual_mov_b32 v23, 0 :: v_dual_mov_b32 v36, v28
	;; [unrolled: 1-line block ×3, first 2 shown]
	v_mov_b32_e32 v16, 0
	v_mov_b32_e32 v22, 0
	v_dual_mov_b32 v24, 0 :: v_dual_mov_b32 v35, v27
	s_mov_b32 s7, 0
.LBB178_16:                             ; =>This Inner Loop Header: Depth=1
	global_load_b64 v[49:50], v[33:34], off
	s_clause 0x2
	global_load_b128 v[37:40], v[35:36], off
	global_load_b128 v[41:44], v[35:36], off offset:16
	global_load_b128 v[45:48], v[35:36], off offset:48
	v_add_co_u32 v33, s3, 0x100, v33
	s_wait_alu 0xf1ff
	v_add_co_ci_u32_e64 v34, null, 0, v34, s3
	s_wait_loadcnt 0x3
	v_sub_co_u32 v49, vcc_lo, v49, v9
	s_wait_alu 0xfffd
	v_sub_co_ci_u32_e64 v50, null, v50, v10, vcc_lo
	s_wait_loadcnt 0x2
	v_cvt_f64_f32_e32 v[67:68], v37
	v_mad_co_u64_u32 v[61:62], null, v49, 48, s[4:5]
	v_cvt_f64_f32_e32 v[37:38], v38
	s_wait_loadcnt 0x1
	v_cvt_f64_f32_e32 v[69:70], v43
	v_cvt_f64_f32_e32 v[43:44], v44
	s_wait_loadcnt 0x0
	v_cvt_f64_f32_e32 v[71:72], v45
	v_cvt_f64_f32_e32 v[45:46], v46
	;; [unrolled: 1-line block ×3, first 2 shown]
	v_mov_b32_e32 v49, v62
	v_cvt_f64_f32_e32 v[47:48], v48
	v_add_co_u32 v31, vcc_lo, v31, 32
	s_wait_alu 0xfffd
	v_add_co_ci_u32_e64 v32, null, 0, v32, vcc_lo
	v_mad_co_u64_u32 v[49:50], null, v50, 48, v[49:50]
	s_delay_alu instid0(VALU_DEP_1)
	v_mov_b32_e32 v62, v49
	s_clause 0x1
	global_load_b128 v[49:52], v[61:62], off
	global_load_b128 v[53:56], v[61:62], off offset:16
	s_clause 0x1
	global_load_b128 v[57:60], v[35:36], off offset:32
	global_load_b64 v[65:66], v[35:36], off offset:64
	global_load_b128 v[61:64], v[61:62], off offset:32
	v_add_co_u32 v35, vcc_lo, 0x900, v35
	s_wait_alu 0xfffd
	v_add_co_ci_u32_e64 v36, null, 0, v36, vcc_lo
	v_cmp_ge_i64_e32 vcc_lo, v[31:32], v[29:30]
	s_wait_alu 0xfffe
	s_or_b32 s7, vcc_lo, s7
	s_wait_loadcnt 0x4
	v_fma_f64 v[13:14], v[67:68], v[49:50], v[13:14]
	v_fma_f64 v[11:12], v[37:38], v[49:50], v[11:12]
	;; [unrolled: 1-line block ×6, first 2 shown]
	v_cvt_f64_f32_e32 v[49:50], v39
	v_cvt_f64_f32_e32 v[39:40], v40
	s_wait_loadcnt 0x2
	v_cvt_f64_f32_e32 v[73:74], v57
	v_cvt_f64_f32_e32 v[57:58], v58
	v_fma_f64 v[13:14], -v[37:38], v[51:52], v[13:14]
	v_fma_f64 v[11:12], v[67:68], v[51:52], v[11:12]
	v_fma_f64 v[19:20], -v[43:44], v[51:52], v[19:20]
	v_fma_f64 v[15:16], v[69:70], v[51:52], v[15:16]
	;; [unrolled: 2-line block ×3, first 2 shown]
	v_cvt_f64_f32_e32 v[37:38], v41
	v_cvt_f64_f32_e32 v[41:42], v42
	;; [unrolled: 1-line block ×4, first 2 shown]
	s_wait_loadcnt 0x1
	v_cvt_f64_f32_e32 v[51:52], v65
	v_fma_f64 v[13:14], v[49:50], v[53:54], v[13:14]
	v_fma_f64 v[11:12], v[39:40], v[53:54], v[11:12]
	;; [unrolled: 1-line block ×6, first 2 shown]
	v_cvt_f64_f32_e32 v[53:54], v66
	v_fma_f64 v[13:14], -v[39:40], v[55:56], v[13:14]
	v_fma_f64 v[11:12], v[49:50], v[55:56], v[11:12]
	v_fma_f64 v[19:20], -v[57:58], v[55:56], v[19:20]
	v_fma_f64 v[15:16], v[73:74], v[55:56], v[15:16]
	;; [unrolled: 2-line block ×3, first 2 shown]
	s_wait_loadcnt 0x0
	v_fma_f64 v[13:14], v[37:38], v[61:62], v[13:14]
	v_fma_f64 v[11:12], v[41:42], v[61:62], v[11:12]
	v_fma_f64 v[19:20], v[43:44], v[61:62], v[19:20]
	v_fma_f64 v[15:16], v[45:46], v[61:62], v[15:16]
	v_fma_f64 v[23:24], v[51:52], v[61:62], v[23:24]
	v_fma_f64 v[21:22], v[53:54], v[61:62], v[21:22]
	v_fma_f64 v[13:14], -v[41:42], v[63:64], v[13:14]
	v_fma_f64 v[11:12], v[37:38], v[63:64], v[11:12]
	v_fma_f64 v[19:20], -v[45:46], v[63:64], v[19:20]
	v_fma_f64 v[15:16], v[43:44], v[63:64], v[15:16]
	;; [unrolled: 2-line block ×3, first 2 shown]
	s_wait_alu 0xfffe
	s_and_not1_b32 exec_lo, exec_lo, s7
	s_cbranch_execnz .LBB178_16
; %bb.17:
	s_or_b32 exec_lo, exec_lo, s7
.LBB178_18:
	s_wait_alu 0xfffe
	s_or_b32 exec_lo, exec_lo, s6
	s_cbranch_execz .LBB178_20
	s_branch .LBB178_25
.LBB178_19:
                                        ; implicit-def: $vgpr11_vgpr12
                                        ; implicit-def: $vgpr13_vgpr14
                                        ; implicit-def: $vgpr15_vgpr16
                                        ; implicit-def: $vgpr19_vgpr20
                                        ; implicit-def: $vgpr21_vgpr22
                                        ; implicit-def: $vgpr23_vgpr24
.LBB178_20:
	v_mov_b32_e32 v11, 0
	v_mov_b32_e32 v15, 0
	v_dual_mov_b32 v21, 0 :: v_dual_mov_b32 v12, 0
	v_dual_mov_b32 v13, 0 :: v_dual_mov_b32 v16, 0
	;; [unrolled: 1-line block ×4, first 2 shown]
	v_mov_b32_e32 v20, 0
	v_mov_b32_e32 v24, 0
	s_and_saveexec_b32 s3, s2
	s_cbranch_execz .LBB178_24
; %bb.21:
	v_lshlrev_b64_e32 v[31:32], 3, v[25:26]
	v_mov_b32_e32 v11, 0
	v_mov_b32_e32 v15, 0
	v_dual_mov_b32 v21, 0 :: v_dual_mov_b32 v12, 0
	v_mov_b32_e32 v13, 0
	v_add_co_u32 v31, vcc_lo, s8, v31
	v_dual_mov_b32 v16, 0 :: v_dual_mov_b32 v19, 0
	v_dual_mov_b32 v22, 0 :: v_dual_mov_b32 v23, 0
	v_mov_b32_e32 v14, 0
	v_mov_b32_e32 v20, 0
	;; [unrolled: 1-line block ×3, first 2 shown]
	s_wait_alu 0xfffd
	v_add_co_ci_u32_e64 v32, null, s9, v32, vcc_lo
	s_mov_b32 s6, 0
.LBB178_22:                             ; =>This Inner Loop Header: Depth=1
	global_load_b64 v[41:42], v[31:32], off
	s_clause 0x1
	global_load_b128 v[33:36], v[27:28], off
	global_load_b128 v[37:40], v[27:28], off offset:16
	v_add_co_u32 v31, s2, 0x100, v31
	s_wait_alu 0xf1ff
	v_add_co_ci_u32_e64 v32, null, 0, v32, s2
	s_wait_loadcnt 0x2
	v_sub_co_u32 v41, vcc_lo, v41, v9
	s_wait_alu 0xfffd
	v_sub_co_ci_u32_e64 v42, null, v42, v10, vcc_lo
	s_wait_loadcnt 0x1
	v_cvt_f64_f32_e32 v[63:64], v33
	v_mad_co_u64_u32 v[57:58], null, v41, 48, s[4:5]
	v_cvt_f64_f32_e32 v[33:34], v34
	v_cvt_f64_f32_e32 v[65:66], v35
	;; [unrolled: 1-line block ×3, first 2 shown]
	s_wait_loadcnt 0x0
	v_cvt_f64_f32_e32 v[67:68], v37
	v_cvt_f64_f32_e32 v[37:38], v38
	v_add_co_u32 v25, vcc_lo, v25, 32
	v_mov_b32_e32 v41, v58
	s_wait_alu 0xfffd
	v_add_co_ci_u32_e64 v26, null, 0, v26, vcc_lo
	s_delay_alu instid0(VALU_DEP_2) | instskip(NEXT) | instid1(VALU_DEP_1)
	v_mad_co_u64_u32 v[41:42], null, v42, 48, v[41:42]
	v_mov_b32_e32 v58, v41
	s_clause 0x1
	global_load_b128 v[41:44], v[57:58], off
	global_load_b128 v[45:48], v[57:58], off offset:16
	s_clause 0x2
	global_load_b128 v[49:52], v[27:28], off offset:32
	global_load_b128 v[53:56], v[27:28], off offset:48
	global_load_b64 v[61:62], v[27:28], off offset:64
	global_load_b128 v[57:60], v[57:58], off offset:32
	v_add_co_u32 v27, vcc_lo, 0x900, v27
	s_wait_alu 0xfffd
	v_add_co_ci_u32_e64 v28, null, 0, v28, vcc_lo
	v_cmp_ge_i64_e32 vcc_lo, v[25:26], v[29:30]
	s_wait_alu 0xfffe
	s_or_b32 s6, vcc_lo, s6
	s_wait_loadcnt 0x5
	v_fma_f64 v[13:14], v[63:64], v[41:42], v[13:14]
	v_fma_f64 v[11:12], v[33:34], v[41:42], v[11:12]
	;; [unrolled: 1-line block ×6, first 2 shown]
	v_cvt_f64_f32_e32 v[41:42], v39
	v_cvt_f64_f32_e32 v[39:40], v40
	s_wait_loadcnt 0x3
	v_cvt_f64_f32_e32 v[69:70], v49
	v_cvt_f64_f32_e32 v[49:50], v50
	;; [unrolled: 1-line block ×4, first 2 shown]
	v_fma_f64 v[13:14], -v[33:34], v[43:44], v[13:14]
	v_fma_f64 v[11:12], v[63:64], v[43:44], v[11:12]
	v_fma_f64 v[19:20], -v[35:36], v[43:44], v[19:20]
	v_fma_f64 v[15:16], v[65:66], v[43:44], v[15:16]
	;; [unrolled: 2-line block ×3, first 2 shown]
	s_wait_loadcnt 0x2
	v_cvt_f64_f32_e32 v[33:34], v53
	v_cvt_f64_f32_e32 v[35:36], v54
	;; [unrolled: 1-line block ×4, first 2 shown]
	s_wait_loadcnt 0x1
	v_cvt_f64_f32_e32 v[53:54], v62
	v_fma_f64 v[13:14], v[41:42], v[45:46], v[13:14]
	v_fma_f64 v[11:12], v[39:40], v[45:46], v[11:12]
	v_fma_f64 v[19:20], v[69:70], v[45:46], v[19:20]
	v_fma_f64 v[15:16], v[49:50], v[45:46], v[15:16]
	v_fma_f64 v[23:24], v[71:72], v[45:46], v[23:24]
	v_fma_f64 v[21:22], v[51:52], v[45:46], v[21:22]
	v_cvt_f64_f32_e32 v[45:46], v61
	v_fma_f64 v[13:14], -v[39:40], v[47:48], v[13:14]
	v_fma_f64 v[11:12], v[41:42], v[47:48], v[11:12]
	v_fma_f64 v[19:20], -v[49:50], v[47:48], v[19:20]
	v_fma_f64 v[15:16], v[69:70], v[47:48], v[15:16]
	;; [unrolled: 2-line block ×3, first 2 shown]
	s_wait_loadcnt 0x0
	v_fma_f64 v[13:14], v[33:34], v[57:58], v[13:14]
	v_fma_f64 v[11:12], v[35:36], v[57:58], v[11:12]
	;; [unrolled: 1-line block ×6, first 2 shown]
	v_fma_f64 v[13:14], -v[35:36], v[59:60], v[13:14]
	v_fma_f64 v[11:12], v[33:34], v[59:60], v[11:12]
	v_fma_f64 v[19:20], -v[43:44], v[59:60], v[19:20]
	v_fma_f64 v[15:16], v[37:38], v[59:60], v[15:16]
	;; [unrolled: 2-line block ×3, first 2 shown]
	s_wait_alu 0xfffe
	s_and_not1_b32 exec_lo, exec_lo, s6
	s_cbranch_execnz .LBB178_22
; %bb.23:
	s_or_b32 exec_lo, exec_lo, s6
.LBB178_24:
	s_wait_alu 0xfffe
	s_or_b32 exec_lo, exec_lo, s3
.LBB178_25:
	v_mbcnt_lo_u32_b32 v35, -1, 0
	s_delay_alu instid0(VALU_DEP_1) | instskip(NEXT) | instid1(VALU_DEP_1)
	v_xor_b32_e32 v9, 16, v35
	v_cmp_gt_i32_e32 vcc_lo, 32, v9
	s_wait_alu 0xfffd
	v_cndmask_b32_e32 v9, v35, v9, vcc_lo
	s_delay_alu instid0(VALU_DEP_1)
	v_lshlrev_b32_e32 v34, 2, v9
	ds_bpermute_b32 v9, v34, v13
	ds_bpermute_b32 v10, v34, v14
	ds_bpermute_b32 v27, v34, v19
	ds_bpermute_b32 v28, v34, v20
	ds_bpermute_b32 v31, v34, v23
	ds_bpermute_b32 v32, v34, v24
	s_wait_dscnt 0x4
	v_add_f64_e32 v[9:10], v[13:14], v[9:10]
	s_wait_dscnt 0x2
	v_add_f64_e32 v[13:14], v[19:20], v[27:28]
	;; [unrolled: 2-line block ×3, first 2 shown]
	v_xor_b32_e32 v23, 8, v35
	s_delay_alu instid0(VALU_DEP_1)
	v_cmp_gt_i32_e32 vcc_lo, 32, v23
	s_wait_alu 0xfffd
	v_cndmask_b32_e32 v23, v35, v23, vcc_lo
	ds_bpermute_b32 v25, v34, v11
	ds_bpermute_b32 v26, v34, v12
	;; [unrolled: 1-line block ×6, first 2 shown]
	s_wait_dscnt 0x4
	v_add_f64_e32 v[11:12], v[11:12], v[25:26]
	s_wait_dscnt 0x2
	v_add_f64_e32 v[15:16], v[15:16], v[29:30]
	;; [unrolled: 2-line block ×3, first 2 shown]
	v_lshlrev_b32_e32 v34, 2, v23
	ds_bpermute_b32 v23, v34, v9
	ds_bpermute_b32 v24, v34, v10
	;; [unrolled: 1-line block ×6, first 2 shown]
	s_wait_dscnt 0x4
	v_add_f64_e32 v[9:10], v[9:10], v[23:24]
	v_xor_b32_e32 v23, 4, v35
	s_wait_dscnt 0x2
	v_add_f64_e32 v[13:14], v[13:14], v[27:28]
	s_wait_dscnt 0x0
	v_add_f64_e32 v[19:20], v[19:20], v[31:32]
	v_cmp_gt_i32_e32 vcc_lo, 32, v23
	ds_bpermute_b32 v25, v34, v11
	ds_bpermute_b32 v26, v34, v12
	ds_bpermute_b32 v29, v34, v15
	ds_bpermute_b32 v30, v34, v16
	ds_bpermute_b32 v33, v34, v21
	ds_bpermute_b32 v34, v34, v22
	s_wait_alu 0xfffd
	v_cndmask_b32_e32 v23, v35, v23, vcc_lo
	s_wait_dscnt 0x4
	v_add_f64_e32 v[11:12], v[11:12], v[25:26]
	s_wait_dscnt 0x2
	v_add_f64_e32 v[15:16], v[15:16], v[29:30]
	;; [unrolled: 2-line block ×3, first 2 shown]
	v_lshlrev_b32_e32 v34, 2, v23
	ds_bpermute_b32 v23, v34, v9
	ds_bpermute_b32 v24, v34, v10
	ds_bpermute_b32 v27, v34, v13
	ds_bpermute_b32 v28, v34, v14
	ds_bpermute_b32 v31, v34, v19
	ds_bpermute_b32 v32, v34, v20
	s_wait_dscnt 0x4
	v_add_f64_e32 v[9:10], v[9:10], v[23:24]
	s_wait_dscnt 0x2
	v_add_f64_e32 v[13:14], v[13:14], v[27:28]
	ds_bpermute_b32 v25, v34, v11
	ds_bpermute_b32 v26, v34, v12
	;; [unrolled: 1-line block ×6, first 2 shown]
	s_wait_dscnt 0x4
	v_add_f64_e32 v[11:12], v[11:12], v[25:26]
	v_add_f64_e32 v[25:26], v[19:20], v[31:32]
	s_wait_dscnt 0x2
	v_add_f64_e32 v[15:16], v[15:16], v[29:30]
	v_xor_b32_e32 v19, 2, v35
	s_wait_dscnt 0x0
	v_add_f64_e32 v[21:22], v[21:22], v[33:34]
	s_delay_alu instid0(VALU_DEP_2) | instskip(SKIP_2) | instid1(VALU_DEP_1)
	v_cmp_gt_i32_e32 vcc_lo, 32, v19
	s_wait_alu 0xfffd
	v_cndmask_b32_e32 v19, v35, v19, vcc_lo
	v_lshlrev_b32_e32 v34, 2, v19
	ds_bpermute_b32 v19, v34, v9
	ds_bpermute_b32 v20, v34, v10
	;; [unrolled: 1-line block ×12, first 2 shown]
	s_wait_dscnt 0xa
	v_add_f64_e32 v[9:10], v[9:10], v[19:20]
	s_wait_dscnt 0x6
	v_add_f64_e32 v[23:24], v[11:12], v[23:24]
	v_add_f64_e32 v[11:12], v[13:14], v[27:28]
	s_wait_dscnt 0x4
	v_add_f64_e32 v[19:20], v[15:16], v[29:30]
	s_wait_dscnt 0x2
	;; [unrolled: 2-line block ×3, first 2 shown]
	v_add_f64_e32 v[15:16], v[21:22], v[33:34]
	v_xor_b32_e32 v21, 1, v35
	s_delay_alu instid0(VALU_DEP_1) | instskip(SKIP_3) | instid1(VALU_DEP_2)
	v_cmp_gt_i32_e32 vcc_lo, 32, v21
	s_wait_alu 0xfffd
	v_cndmask_b32_e32 v21, v35, v21, vcc_lo
	v_cmp_eq_u32_e32 vcc_lo, 31, v0
	v_lshlrev_b32_e32 v30, 2, v21
	ds_bpermute_b32 v21, v30, v9
	ds_bpermute_b32 v22, v30, v10
	;; [unrolled: 1-line block ×12, first 2 shown]
	s_and_b32 exec_lo, exec_lo, vcc_lo
	s_cbranch_execz .LBB178_8
; %bb.26:
	s_wait_dscnt 0x8
	v_add_f64_e32 v[23:24], v[23:24], v[33:34]
	s_wait_dscnt 0x4
	v_add_f64_e32 v[19:20], v[19:20], v[31:32]
	;; [unrolled: 2-line block ×3, first 2 shown]
	v_add_f64_e32 v[9:10], v[9:10], v[21:22]
	v_add_f64_e32 v[11:12], v[11:12], v[25:26]
	;; [unrolled: 1-line block ×3, first 2 shown]
	v_cmp_eq_f64_e32 vcc_lo, 0, v[1:2]
	v_cmp_eq_f64_e64 s2, 0, v[3:4]
	s_load_b64 s[0:1], s[0:1], 0x68
	v_mul_f64_e64 v[13:14], v[23:24], -v[7:8]
	v_mul_f64_e32 v[23:24], v[5:6], v[23:24]
	v_mul_f64_e64 v[25:26], v[19:20], -v[7:8]
	v_mul_f64_e32 v[19:20], v[5:6], v[19:20]
	v_mul_f64_e64 v[27:28], v[15:16], -v[7:8]
	v_mul_f64_e32 v[29:30], v[5:6], v[15:16]
	s_and_b32 s2, vcc_lo, s2
	v_fma_f64 v[13:14], v[5:6], v[9:10], v[13:14]
	v_fma_f64 v[15:16], v[7:8], v[9:10], v[23:24]
	;; [unrolled: 1-line block ×6, first 2 shown]
	s_wait_alu 0xfffe
	s_and_saveexec_b32 s3, s2
	s_wait_alu 0xfffe
	s_xor_b32 s2, exec_lo, s3
	s_cbranch_execz .LBB178_28
; %bb.27:
	s_wait_kmcnt 0x0
	v_mad_co_u64_u32 v[0:1], null, v17, 48, s[0:1]
	s_delay_alu instid0(VALU_DEP_1)
	v_mad_co_u64_u32 v[1:2], null, v18, 48, v[1:2]
                                        ; implicit-def: $vgpr17_vgpr18
	s_clause 0x2
	global_store_b128 v[0:1], v[13:16], off
	global_store_b128 v[0:1], v[9:12], off offset:16
	global_store_b128 v[0:1], v[5:8], off offset:32
                                        ; implicit-def: $vgpr3_vgpr4
                                        ; implicit-def: $vgpr13_vgpr14
                                        ; implicit-def: $vgpr9_vgpr10
                                        ; implicit-def: $vgpr5_vgpr6
.LBB178_28:
	s_wait_alu 0xfffe
	s_and_not1_saveexec_b32 s2, s2
	s_cbranch_execz .LBB178_8
; %bb.29:
	s_wait_kmcnt 0x0
	v_mad_co_u64_u32 v[29:30], null, v17, 48, s[0:1]
	s_delay_alu instid0(VALU_DEP_1) | instskip(NEXT) | instid1(VALU_DEP_1)
	v_mov_b32_e32 v0, v30
	v_mad_co_u64_u32 v[17:18], null, v18, 48, v[0:1]
	s_delay_alu instid0(VALU_DEP_1)
	v_mov_b32_e32 v30, v17
	s_clause 0x2
	global_load_b128 v[17:20], v[29:30], off
	global_load_b128 v[21:24], v[29:30], off offset:16
	global_load_b128 v[25:28], v[29:30], off offset:32
	s_wait_loadcnt 0x2
	v_fma_f64 v[13:14], v[1:2], v[17:18], v[13:14]
	v_fma_f64 v[15:16], v[3:4], v[17:18], v[15:16]
	s_wait_loadcnt 0x1
	v_fma_f64 v[9:10], v[1:2], v[21:22], v[9:10]
	v_fma_f64 v[11:12], v[3:4], v[21:22], v[11:12]
	;; [unrolled: 3-line block ×3, first 2 shown]
	v_fma_f64 v[5:6], -v[3:4], v[19:20], v[13:14]
	v_fma_f64 v[7:8], v[1:2], v[19:20], v[15:16]
	v_fma_f64 v[9:10], -v[3:4], v[23:24], v[9:10]
	v_fma_f64 v[11:12], v[1:2], v[23:24], v[11:12]
	;; [unrolled: 2-line block ×3, first 2 shown]
	s_clause 0x2
	global_store_b128 v[29:30], v[5:8], off
	global_store_b128 v[29:30], v[9:12], off offset:16
	global_store_b128 v[29:30], v[13:16], off offset:32
	s_endpgm
	.section	.rodata,"a",@progbits
	.p2align	6, 0x0
	.amdhsa_kernel _ZN9rocsparseL18bsrxmvn_3x3_kernelILj256ELj32E21rocsparse_complex_numIdEllS1_IfES2_S2_EEvT3_20rocsparse_direction_NS_24const_host_device_scalarIT1_EES4_PKS4_PKT2_SD_SA_PKT4_PKT5_S8_PT6_21rocsparse_index_base_b
		.amdhsa_group_segment_fixed_size 0
		.amdhsa_private_segment_fixed_size 0
		.amdhsa_kernarg_size 120
		.amdhsa_user_sgpr_count 2
		.amdhsa_user_sgpr_dispatch_ptr 0
		.amdhsa_user_sgpr_queue_ptr 0
		.amdhsa_user_sgpr_kernarg_segment_ptr 1
		.amdhsa_user_sgpr_dispatch_id 0
		.amdhsa_user_sgpr_private_segment_size 0
		.amdhsa_wavefront_size32 1
		.amdhsa_uses_dynamic_stack 0
		.amdhsa_enable_private_segment 0
		.amdhsa_system_sgpr_workgroup_id_x 1
		.amdhsa_system_sgpr_workgroup_id_y 0
		.amdhsa_system_sgpr_workgroup_id_z 0
		.amdhsa_system_sgpr_workgroup_info 0
		.amdhsa_system_vgpr_workitem_id 0
		.amdhsa_next_free_vgpr 77
		.amdhsa_next_free_sgpr 12
		.amdhsa_reserve_vcc 1
		.amdhsa_float_round_mode_32 0
		.amdhsa_float_round_mode_16_64 0
		.amdhsa_float_denorm_mode_32 3
		.amdhsa_float_denorm_mode_16_64 3
		.amdhsa_fp16_overflow 0
		.amdhsa_workgroup_processor_mode 1
		.amdhsa_memory_ordered 1
		.amdhsa_forward_progress 1
		.amdhsa_inst_pref_size 29
		.amdhsa_round_robin_scheduling 0
		.amdhsa_exception_fp_ieee_invalid_op 0
		.amdhsa_exception_fp_denorm_src 0
		.amdhsa_exception_fp_ieee_div_zero 0
		.amdhsa_exception_fp_ieee_overflow 0
		.amdhsa_exception_fp_ieee_underflow 0
		.amdhsa_exception_fp_ieee_inexact 0
		.amdhsa_exception_int_div_zero 0
	.end_amdhsa_kernel
	.section	.text._ZN9rocsparseL18bsrxmvn_3x3_kernelILj256ELj32E21rocsparse_complex_numIdEllS1_IfES2_S2_EEvT3_20rocsparse_direction_NS_24const_host_device_scalarIT1_EES4_PKS4_PKT2_SD_SA_PKT4_PKT5_S8_PT6_21rocsparse_index_base_b,"axG",@progbits,_ZN9rocsparseL18bsrxmvn_3x3_kernelILj256ELj32E21rocsparse_complex_numIdEllS1_IfES2_S2_EEvT3_20rocsparse_direction_NS_24const_host_device_scalarIT1_EES4_PKS4_PKT2_SD_SA_PKT4_PKT5_S8_PT6_21rocsparse_index_base_b,comdat
.Lfunc_end178:
	.size	_ZN9rocsparseL18bsrxmvn_3x3_kernelILj256ELj32E21rocsparse_complex_numIdEllS1_IfES2_S2_EEvT3_20rocsparse_direction_NS_24const_host_device_scalarIT1_EES4_PKS4_PKT2_SD_SA_PKT4_PKT5_S8_PT6_21rocsparse_index_base_b, .Lfunc_end178-_ZN9rocsparseL18bsrxmvn_3x3_kernelILj256ELj32E21rocsparse_complex_numIdEllS1_IfES2_S2_EEvT3_20rocsparse_direction_NS_24const_host_device_scalarIT1_EES4_PKS4_PKT2_SD_SA_PKT4_PKT5_S8_PT6_21rocsparse_index_base_b
                                        ; -- End function
	.set _ZN9rocsparseL18bsrxmvn_3x3_kernelILj256ELj32E21rocsparse_complex_numIdEllS1_IfES2_S2_EEvT3_20rocsparse_direction_NS_24const_host_device_scalarIT1_EES4_PKS4_PKT2_SD_SA_PKT4_PKT5_S8_PT6_21rocsparse_index_base_b.num_vgpr, 77
	.set _ZN9rocsparseL18bsrxmvn_3x3_kernelILj256ELj32E21rocsparse_complex_numIdEllS1_IfES2_S2_EEvT3_20rocsparse_direction_NS_24const_host_device_scalarIT1_EES4_PKS4_PKT2_SD_SA_PKT4_PKT5_S8_PT6_21rocsparse_index_base_b.num_agpr, 0
	.set _ZN9rocsparseL18bsrxmvn_3x3_kernelILj256ELj32E21rocsparse_complex_numIdEllS1_IfES2_S2_EEvT3_20rocsparse_direction_NS_24const_host_device_scalarIT1_EES4_PKS4_PKT2_SD_SA_PKT4_PKT5_S8_PT6_21rocsparse_index_base_b.numbered_sgpr, 12
	.set _ZN9rocsparseL18bsrxmvn_3x3_kernelILj256ELj32E21rocsparse_complex_numIdEllS1_IfES2_S2_EEvT3_20rocsparse_direction_NS_24const_host_device_scalarIT1_EES4_PKS4_PKT2_SD_SA_PKT4_PKT5_S8_PT6_21rocsparse_index_base_b.num_named_barrier, 0
	.set _ZN9rocsparseL18bsrxmvn_3x3_kernelILj256ELj32E21rocsparse_complex_numIdEllS1_IfES2_S2_EEvT3_20rocsparse_direction_NS_24const_host_device_scalarIT1_EES4_PKS4_PKT2_SD_SA_PKT4_PKT5_S8_PT6_21rocsparse_index_base_b.private_seg_size, 0
	.set _ZN9rocsparseL18bsrxmvn_3x3_kernelILj256ELj32E21rocsparse_complex_numIdEllS1_IfES2_S2_EEvT3_20rocsparse_direction_NS_24const_host_device_scalarIT1_EES4_PKS4_PKT2_SD_SA_PKT4_PKT5_S8_PT6_21rocsparse_index_base_b.uses_vcc, 1
	.set _ZN9rocsparseL18bsrxmvn_3x3_kernelILj256ELj32E21rocsparse_complex_numIdEllS1_IfES2_S2_EEvT3_20rocsparse_direction_NS_24const_host_device_scalarIT1_EES4_PKS4_PKT2_SD_SA_PKT4_PKT5_S8_PT6_21rocsparse_index_base_b.uses_flat_scratch, 0
	.set _ZN9rocsparseL18bsrxmvn_3x3_kernelILj256ELj32E21rocsparse_complex_numIdEllS1_IfES2_S2_EEvT3_20rocsparse_direction_NS_24const_host_device_scalarIT1_EES4_PKS4_PKT2_SD_SA_PKT4_PKT5_S8_PT6_21rocsparse_index_base_b.has_dyn_sized_stack, 0
	.set _ZN9rocsparseL18bsrxmvn_3x3_kernelILj256ELj32E21rocsparse_complex_numIdEllS1_IfES2_S2_EEvT3_20rocsparse_direction_NS_24const_host_device_scalarIT1_EES4_PKS4_PKT2_SD_SA_PKT4_PKT5_S8_PT6_21rocsparse_index_base_b.has_recursion, 0
	.set _ZN9rocsparseL18bsrxmvn_3x3_kernelILj256ELj32E21rocsparse_complex_numIdEllS1_IfES2_S2_EEvT3_20rocsparse_direction_NS_24const_host_device_scalarIT1_EES4_PKS4_PKT2_SD_SA_PKT4_PKT5_S8_PT6_21rocsparse_index_base_b.has_indirect_call, 0
	.section	.AMDGPU.csdata,"",@progbits
; Kernel info:
; codeLenInByte = 3632
; TotalNumSgprs: 14
; NumVgprs: 77
; ScratchSize: 0
; MemoryBound: 0
; FloatMode: 240
; IeeeMode: 1
; LDSByteSize: 0 bytes/workgroup (compile time only)
; SGPRBlocks: 0
; VGPRBlocks: 9
; NumSGPRsForWavesPerEU: 14
; NumVGPRsForWavesPerEU: 77
; Occupancy: 16
; WaveLimiterHint : 1
; COMPUTE_PGM_RSRC2:SCRATCH_EN: 0
; COMPUTE_PGM_RSRC2:USER_SGPR: 2
; COMPUTE_PGM_RSRC2:TRAP_HANDLER: 0
; COMPUTE_PGM_RSRC2:TGID_X_EN: 1
; COMPUTE_PGM_RSRC2:TGID_Y_EN: 0
; COMPUTE_PGM_RSRC2:TGID_Z_EN: 0
; COMPUTE_PGM_RSRC2:TIDIG_COMP_CNT: 0
	.section	.text._ZN9rocsparseL18bsrxmvn_3x3_kernelILj256ELj64E21rocsparse_complex_numIdEllS1_IfES2_S2_EEvT3_20rocsparse_direction_NS_24const_host_device_scalarIT1_EES4_PKS4_PKT2_SD_SA_PKT4_PKT5_S8_PT6_21rocsparse_index_base_b,"axG",@progbits,_ZN9rocsparseL18bsrxmvn_3x3_kernelILj256ELj64E21rocsparse_complex_numIdEllS1_IfES2_S2_EEvT3_20rocsparse_direction_NS_24const_host_device_scalarIT1_EES4_PKS4_PKT2_SD_SA_PKT4_PKT5_S8_PT6_21rocsparse_index_base_b,comdat
	.globl	_ZN9rocsparseL18bsrxmvn_3x3_kernelILj256ELj64E21rocsparse_complex_numIdEllS1_IfES2_S2_EEvT3_20rocsparse_direction_NS_24const_host_device_scalarIT1_EES4_PKS4_PKT2_SD_SA_PKT4_PKT5_S8_PT6_21rocsparse_index_base_b ; -- Begin function _ZN9rocsparseL18bsrxmvn_3x3_kernelILj256ELj64E21rocsparse_complex_numIdEllS1_IfES2_S2_EEvT3_20rocsparse_direction_NS_24const_host_device_scalarIT1_EES4_PKS4_PKT2_SD_SA_PKT4_PKT5_S8_PT6_21rocsparse_index_base_b
	.p2align	8
	.type	_ZN9rocsparseL18bsrxmvn_3x3_kernelILj256ELj64E21rocsparse_complex_numIdEllS1_IfES2_S2_EEvT3_20rocsparse_direction_NS_24const_host_device_scalarIT1_EES4_PKS4_PKT2_SD_SA_PKT4_PKT5_S8_PT6_21rocsparse_index_base_b,@function
_ZN9rocsparseL18bsrxmvn_3x3_kernelILj256ELj64E21rocsparse_complex_numIdEllS1_IfES2_S2_EEvT3_20rocsparse_direction_NS_24const_host_device_scalarIT1_EES4_PKS4_PKT2_SD_SA_PKT4_PKT5_S8_PT6_21rocsparse_index_base_b: ; @_ZN9rocsparseL18bsrxmvn_3x3_kernelILj256ELj64E21rocsparse_complex_numIdEllS1_IfES2_S2_EEvT3_20rocsparse_direction_NS_24const_host_device_scalarIT1_EES4_PKS4_PKT2_SD_SA_PKT4_PKT5_S8_PT6_21rocsparse_index_base_b
; %bb.0:
	s_clause 0x1
	s_load_b64 s[4:5], s[0:1], 0x70
	s_load_b64 s[2:3], s[0:1], 0x10
	s_add_nc_u64 s[6:7], s[0:1], 16
	s_load_b64 s[8:9], s[0:1], 0x58
	s_wait_kmcnt 0x0
	s_bitcmp1_b32 s5, 0
	s_cselect_b32 s2, s6, s2
	s_cselect_b32 s3, s7, s3
	s_delay_alu instid0(SALU_CYCLE_1)
	v_dual_mov_b32 v1, s2 :: v_dual_mov_b32 v2, s3
	s_add_nc_u64 s[2:3], s[0:1], 0x58
	s_wait_alu 0xfffe
	s_cselect_b32 s2, s2, s8
	s_cselect_b32 s3, s3, s9
	flat_load_b128 v[5:8], v[1:2]
	s_wait_alu 0xfffe
	v_dual_mov_b32 v1, s2 :: v_dual_mov_b32 v2, s3
	flat_load_b128 v[1:4], v[1:2]
	s_wait_loadcnt_dscnt 0x101
	v_cmp_eq_f64_e32 vcc_lo, 0, v[5:6]
	v_cmp_eq_f64_e64 s2, 0, v[7:8]
	s_and_b32 s5, vcc_lo, s2
	s_mov_b32 s2, -1
	s_and_saveexec_b32 s3, s5
	s_cbranch_execz .LBB179_2
; %bb.1:
	s_wait_loadcnt_dscnt 0x0
	v_cmp_neq_f64_e32 vcc_lo, 1.0, v[1:2]
	v_cmp_neq_f64_e64 s2, 0, v[3:4]
	s_wait_alu 0xfffe
	s_or_b32 s2, vcc_lo, s2
	s_wait_alu 0xfffe
	s_or_not1_b32 s2, s2, exec_lo
.LBB179_2:
	s_wait_alu 0xfffe
	s_or_b32 exec_lo, exec_lo, s3
	s_and_saveexec_b32 s3, s2
	s_cbranch_execz .LBB179_8
; %bb.3:
	s_load_b64 s[2:3], s[0:1], 0x28
	v_lshrrev_b32_e32 v9, 6, v0
	v_mov_b32_e32 v12, 0
	s_delay_alu instid0(VALU_DEP_2)
	v_lshl_or_b32 v11, ttmp9, 2, v9
	s_wait_kmcnt 0x0
	s_cmp_lg_u64 s[2:3], 0
	s_cbranch_scc0 .LBB179_9
; %bb.4:
	s_load_b64 s[6:7], s[0:1], 0x20
                                        ; implicit-def: $vgpr17_vgpr18
                                        ; implicit-def: $vgpr9_vgpr10
	s_wait_kmcnt 0x0
	v_cmp_gt_i64_e32 vcc_lo, s[6:7], v[11:12]
	s_mov_b32 s7, 0
	s_mov_b32 s6, 0
	s_and_saveexec_b32 s5, vcc_lo
	s_delay_alu instid0(SALU_CYCLE_1)
	s_xor_b32 s8, exec_lo, s5
	s_cbranch_execz .LBB179_6
; %bb.5:
	v_lshlrev_b64_e32 v[9:10], 3, v[11:12]
	s_mov_b32 s5, 0
	s_mov_b32 s6, exec_lo
	s_delay_alu instid0(VALU_DEP_1) | instskip(NEXT) | instid1(VALU_DEP_1)
	v_add_co_u32 v9, vcc_lo, s2, v9
	v_add_co_ci_u32_e64 v10, null, s3, v10, vcc_lo
	global_load_b64 v[9:10], v[9:10], off
	s_wait_loadcnt 0x0
	v_sub_co_u32 v17, vcc_lo, v9, s4
	s_wait_alu 0xfffd
	v_subrev_co_ci_u32_e64 v18, null, 0, v10, vcc_lo
	v_dual_mov_b32 v10, s5 :: v_dual_mov_b32 v9, s4
.LBB179_6:
	s_or_b32 exec_lo, exec_lo, s8
	s_wait_alu 0xfffe
	s_and_b32 vcc_lo, exec_lo, s7
	s_wait_alu 0xfffe
	s_cbranch_vccnz .LBB179_10
.LBB179_7:
	s_and_b32 exec_lo, exec_lo, s6
	s_cbranch_execnz .LBB179_13
.LBB179_8:
	s_endpgm
.LBB179_9:
	s_mov_b32 s6, 0
                                        ; implicit-def: $vgpr17_vgpr18
                                        ; implicit-def: $vgpr9_vgpr10
	s_cbranch_execz .LBB179_7
.LBB179_10:
	s_load_b64 s[2:3], s[0:1], 0x0
	s_wait_kmcnt 0x0
	v_cmp_gt_i64_e32 vcc_lo, s[2:3], v[11:12]
	s_and_saveexec_b32 s2, vcc_lo
; %bb.11:
	s_mov_b32 s5, 0
	s_or_b32 s6, s6, exec_lo
; %bb.12:
	s_wait_alu 0xfffe
	s_or_b32 exec_lo, exec_lo, s2
	v_dual_mov_b32 v10, s5 :: v_dual_mov_b32 v9, s4
	v_dual_mov_b32 v18, v12 :: v_dual_mov_b32 v17, v11
	s_and_b32 exec_lo, exec_lo, s6
	s_cbranch_execz .LBB179_8
.LBB179_13:
	s_load_b256 s[4:11], s[0:1], 0x30
	s_delay_alu instid0(VALU_DEP_1) | instskip(SKIP_2) | instid1(VALU_DEP_2)
	v_lshlrev_b64_e32 v[11:12], 3, v[17:18]
	v_and_b32_e32 v0, 63, v0
	s_wait_kmcnt 0x0
	v_add_co_u32 v13, vcc_lo, s4, v11
	s_wait_alu 0xfffd
	s_delay_alu instid0(VALU_DEP_3)
	v_add_co_ci_u32_e64 v14, null, s5, v12, vcc_lo
	v_add_co_u32 v11, vcc_lo, s6, v11
	s_wait_alu 0xfffd
	v_add_co_ci_u32_e64 v12, null, s7, v12, vcc_lo
	global_load_b64 v[15:16], v[13:14], off
	v_add_co_u32 v13, vcc_lo, v13, 8
	s_wait_alu 0xfffd
	v_add_co_ci_u32_e64 v14, null, 0, v14, vcc_lo
	s_cmp_eq_u64 s[6:7], 0
	s_cselect_b32 vcc_lo, -1, 0
	s_wait_alu 0xfffe
	v_dual_cndmask_b32 v12, v12, v14 :: v_dual_cndmask_b32 v11, v11, v13
	global_load_b64 v[11:12], v[11:12], off
	s_clause 0x1
	s_load_b32 s3, s[0:1], 0x8
	s_load_b64 s[4:5], s[0:1], 0x50
	s_wait_kmcnt 0x0
	s_cmp_eq_u32 s3, 1
	s_wait_loadcnt 0x1
	v_sub_co_u32 v13, vcc_lo, v15, v9
	s_wait_alu 0xfffd
	v_sub_co_ci_u32_e64 v14, null, v16, v10, vcc_lo
	s_delay_alu instid0(VALU_DEP_2) | instskip(SKIP_1) | instid1(VALU_DEP_2)
	v_add_co_u32 v25, vcc_lo, v13, v0
	s_wait_alu 0xfffd
	v_add_co_ci_u32_e64 v26, null, 0, v14, vcc_lo
	s_delay_alu instid0(VALU_DEP_2) | instskip(SKIP_4) | instid1(VALU_DEP_3)
	v_mad_co_u64_u32 v[27:28], null, 0x48, v25, s[10:11]
	s_wait_loadcnt 0x0
	v_sub_co_u32 v29, vcc_lo, v11, v9
	s_wait_alu 0xfffd
	v_sub_co_ci_u32_e64 v30, null, v12, v10, vcc_lo
	v_mov_b32_e32 v13, v28
	s_delay_alu instid0(VALU_DEP_2) | instskip(NEXT) | instid1(VALU_DEP_2)
	v_cmp_lt_i64_e64 s2, v[25:26], v[29:30]
	v_mad_co_u64_u32 v[13:14], null, 0x48, v26, v[13:14]
	s_delay_alu instid0(VALU_DEP_1)
	v_mov_b32_e32 v28, v13
	s_cbranch_scc1 .LBB179_19
; %bb.14:
	v_mov_b32_e32 v11, 0
	v_mov_b32_e32 v15, 0
	v_dual_mov_b32 v21, 0 :: v_dual_mov_b32 v12, 0
	v_dual_mov_b32 v13, 0 :: v_dual_mov_b32 v16, 0
	;; [unrolled: 1-line block ×4, first 2 shown]
	v_mov_b32_e32 v20, 0
	v_mov_b32_e32 v24, 0
	s_and_saveexec_b32 s6, s2
	s_cbranch_execz .LBB179_18
; %bb.15:
	v_lshlrev_b64_e32 v[13:14], 3, v[25:26]
	v_mov_b32_e32 v19, 0
	v_dual_mov_b32 v11, 0 :: v_dual_mov_b32 v32, v26
	v_dual_mov_b32 v20, 0 :: v_dual_mov_b32 v21, 0
	s_delay_alu instid0(VALU_DEP_4)
	v_add_co_u32 v33, vcc_lo, s8, v13
	s_wait_alu 0xfffd
	v_add_co_ci_u32_e64 v34, null, s9, v14, vcc_lo
	v_mov_b32_e32 v13, 0
	v_dual_mov_b32 v14, 0 :: v_dual_mov_b32 v15, 0
	v_dual_mov_b32 v23, 0 :: v_dual_mov_b32 v36, v28
	;; [unrolled: 1-line block ×3, first 2 shown]
	v_mov_b32_e32 v16, 0
	v_mov_b32_e32 v22, 0
	v_dual_mov_b32 v24, 0 :: v_dual_mov_b32 v35, v27
	s_mov_b32 s7, 0
.LBB179_16:                             ; =>This Inner Loop Header: Depth=1
	global_load_b64 v[49:50], v[33:34], off
	s_clause 0x2
	global_load_b128 v[37:40], v[35:36], off
	global_load_b128 v[41:44], v[35:36], off offset:16
	global_load_b128 v[45:48], v[35:36], off offset:48
	v_add_co_u32 v33, s3, 0x200, v33
	s_wait_alu 0xf1ff
	v_add_co_ci_u32_e64 v34, null, 0, v34, s3
	s_wait_loadcnt 0x3
	v_sub_co_u32 v49, vcc_lo, v49, v9
	s_wait_alu 0xfffd
	v_sub_co_ci_u32_e64 v50, null, v50, v10, vcc_lo
	s_wait_loadcnt 0x2
	v_cvt_f64_f32_e32 v[67:68], v37
	v_mad_co_u64_u32 v[61:62], null, v49, 48, s[4:5]
	v_cvt_f64_f32_e32 v[37:38], v38
	s_wait_loadcnt 0x1
	v_cvt_f64_f32_e32 v[69:70], v43
	v_cvt_f64_f32_e32 v[43:44], v44
	s_wait_loadcnt 0x0
	v_cvt_f64_f32_e32 v[71:72], v45
	v_cvt_f64_f32_e32 v[45:46], v46
	;; [unrolled: 1-line block ×3, first 2 shown]
	v_mov_b32_e32 v49, v62
	v_cvt_f64_f32_e32 v[47:48], v48
	v_add_co_u32 v31, vcc_lo, v31, 64
	s_wait_alu 0xfffd
	v_add_co_ci_u32_e64 v32, null, 0, v32, vcc_lo
	v_mad_co_u64_u32 v[49:50], null, v50, 48, v[49:50]
	s_delay_alu instid0(VALU_DEP_1)
	v_mov_b32_e32 v62, v49
	s_clause 0x1
	global_load_b128 v[49:52], v[61:62], off
	global_load_b128 v[53:56], v[61:62], off offset:16
	s_clause 0x1
	global_load_b128 v[57:60], v[35:36], off offset:32
	global_load_b64 v[65:66], v[35:36], off offset:64
	global_load_b128 v[61:64], v[61:62], off offset:32
	v_add_co_u32 v35, vcc_lo, 0x1200, v35
	s_wait_alu 0xfffd
	v_add_co_ci_u32_e64 v36, null, 0, v36, vcc_lo
	v_cmp_ge_i64_e32 vcc_lo, v[31:32], v[29:30]
	s_wait_alu 0xfffe
	s_or_b32 s7, vcc_lo, s7
	s_wait_loadcnt 0x4
	v_fma_f64 v[13:14], v[67:68], v[49:50], v[13:14]
	v_fma_f64 v[11:12], v[37:38], v[49:50], v[11:12]
	;; [unrolled: 1-line block ×6, first 2 shown]
	v_cvt_f64_f32_e32 v[49:50], v39
	v_cvt_f64_f32_e32 v[39:40], v40
	s_wait_loadcnt 0x2
	v_cvt_f64_f32_e32 v[73:74], v57
	v_cvt_f64_f32_e32 v[57:58], v58
	v_fma_f64 v[13:14], -v[37:38], v[51:52], v[13:14]
	v_fma_f64 v[11:12], v[67:68], v[51:52], v[11:12]
	v_fma_f64 v[19:20], -v[43:44], v[51:52], v[19:20]
	v_fma_f64 v[15:16], v[69:70], v[51:52], v[15:16]
	;; [unrolled: 2-line block ×3, first 2 shown]
	v_cvt_f64_f32_e32 v[37:38], v41
	v_cvt_f64_f32_e32 v[41:42], v42
	;; [unrolled: 1-line block ×4, first 2 shown]
	s_wait_loadcnt 0x1
	v_cvt_f64_f32_e32 v[51:52], v65
	v_fma_f64 v[13:14], v[49:50], v[53:54], v[13:14]
	v_fma_f64 v[11:12], v[39:40], v[53:54], v[11:12]
	;; [unrolled: 1-line block ×6, first 2 shown]
	v_cvt_f64_f32_e32 v[53:54], v66
	v_fma_f64 v[13:14], -v[39:40], v[55:56], v[13:14]
	v_fma_f64 v[11:12], v[49:50], v[55:56], v[11:12]
	v_fma_f64 v[19:20], -v[57:58], v[55:56], v[19:20]
	v_fma_f64 v[15:16], v[73:74], v[55:56], v[15:16]
	;; [unrolled: 2-line block ×3, first 2 shown]
	s_wait_loadcnt 0x0
	v_fma_f64 v[13:14], v[37:38], v[61:62], v[13:14]
	v_fma_f64 v[11:12], v[41:42], v[61:62], v[11:12]
	;; [unrolled: 1-line block ×6, first 2 shown]
	v_fma_f64 v[13:14], -v[41:42], v[63:64], v[13:14]
	v_fma_f64 v[11:12], v[37:38], v[63:64], v[11:12]
	v_fma_f64 v[19:20], -v[45:46], v[63:64], v[19:20]
	v_fma_f64 v[15:16], v[43:44], v[63:64], v[15:16]
	;; [unrolled: 2-line block ×3, first 2 shown]
	s_wait_alu 0xfffe
	s_and_not1_b32 exec_lo, exec_lo, s7
	s_cbranch_execnz .LBB179_16
; %bb.17:
	s_or_b32 exec_lo, exec_lo, s7
.LBB179_18:
	s_wait_alu 0xfffe
	s_or_b32 exec_lo, exec_lo, s6
	s_cbranch_execz .LBB179_20
	s_branch .LBB179_25
.LBB179_19:
                                        ; implicit-def: $vgpr11_vgpr12
                                        ; implicit-def: $vgpr13_vgpr14
                                        ; implicit-def: $vgpr15_vgpr16
                                        ; implicit-def: $vgpr19_vgpr20
                                        ; implicit-def: $vgpr21_vgpr22
                                        ; implicit-def: $vgpr23_vgpr24
.LBB179_20:
	v_mov_b32_e32 v11, 0
	v_mov_b32_e32 v15, 0
	v_dual_mov_b32 v21, 0 :: v_dual_mov_b32 v12, 0
	v_dual_mov_b32 v13, 0 :: v_dual_mov_b32 v16, 0
	;; [unrolled: 1-line block ×4, first 2 shown]
	v_mov_b32_e32 v20, 0
	v_mov_b32_e32 v24, 0
	s_and_saveexec_b32 s3, s2
	s_cbranch_execz .LBB179_24
; %bb.21:
	v_lshlrev_b64_e32 v[31:32], 3, v[25:26]
	v_mov_b32_e32 v11, 0
	v_mov_b32_e32 v15, 0
	v_dual_mov_b32 v21, 0 :: v_dual_mov_b32 v12, 0
	v_mov_b32_e32 v13, 0
	v_add_co_u32 v31, vcc_lo, s8, v31
	v_dual_mov_b32 v16, 0 :: v_dual_mov_b32 v19, 0
	v_dual_mov_b32 v22, 0 :: v_dual_mov_b32 v23, 0
	v_mov_b32_e32 v14, 0
	v_mov_b32_e32 v20, 0
	;; [unrolled: 1-line block ×3, first 2 shown]
	s_wait_alu 0xfffd
	v_add_co_ci_u32_e64 v32, null, s9, v32, vcc_lo
	s_mov_b32 s6, 0
.LBB179_22:                             ; =>This Inner Loop Header: Depth=1
	global_load_b64 v[41:42], v[31:32], off
	s_clause 0x1
	global_load_b128 v[33:36], v[27:28], off
	global_load_b128 v[37:40], v[27:28], off offset:16
	v_add_co_u32 v31, s2, 0x200, v31
	s_wait_alu 0xf1ff
	v_add_co_ci_u32_e64 v32, null, 0, v32, s2
	s_wait_loadcnt 0x2
	v_sub_co_u32 v41, vcc_lo, v41, v9
	s_wait_alu 0xfffd
	v_sub_co_ci_u32_e64 v42, null, v42, v10, vcc_lo
	s_wait_loadcnt 0x1
	v_cvt_f64_f32_e32 v[63:64], v33
	v_mad_co_u64_u32 v[57:58], null, v41, 48, s[4:5]
	v_cvt_f64_f32_e32 v[33:34], v34
	v_cvt_f64_f32_e32 v[65:66], v35
	;; [unrolled: 1-line block ×3, first 2 shown]
	s_wait_loadcnt 0x0
	v_cvt_f64_f32_e32 v[67:68], v37
	v_cvt_f64_f32_e32 v[37:38], v38
	v_add_co_u32 v25, vcc_lo, v25, 64
	v_mov_b32_e32 v41, v58
	s_wait_alu 0xfffd
	v_add_co_ci_u32_e64 v26, null, 0, v26, vcc_lo
	s_delay_alu instid0(VALU_DEP_2) | instskip(NEXT) | instid1(VALU_DEP_1)
	v_mad_co_u64_u32 v[41:42], null, v42, 48, v[41:42]
	v_mov_b32_e32 v58, v41
	s_clause 0x1
	global_load_b128 v[41:44], v[57:58], off
	global_load_b128 v[45:48], v[57:58], off offset:16
	s_clause 0x2
	global_load_b128 v[49:52], v[27:28], off offset:32
	global_load_b128 v[53:56], v[27:28], off offset:48
	global_load_b64 v[61:62], v[27:28], off offset:64
	global_load_b128 v[57:60], v[57:58], off offset:32
	v_add_co_u32 v27, vcc_lo, 0x1200, v27
	s_wait_alu 0xfffd
	v_add_co_ci_u32_e64 v28, null, 0, v28, vcc_lo
	v_cmp_ge_i64_e32 vcc_lo, v[25:26], v[29:30]
	s_wait_alu 0xfffe
	s_or_b32 s6, vcc_lo, s6
	s_wait_loadcnt 0x5
	v_fma_f64 v[13:14], v[63:64], v[41:42], v[13:14]
	v_fma_f64 v[11:12], v[33:34], v[41:42], v[11:12]
	;; [unrolled: 1-line block ×6, first 2 shown]
	v_cvt_f64_f32_e32 v[41:42], v39
	v_cvt_f64_f32_e32 v[39:40], v40
	s_wait_loadcnt 0x3
	v_cvt_f64_f32_e32 v[69:70], v49
	v_cvt_f64_f32_e32 v[49:50], v50
	;; [unrolled: 1-line block ×4, first 2 shown]
	v_fma_f64 v[13:14], -v[33:34], v[43:44], v[13:14]
	v_fma_f64 v[11:12], v[63:64], v[43:44], v[11:12]
	v_fma_f64 v[19:20], -v[35:36], v[43:44], v[19:20]
	v_fma_f64 v[15:16], v[65:66], v[43:44], v[15:16]
	;; [unrolled: 2-line block ×3, first 2 shown]
	s_wait_loadcnt 0x2
	v_cvt_f64_f32_e32 v[33:34], v53
	v_cvt_f64_f32_e32 v[35:36], v54
	;; [unrolled: 1-line block ×4, first 2 shown]
	s_wait_loadcnt 0x1
	v_cvt_f64_f32_e32 v[53:54], v62
	v_fma_f64 v[13:14], v[41:42], v[45:46], v[13:14]
	v_fma_f64 v[11:12], v[39:40], v[45:46], v[11:12]
	v_fma_f64 v[19:20], v[69:70], v[45:46], v[19:20]
	v_fma_f64 v[15:16], v[49:50], v[45:46], v[15:16]
	v_fma_f64 v[23:24], v[71:72], v[45:46], v[23:24]
	v_fma_f64 v[21:22], v[51:52], v[45:46], v[21:22]
	v_cvt_f64_f32_e32 v[45:46], v61
	v_fma_f64 v[13:14], -v[39:40], v[47:48], v[13:14]
	v_fma_f64 v[11:12], v[41:42], v[47:48], v[11:12]
	v_fma_f64 v[19:20], -v[49:50], v[47:48], v[19:20]
	v_fma_f64 v[15:16], v[69:70], v[47:48], v[15:16]
	;; [unrolled: 2-line block ×3, first 2 shown]
	s_wait_loadcnt 0x0
	v_fma_f64 v[13:14], v[33:34], v[57:58], v[13:14]
	v_fma_f64 v[11:12], v[35:36], v[57:58], v[11:12]
	v_fma_f64 v[19:20], v[37:38], v[57:58], v[19:20]
	v_fma_f64 v[15:16], v[43:44], v[57:58], v[15:16]
	v_fma_f64 v[23:24], v[45:46], v[57:58], v[23:24]
	v_fma_f64 v[21:22], v[53:54], v[57:58], v[21:22]
	v_fma_f64 v[13:14], -v[35:36], v[59:60], v[13:14]
	v_fma_f64 v[11:12], v[33:34], v[59:60], v[11:12]
	v_fma_f64 v[19:20], -v[43:44], v[59:60], v[19:20]
	v_fma_f64 v[15:16], v[37:38], v[59:60], v[15:16]
	;; [unrolled: 2-line block ×3, first 2 shown]
	s_wait_alu 0xfffe
	s_and_not1_b32 exec_lo, exec_lo, s6
	s_cbranch_execnz .LBB179_22
; %bb.23:
	s_or_b32 exec_lo, exec_lo, s6
.LBB179_24:
	s_wait_alu 0xfffe
	s_or_b32 exec_lo, exec_lo, s3
.LBB179_25:
	v_mbcnt_lo_u32_b32 v35, -1, 0
	s_delay_alu instid0(VALU_DEP_1) | instskip(NEXT) | instid1(VALU_DEP_1)
	v_or_b32_e32 v9, 32, v35
	v_cmp_gt_i32_e32 vcc_lo, 32, v9
	s_wait_alu 0xfffd
	v_cndmask_b32_e32 v9, v35, v9, vcc_lo
	s_delay_alu instid0(VALU_DEP_1)
	v_lshlrev_b32_e32 v34, 2, v9
	ds_bpermute_b32 v9, v34, v13
	ds_bpermute_b32 v10, v34, v14
	;; [unrolled: 1-line block ×6, first 2 shown]
	s_wait_dscnt 0x4
	v_add_f64_e32 v[9:10], v[13:14], v[9:10]
	s_wait_dscnt 0x2
	v_add_f64_e32 v[13:14], v[19:20], v[27:28]
	;; [unrolled: 2-line block ×3, first 2 shown]
	v_xor_b32_e32 v23, 16, v35
	s_delay_alu instid0(VALU_DEP_1)
	v_cmp_gt_i32_e32 vcc_lo, 32, v23
	s_wait_alu 0xfffd
	v_cndmask_b32_e32 v23, v35, v23, vcc_lo
	ds_bpermute_b32 v25, v34, v11
	ds_bpermute_b32 v26, v34, v12
	;; [unrolled: 1-line block ×6, first 2 shown]
	s_wait_dscnt 0x4
	v_add_f64_e32 v[11:12], v[11:12], v[25:26]
	s_wait_dscnt 0x2
	v_add_f64_e32 v[15:16], v[15:16], v[29:30]
	;; [unrolled: 2-line block ×3, first 2 shown]
	v_lshlrev_b32_e32 v34, 2, v23
	ds_bpermute_b32 v23, v34, v9
	ds_bpermute_b32 v24, v34, v10
	ds_bpermute_b32 v27, v34, v13
	ds_bpermute_b32 v28, v34, v14
	ds_bpermute_b32 v31, v34, v19
	ds_bpermute_b32 v32, v34, v20
	s_wait_dscnt 0x4
	v_add_f64_e32 v[9:10], v[9:10], v[23:24]
	v_xor_b32_e32 v23, 8, v35
	s_wait_dscnt 0x2
	v_add_f64_e32 v[13:14], v[13:14], v[27:28]
	s_wait_dscnt 0x0
	v_add_f64_e32 v[19:20], v[19:20], v[31:32]
	v_cmp_gt_i32_e32 vcc_lo, 32, v23
	ds_bpermute_b32 v25, v34, v11
	ds_bpermute_b32 v26, v34, v12
	;; [unrolled: 1-line block ×6, first 2 shown]
	s_wait_alu 0xfffd
	v_cndmask_b32_e32 v23, v35, v23, vcc_lo
	s_wait_dscnt 0x4
	v_add_f64_e32 v[11:12], v[11:12], v[25:26]
	s_wait_dscnt 0x2
	v_add_f64_e32 v[15:16], v[15:16], v[29:30]
	;; [unrolled: 2-line block ×3, first 2 shown]
	v_lshlrev_b32_e32 v34, 2, v23
	ds_bpermute_b32 v23, v34, v9
	ds_bpermute_b32 v24, v34, v10
	;; [unrolled: 1-line block ×6, first 2 shown]
	s_wait_dscnt 0x4
	v_add_f64_e32 v[9:10], v[9:10], v[23:24]
	v_xor_b32_e32 v23, 4, v35
	s_wait_dscnt 0x2
	v_add_f64_e32 v[13:14], v[13:14], v[27:28]
	s_wait_dscnt 0x0
	v_add_f64_e32 v[19:20], v[19:20], v[31:32]
	v_cmp_gt_i32_e32 vcc_lo, 32, v23
	ds_bpermute_b32 v25, v34, v11
	ds_bpermute_b32 v26, v34, v12
	;; [unrolled: 1-line block ×6, first 2 shown]
	s_wait_alu 0xfffd
	v_cndmask_b32_e32 v23, v35, v23, vcc_lo
	s_wait_dscnt 0x4
	v_add_f64_e32 v[11:12], v[11:12], v[25:26]
	s_wait_dscnt 0x2
	v_add_f64_e32 v[15:16], v[15:16], v[29:30]
	;; [unrolled: 2-line block ×3, first 2 shown]
	v_lshlrev_b32_e32 v34, 2, v23
	ds_bpermute_b32 v23, v34, v9
	ds_bpermute_b32 v24, v34, v10
	;; [unrolled: 1-line block ×6, first 2 shown]
	s_wait_dscnt 0x4
	v_add_f64_e32 v[9:10], v[9:10], v[23:24]
	s_wait_dscnt 0x2
	v_add_f64_e32 v[13:14], v[13:14], v[27:28]
	ds_bpermute_b32 v25, v34, v11
	ds_bpermute_b32 v26, v34, v12
	;; [unrolled: 1-line block ×6, first 2 shown]
	s_wait_dscnt 0x4
	v_add_f64_e32 v[11:12], v[11:12], v[25:26]
	v_add_f64_e32 v[25:26], v[19:20], v[31:32]
	s_wait_dscnt 0x2
	v_add_f64_e32 v[15:16], v[15:16], v[29:30]
	v_xor_b32_e32 v19, 2, v35
	s_wait_dscnt 0x0
	v_add_f64_e32 v[21:22], v[21:22], v[33:34]
	s_delay_alu instid0(VALU_DEP_2) | instskip(SKIP_2) | instid1(VALU_DEP_1)
	v_cmp_gt_i32_e32 vcc_lo, 32, v19
	s_wait_alu 0xfffd
	v_cndmask_b32_e32 v19, v35, v19, vcc_lo
	v_lshlrev_b32_e32 v34, 2, v19
	ds_bpermute_b32 v19, v34, v9
	ds_bpermute_b32 v20, v34, v10
	;; [unrolled: 1-line block ×12, first 2 shown]
	s_wait_dscnt 0xa
	v_add_f64_e32 v[9:10], v[9:10], v[19:20]
	s_wait_dscnt 0x6
	v_add_f64_e32 v[23:24], v[11:12], v[23:24]
	v_add_f64_e32 v[11:12], v[13:14], v[27:28]
	s_wait_dscnt 0x4
	v_add_f64_e32 v[19:20], v[15:16], v[29:30]
	s_wait_dscnt 0x2
	;; [unrolled: 2-line block ×3, first 2 shown]
	v_add_f64_e32 v[15:16], v[21:22], v[33:34]
	v_xor_b32_e32 v21, 1, v35
	s_delay_alu instid0(VALU_DEP_1) | instskip(SKIP_3) | instid1(VALU_DEP_2)
	v_cmp_gt_i32_e32 vcc_lo, 32, v21
	s_wait_alu 0xfffd
	v_cndmask_b32_e32 v21, v35, v21, vcc_lo
	v_cmp_eq_u32_e32 vcc_lo, 63, v0
	v_lshlrev_b32_e32 v30, 2, v21
	ds_bpermute_b32 v21, v30, v9
	ds_bpermute_b32 v22, v30, v10
	;; [unrolled: 1-line block ×12, first 2 shown]
	s_and_b32 exec_lo, exec_lo, vcc_lo
	s_cbranch_execz .LBB179_8
; %bb.26:
	s_wait_dscnt 0x8
	v_add_f64_e32 v[23:24], v[23:24], v[33:34]
	s_wait_dscnt 0x4
	v_add_f64_e32 v[19:20], v[19:20], v[31:32]
	s_wait_dscnt 0x0
	v_add_f64_e32 v[15:16], v[15:16], v[29:30]
	v_add_f64_e32 v[9:10], v[9:10], v[21:22]
	v_add_f64_e32 v[11:12], v[11:12], v[25:26]
	;; [unrolled: 1-line block ×3, first 2 shown]
	v_cmp_eq_f64_e32 vcc_lo, 0, v[1:2]
	v_cmp_eq_f64_e64 s2, 0, v[3:4]
	s_load_b64 s[0:1], s[0:1], 0x68
	v_mul_f64_e64 v[13:14], v[23:24], -v[7:8]
	v_mul_f64_e32 v[23:24], v[5:6], v[23:24]
	v_mul_f64_e64 v[25:26], v[19:20], -v[7:8]
	v_mul_f64_e32 v[19:20], v[5:6], v[19:20]
	v_mul_f64_e64 v[27:28], v[15:16], -v[7:8]
	v_mul_f64_e32 v[29:30], v[5:6], v[15:16]
	s_and_b32 s2, vcc_lo, s2
	v_fma_f64 v[13:14], v[5:6], v[9:10], v[13:14]
	v_fma_f64 v[15:16], v[7:8], v[9:10], v[23:24]
	;; [unrolled: 1-line block ×6, first 2 shown]
	s_wait_alu 0xfffe
	s_and_saveexec_b32 s3, s2
	s_wait_alu 0xfffe
	s_xor_b32 s2, exec_lo, s3
	s_cbranch_execz .LBB179_28
; %bb.27:
	s_wait_kmcnt 0x0
	v_mad_co_u64_u32 v[0:1], null, v17, 48, s[0:1]
	s_delay_alu instid0(VALU_DEP_1)
	v_mad_co_u64_u32 v[1:2], null, v18, 48, v[1:2]
                                        ; implicit-def: $vgpr17_vgpr18
	s_clause 0x2
	global_store_b128 v[0:1], v[13:16], off
	global_store_b128 v[0:1], v[9:12], off offset:16
	global_store_b128 v[0:1], v[5:8], off offset:32
                                        ; implicit-def: $vgpr3_vgpr4
                                        ; implicit-def: $vgpr13_vgpr14
                                        ; implicit-def: $vgpr9_vgpr10
                                        ; implicit-def: $vgpr5_vgpr6
.LBB179_28:
	s_wait_alu 0xfffe
	s_and_not1_saveexec_b32 s2, s2
	s_cbranch_execz .LBB179_8
; %bb.29:
	s_wait_kmcnt 0x0
	v_mad_co_u64_u32 v[29:30], null, v17, 48, s[0:1]
	s_delay_alu instid0(VALU_DEP_1) | instskip(NEXT) | instid1(VALU_DEP_1)
	v_mov_b32_e32 v0, v30
	v_mad_co_u64_u32 v[17:18], null, v18, 48, v[0:1]
	s_delay_alu instid0(VALU_DEP_1)
	v_mov_b32_e32 v30, v17
	s_clause 0x2
	global_load_b128 v[17:20], v[29:30], off
	global_load_b128 v[21:24], v[29:30], off offset:16
	global_load_b128 v[25:28], v[29:30], off offset:32
	s_wait_loadcnt 0x2
	v_fma_f64 v[13:14], v[1:2], v[17:18], v[13:14]
	v_fma_f64 v[15:16], v[3:4], v[17:18], v[15:16]
	s_wait_loadcnt 0x1
	v_fma_f64 v[9:10], v[1:2], v[21:22], v[9:10]
	v_fma_f64 v[11:12], v[3:4], v[21:22], v[11:12]
	;; [unrolled: 3-line block ×3, first 2 shown]
	v_fma_f64 v[5:6], -v[3:4], v[19:20], v[13:14]
	v_fma_f64 v[7:8], v[1:2], v[19:20], v[15:16]
	v_fma_f64 v[9:10], -v[3:4], v[23:24], v[9:10]
	v_fma_f64 v[11:12], v[1:2], v[23:24], v[11:12]
	v_fma_f64 v[13:14], -v[3:4], v[27:28], v[17:18]
	v_fma_f64 v[15:16], v[1:2], v[27:28], v[21:22]
	s_clause 0x2
	global_store_b128 v[29:30], v[5:8], off
	global_store_b128 v[29:30], v[9:12], off offset:16
	global_store_b128 v[29:30], v[13:16], off offset:32
	s_endpgm
	.section	.rodata,"a",@progbits
	.p2align	6, 0x0
	.amdhsa_kernel _ZN9rocsparseL18bsrxmvn_3x3_kernelILj256ELj64E21rocsparse_complex_numIdEllS1_IfES2_S2_EEvT3_20rocsparse_direction_NS_24const_host_device_scalarIT1_EES4_PKS4_PKT2_SD_SA_PKT4_PKT5_S8_PT6_21rocsparse_index_base_b
		.amdhsa_group_segment_fixed_size 0
		.amdhsa_private_segment_fixed_size 0
		.amdhsa_kernarg_size 120
		.amdhsa_user_sgpr_count 2
		.amdhsa_user_sgpr_dispatch_ptr 0
		.amdhsa_user_sgpr_queue_ptr 0
		.amdhsa_user_sgpr_kernarg_segment_ptr 1
		.amdhsa_user_sgpr_dispatch_id 0
		.amdhsa_user_sgpr_private_segment_size 0
		.amdhsa_wavefront_size32 1
		.amdhsa_uses_dynamic_stack 0
		.amdhsa_enable_private_segment 0
		.amdhsa_system_sgpr_workgroup_id_x 1
		.amdhsa_system_sgpr_workgroup_id_y 0
		.amdhsa_system_sgpr_workgroup_id_z 0
		.amdhsa_system_sgpr_workgroup_info 0
		.amdhsa_system_vgpr_workitem_id 0
		.amdhsa_next_free_vgpr 77
		.amdhsa_next_free_sgpr 12
		.amdhsa_reserve_vcc 1
		.amdhsa_float_round_mode_32 0
		.amdhsa_float_round_mode_16_64 0
		.amdhsa_float_denorm_mode_32 3
		.amdhsa_float_denorm_mode_16_64 3
		.amdhsa_fp16_overflow 0
		.amdhsa_workgroup_processor_mode 1
		.amdhsa_memory_ordered 1
		.amdhsa_forward_progress 1
		.amdhsa_inst_pref_size 30
		.amdhsa_round_robin_scheduling 0
		.amdhsa_exception_fp_ieee_invalid_op 0
		.amdhsa_exception_fp_denorm_src 0
		.amdhsa_exception_fp_ieee_div_zero 0
		.amdhsa_exception_fp_ieee_overflow 0
		.amdhsa_exception_fp_ieee_underflow 0
		.amdhsa_exception_fp_ieee_inexact 0
		.amdhsa_exception_int_div_zero 0
	.end_amdhsa_kernel
	.section	.text._ZN9rocsparseL18bsrxmvn_3x3_kernelILj256ELj64E21rocsparse_complex_numIdEllS1_IfES2_S2_EEvT3_20rocsparse_direction_NS_24const_host_device_scalarIT1_EES4_PKS4_PKT2_SD_SA_PKT4_PKT5_S8_PT6_21rocsparse_index_base_b,"axG",@progbits,_ZN9rocsparseL18bsrxmvn_3x3_kernelILj256ELj64E21rocsparse_complex_numIdEllS1_IfES2_S2_EEvT3_20rocsparse_direction_NS_24const_host_device_scalarIT1_EES4_PKS4_PKT2_SD_SA_PKT4_PKT5_S8_PT6_21rocsparse_index_base_b,comdat
.Lfunc_end179:
	.size	_ZN9rocsparseL18bsrxmvn_3x3_kernelILj256ELj64E21rocsparse_complex_numIdEllS1_IfES2_S2_EEvT3_20rocsparse_direction_NS_24const_host_device_scalarIT1_EES4_PKS4_PKT2_SD_SA_PKT4_PKT5_S8_PT6_21rocsparse_index_base_b, .Lfunc_end179-_ZN9rocsparseL18bsrxmvn_3x3_kernelILj256ELj64E21rocsparse_complex_numIdEllS1_IfES2_S2_EEvT3_20rocsparse_direction_NS_24const_host_device_scalarIT1_EES4_PKS4_PKT2_SD_SA_PKT4_PKT5_S8_PT6_21rocsparse_index_base_b
                                        ; -- End function
	.set _ZN9rocsparseL18bsrxmvn_3x3_kernelILj256ELj64E21rocsparse_complex_numIdEllS1_IfES2_S2_EEvT3_20rocsparse_direction_NS_24const_host_device_scalarIT1_EES4_PKS4_PKT2_SD_SA_PKT4_PKT5_S8_PT6_21rocsparse_index_base_b.num_vgpr, 77
	.set _ZN9rocsparseL18bsrxmvn_3x3_kernelILj256ELj64E21rocsparse_complex_numIdEllS1_IfES2_S2_EEvT3_20rocsparse_direction_NS_24const_host_device_scalarIT1_EES4_PKS4_PKT2_SD_SA_PKT4_PKT5_S8_PT6_21rocsparse_index_base_b.num_agpr, 0
	.set _ZN9rocsparseL18bsrxmvn_3x3_kernelILj256ELj64E21rocsparse_complex_numIdEllS1_IfES2_S2_EEvT3_20rocsparse_direction_NS_24const_host_device_scalarIT1_EES4_PKS4_PKT2_SD_SA_PKT4_PKT5_S8_PT6_21rocsparse_index_base_b.numbered_sgpr, 12
	.set _ZN9rocsparseL18bsrxmvn_3x3_kernelILj256ELj64E21rocsparse_complex_numIdEllS1_IfES2_S2_EEvT3_20rocsparse_direction_NS_24const_host_device_scalarIT1_EES4_PKS4_PKT2_SD_SA_PKT4_PKT5_S8_PT6_21rocsparse_index_base_b.num_named_barrier, 0
	.set _ZN9rocsparseL18bsrxmvn_3x3_kernelILj256ELj64E21rocsparse_complex_numIdEllS1_IfES2_S2_EEvT3_20rocsparse_direction_NS_24const_host_device_scalarIT1_EES4_PKS4_PKT2_SD_SA_PKT4_PKT5_S8_PT6_21rocsparse_index_base_b.private_seg_size, 0
	.set _ZN9rocsparseL18bsrxmvn_3x3_kernelILj256ELj64E21rocsparse_complex_numIdEllS1_IfES2_S2_EEvT3_20rocsparse_direction_NS_24const_host_device_scalarIT1_EES4_PKS4_PKT2_SD_SA_PKT4_PKT5_S8_PT6_21rocsparse_index_base_b.uses_vcc, 1
	.set _ZN9rocsparseL18bsrxmvn_3x3_kernelILj256ELj64E21rocsparse_complex_numIdEllS1_IfES2_S2_EEvT3_20rocsparse_direction_NS_24const_host_device_scalarIT1_EES4_PKS4_PKT2_SD_SA_PKT4_PKT5_S8_PT6_21rocsparse_index_base_b.uses_flat_scratch, 0
	.set _ZN9rocsparseL18bsrxmvn_3x3_kernelILj256ELj64E21rocsparse_complex_numIdEllS1_IfES2_S2_EEvT3_20rocsparse_direction_NS_24const_host_device_scalarIT1_EES4_PKS4_PKT2_SD_SA_PKT4_PKT5_S8_PT6_21rocsparse_index_base_b.has_dyn_sized_stack, 0
	.set _ZN9rocsparseL18bsrxmvn_3x3_kernelILj256ELj64E21rocsparse_complex_numIdEllS1_IfES2_S2_EEvT3_20rocsparse_direction_NS_24const_host_device_scalarIT1_EES4_PKS4_PKT2_SD_SA_PKT4_PKT5_S8_PT6_21rocsparse_index_base_b.has_recursion, 0
	.set _ZN9rocsparseL18bsrxmvn_3x3_kernelILj256ELj64E21rocsparse_complex_numIdEllS1_IfES2_S2_EEvT3_20rocsparse_direction_NS_24const_host_device_scalarIT1_EES4_PKS4_PKT2_SD_SA_PKT4_PKT5_S8_PT6_21rocsparse_index_base_b.has_indirect_call, 0
	.section	.AMDGPU.csdata,"",@progbits
; Kernel info:
; codeLenInByte = 3796
; TotalNumSgprs: 14
; NumVgprs: 77
; ScratchSize: 0
; MemoryBound: 0
; FloatMode: 240
; IeeeMode: 1
; LDSByteSize: 0 bytes/workgroup (compile time only)
; SGPRBlocks: 0
; VGPRBlocks: 9
; NumSGPRsForWavesPerEU: 14
; NumVGPRsForWavesPerEU: 77
; Occupancy: 16
; WaveLimiterHint : 1
; COMPUTE_PGM_RSRC2:SCRATCH_EN: 0
; COMPUTE_PGM_RSRC2:USER_SGPR: 2
; COMPUTE_PGM_RSRC2:TRAP_HANDLER: 0
; COMPUTE_PGM_RSRC2:TGID_X_EN: 1
; COMPUTE_PGM_RSRC2:TGID_Y_EN: 0
; COMPUTE_PGM_RSRC2:TGID_Z_EN: 0
; COMPUTE_PGM_RSRC2:TIDIG_COMP_CNT: 0
	.section	.AMDGPU.gpr_maximums,"",@progbits
	.set amdgpu.max_num_vgpr, 0
	.set amdgpu.max_num_agpr, 0
	.set amdgpu.max_num_sgpr, 0
	.section	.AMDGPU.csdata,"",@progbits
	.type	__hip_cuid_47db3371dd407677,@object ; @__hip_cuid_47db3371dd407677
	.section	.bss,"aw",@nobits
	.globl	__hip_cuid_47db3371dd407677
__hip_cuid_47db3371dd407677:
	.byte	0                               ; 0x0
	.size	__hip_cuid_47db3371dd407677, 1

	.ident	"AMD clang version 22.0.0git (https://github.com/RadeonOpenCompute/llvm-project roc-7.2.4 26084 f58b06dce1f9c15707c5f808fd002e18c2accf7e)"
	.section	".note.GNU-stack","",@progbits
	.addrsig
	.addrsig_sym __hip_cuid_47db3371dd407677
	.amdgpu_metadata
---
amdhsa.kernels:
  - .args:
      - .offset:         0
        .size:           4
        .value_kind:     by_value
      - .offset:         4
        .size:           4
        .value_kind:     by_value
      - .offset:         8
        .size:           8
        .value_kind:     by_value
      - .offset:         16
        .size:           4
        .value_kind:     by_value
      - .actual_access:  read_only
        .address_space:  global
        .offset:         24
        .size:           8
        .value_kind:     global_buffer
      - .actual_access:  read_only
        .address_space:  global
        .offset:         32
        .size:           8
        .value_kind:     global_buffer
      - .actual_access:  read_only
        .address_space:  global
        .offset:         40
        .size:           8
        .value_kind:     global_buffer
      - .actual_access:  read_only
        .address_space:  global
        .offset:         48
        .size:           8
        .value_kind:     global_buffer
      - .actual_access:  read_only
        .address_space:  global
        .offset:         56
        .size:           8
        .value_kind:     global_buffer
      - .actual_access:  read_only
        .address_space:  global
        .offset:         64
        .size:           8
        .value_kind:     global_buffer
      - .offset:         72
        .size:           8
        .value_kind:     by_value
      - .address_space:  global
        .offset:         80
        .size:           8
        .value_kind:     global_buffer
      - .offset:         88
        .size:           4
        .value_kind:     by_value
      - .offset:         92
        .size:           1
        .value_kind:     by_value
    .group_segment_fixed_size: 0
    .kernarg_segment_align: 8
    .kernarg_segment_size: 96
    .language:       OpenCL C
    .language_version:
      - 2
      - 0
    .max_flat_workgroup_size: 256
    .name:           _ZN9rocsparseL18bsrxmvn_3x3_kernelILj256ELj4EfiifffEEvT3_20rocsparse_direction_NS_24const_host_device_scalarIT1_EES1_PKS1_PKT2_SA_S7_PKT4_PKT5_S5_PT6_21rocsparse_index_base_b
    .private_segment_fixed_size: 0
    .sgpr_count:     20
    .sgpr_spill_count: 0
    .symbol:         _ZN9rocsparseL18bsrxmvn_3x3_kernelILj256ELj4EfiifffEEvT3_20rocsparse_direction_NS_24const_host_device_scalarIT1_EES1_PKS1_PKT2_SA_S7_PKT4_PKT5_S5_PT6_21rocsparse_index_base_b.kd
    .uniform_work_group_size: 1
    .uses_dynamic_stack: false
    .vgpr_count:     25
    .vgpr_spill_count: 0
    .wavefront_size: 32
    .workgroup_processor_mode: 1
  - .args:
      - .offset:         0
        .size:           4
        .value_kind:     by_value
      - .offset:         4
        .size:           4
        .value_kind:     by_value
      - .offset:         8
        .size:           8
        .value_kind:     by_value
      - .offset:         16
        .size:           4
        .value_kind:     by_value
      - .actual_access:  read_only
        .address_space:  global
        .offset:         24
        .size:           8
        .value_kind:     global_buffer
      - .actual_access:  read_only
        .address_space:  global
        .offset:         32
        .size:           8
        .value_kind:     global_buffer
      - .actual_access:  read_only
        .address_space:  global
        .offset:         40
        .size:           8
        .value_kind:     global_buffer
      - .actual_access:  read_only
        .address_space:  global
        .offset:         48
        .size:           8
        .value_kind:     global_buffer
      - .actual_access:  read_only
        .address_space:  global
        .offset:         56
        .size:           8
        .value_kind:     global_buffer
      - .actual_access:  read_only
        .address_space:  global
        .offset:         64
        .size:           8
        .value_kind:     global_buffer
      - .offset:         72
        .size:           8
        .value_kind:     by_value
      - .address_space:  global
        .offset:         80
        .size:           8
        .value_kind:     global_buffer
      - .offset:         88
        .size:           4
        .value_kind:     by_value
      - .offset:         92
        .size:           1
        .value_kind:     by_value
    .group_segment_fixed_size: 0
    .kernarg_segment_align: 8
    .kernarg_segment_size: 96
    .language:       OpenCL C
    .language_version:
      - 2
      - 0
    .max_flat_workgroup_size: 256
    .name:           _ZN9rocsparseL18bsrxmvn_3x3_kernelILj256ELj8EfiifffEEvT3_20rocsparse_direction_NS_24const_host_device_scalarIT1_EES1_PKS1_PKT2_SA_S7_PKT4_PKT5_S5_PT6_21rocsparse_index_base_b
    .private_segment_fixed_size: 0
    .sgpr_count:     20
    .sgpr_spill_count: 0
    .symbol:         _ZN9rocsparseL18bsrxmvn_3x3_kernelILj256ELj8EfiifffEEvT3_20rocsparse_direction_NS_24const_host_device_scalarIT1_EES1_PKS1_PKT2_SA_S7_PKT4_PKT5_S5_PT6_21rocsparse_index_base_b.kd
    .uniform_work_group_size: 1
    .uses_dynamic_stack: false
    .vgpr_count:     25
    .vgpr_spill_count: 0
    .wavefront_size: 32
    .workgroup_processor_mode: 1
  - .args:
      - .offset:         0
        .size:           4
        .value_kind:     by_value
      - .offset:         4
        .size:           4
        .value_kind:     by_value
      - .offset:         8
        .size:           8
        .value_kind:     by_value
      - .offset:         16
        .size:           4
        .value_kind:     by_value
      - .actual_access:  read_only
        .address_space:  global
        .offset:         24
        .size:           8
        .value_kind:     global_buffer
      - .actual_access:  read_only
        .address_space:  global
        .offset:         32
        .size:           8
        .value_kind:     global_buffer
      - .actual_access:  read_only
        .address_space:  global
        .offset:         40
        .size:           8
        .value_kind:     global_buffer
      - .actual_access:  read_only
        .address_space:  global
        .offset:         48
        .size:           8
        .value_kind:     global_buffer
      - .actual_access:  read_only
        .address_space:  global
        .offset:         56
        .size:           8
        .value_kind:     global_buffer
      - .actual_access:  read_only
        .address_space:  global
        .offset:         64
        .size:           8
        .value_kind:     global_buffer
      - .offset:         72
        .size:           8
        .value_kind:     by_value
      - .address_space:  global
        .offset:         80
        .size:           8
        .value_kind:     global_buffer
      - .offset:         88
        .size:           4
        .value_kind:     by_value
      - .offset:         92
        .size:           1
        .value_kind:     by_value
    .group_segment_fixed_size: 0
    .kernarg_segment_align: 8
    .kernarg_segment_size: 96
    .language:       OpenCL C
    .language_version:
      - 2
      - 0
    .max_flat_workgroup_size: 256
    .name:           _ZN9rocsparseL18bsrxmvn_3x3_kernelILj256ELj16EfiifffEEvT3_20rocsparse_direction_NS_24const_host_device_scalarIT1_EES1_PKS1_PKT2_SA_S7_PKT4_PKT5_S5_PT6_21rocsparse_index_base_b
    .private_segment_fixed_size: 0
    .sgpr_count:     20
    .sgpr_spill_count: 0
    .symbol:         _ZN9rocsparseL18bsrxmvn_3x3_kernelILj256ELj16EfiifffEEvT3_20rocsparse_direction_NS_24const_host_device_scalarIT1_EES1_PKS1_PKT2_SA_S7_PKT4_PKT5_S5_PT6_21rocsparse_index_base_b.kd
    .uniform_work_group_size: 1
    .uses_dynamic_stack: false
    .vgpr_count:     25
    .vgpr_spill_count: 0
    .wavefront_size: 32
    .workgroup_processor_mode: 1
  - .args:
      - .offset:         0
        .size:           4
        .value_kind:     by_value
      - .offset:         4
        .size:           4
        .value_kind:     by_value
      - .offset:         8
        .size:           8
        .value_kind:     by_value
      - .offset:         16
        .size:           4
        .value_kind:     by_value
      - .actual_access:  read_only
        .address_space:  global
        .offset:         24
        .size:           8
        .value_kind:     global_buffer
      - .actual_access:  read_only
        .address_space:  global
        .offset:         32
        .size:           8
        .value_kind:     global_buffer
      - .actual_access:  read_only
        .address_space:  global
        .offset:         40
        .size:           8
        .value_kind:     global_buffer
      - .actual_access:  read_only
        .address_space:  global
        .offset:         48
        .size:           8
        .value_kind:     global_buffer
      - .actual_access:  read_only
        .address_space:  global
        .offset:         56
        .size:           8
        .value_kind:     global_buffer
      - .actual_access:  read_only
        .address_space:  global
        .offset:         64
        .size:           8
        .value_kind:     global_buffer
      - .offset:         72
        .size:           8
        .value_kind:     by_value
      - .address_space:  global
        .offset:         80
        .size:           8
        .value_kind:     global_buffer
      - .offset:         88
        .size:           4
        .value_kind:     by_value
      - .offset:         92
        .size:           1
        .value_kind:     by_value
    .group_segment_fixed_size: 0
    .kernarg_segment_align: 8
    .kernarg_segment_size: 96
    .language:       OpenCL C
    .language_version:
      - 2
      - 0
    .max_flat_workgroup_size: 256
    .name:           _ZN9rocsparseL18bsrxmvn_3x3_kernelILj256ELj32EfiifffEEvT3_20rocsparse_direction_NS_24const_host_device_scalarIT1_EES1_PKS1_PKT2_SA_S7_PKT4_PKT5_S5_PT6_21rocsparse_index_base_b
    .private_segment_fixed_size: 0
    .sgpr_count:     20
    .sgpr_spill_count: 0
    .symbol:         _ZN9rocsparseL18bsrxmvn_3x3_kernelILj256ELj32EfiifffEEvT3_20rocsparse_direction_NS_24const_host_device_scalarIT1_EES1_PKS1_PKT2_SA_S7_PKT4_PKT5_S5_PT6_21rocsparse_index_base_b.kd
    .uniform_work_group_size: 1
    .uses_dynamic_stack: false
    .vgpr_count:     25
    .vgpr_spill_count: 0
    .wavefront_size: 32
    .workgroup_processor_mode: 1
  - .args:
      - .offset:         0
        .size:           4
        .value_kind:     by_value
      - .offset:         4
        .size:           4
        .value_kind:     by_value
      - .offset:         8
        .size:           8
        .value_kind:     by_value
      - .offset:         16
        .size:           4
        .value_kind:     by_value
      - .actual_access:  read_only
        .address_space:  global
        .offset:         24
        .size:           8
        .value_kind:     global_buffer
      - .actual_access:  read_only
        .address_space:  global
        .offset:         32
        .size:           8
        .value_kind:     global_buffer
      - .actual_access:  read_only
        .address_space:  global
        .offset:         40
        .size:           8
        .value_kind:     global_buffer
      - .actual_access:  read_only
        .address_space:  global
        .offset:         48
        .size:           8
        .value_kind:     global_buffer
      - .actual_access:  read_only
        .address_space:  global
        .offset:         56
        .size:           8
        .value_kind:     global_buffer
      - .actual_access:  read_only
        .address_space:  global
        .offset:         64
        .size:           8
        .value_kind:     global_buffer
      - .offset:         72
        .size:           8
        .value_kind:     by_value
      - .address_space:  global
        .offset:         80
        .size:           8
        .value_kind:     global_buffer
      - .offset:         88
        .size:           4
        .value_kind:     by_value
      - .offset:         92
        .size:           1
        .value_kind:     by_value
    .group_segment_fixed_size: 0
    .kernarg_segment_align: 8
    .kernarg_segment_size: 96
    .language:       OpenCL C
    .language_version:
      - 2
      - 0
    .max_flat_workgroup_size: 256
    .name:           _ZN9rocsparseL18bsrxmvn_3x3_kernelILj256ELj64EfiifffEEvT3_20rocsparse_direction_NS_24const_host_device_scalarIT1_EES1_PKS1_PKT2_SA_S7_PKT4_PKT5_S5_PT6_21rocsparse_index_base_b
    .private_segment_fixed_size: 0
    .sgpr_count:     20
    .sgpr_spill_count: 0
    .symbol:         _ZN9rocsparseL18bsrxmvn_3x3_kernelILj256ELj64EfiifffEEvT3_20rocsparse_direction_NS_24const_host_device_scalarIT1_EES1_PKS1_PKT2_SA_S7_PKT4_PKT5_S5_PT6_21rocsparse_index_base_b.kd
    .uniform_work_group_size: 1
    .uses_dynamic_stack: false
    .vgpr_count:     25
    .vgpr_spill_count: 0
    .wavefront_size: 32
    .workgroup_processor_mode: 1
  - .args:
      - .offset:         0
        .size:           4
        .value_kind:     by_value
      - .offset:         4
        .size:           4
        .value_kind:     by_value
      - .offset:         8
        .size:           8
        .value_kind:     by_value
      - .offset:         16
        .size:           4
        .value_kind:     by_value
      - .actual_access:  read_only
        .address_space:  global
        .offset:         24
        .size:           8
        .value_kind:     global_buffer
      - .actual_access:  read_only
        .address_space:  global
        .offset:         32
        .size:           8
        .value_kind:     global_buffer
      - .actual_access:  read_only
        .address_space:  global
        .offset:         40
        .size:           8
        .value_kind:     global_buffer
      - .actual_access:  read_only
        .address_space:  global
        .offset:         48
        .size:           8
        .value_kind:     global_buffer
      - .actual_access:  read_only
        .address_space:  global
        .offset:         56
        .size:           8
        .value_kind:     global_buffer
      - .actual_access:  read_only
        .address_space:  global
        .offset:         64
        .size:           8
        .value_kind:     global_buffer
      - .offset:         72
        .size:           8
        .value_kind:     by_value
      - .address_space:  global
        .offset:         80
        .size:           8
        .value_kind:     global_buffer
      - .offset:         88
        .size:           4
        .value_kind:     by_value
      - .offset:         92
        .size:           1
        .value_kind:     by_value
    .group_segment_fixed_size: 0
    .kernarg_segment_align: 8
    .kernarg_segment_size: 96
    .language:       OpenCL C
    .language_version:
      - 2
      - 0
    .max_flat_workgroup_size: 256
    .name:           _ZN9rocsparseL18bsrxmvn_3x3_kernelILj256ELj4EdiidddEEvT3_20rocsparse_direction_NS_24const_host_device_scalarIT1_EES1_PKS1_PKT2_SA_S7_PKT4_PKT5_S5_PT6_21rocsparse_index_base_b
    .private_segment_fixed_size: 0
    .sgpr_count:     16
    .sgpr_spill_count: 0
    .symbol:         _ZN9rocsparseL18bsrxmvn_3x3_kernelILj256ELj4EdiidddEEvT3_20rocsparse_direction_NS_24const_host_device_scalarIT1_EES1_PKS1_PKT2_SA_S7_PKT4_PKT5_S5_PT6_21rocsparse_index_base_b.kd
    .uniform_work_group_size: 1
    .uses_dynamic_stack: false
    .vgpr_count:     45
    .vgpr_spill_count: 0
    .wavefront_size: 32
    .workgroup_processor_mode: 1
  - .args:
      - .offset:         0
        .size:           4
        .value_kind:     by_value
      - .offset:         4
        .size:           4
        .value_kind:     by_value
      - .offset:         8
        .size:           8
        .value_kind:     by_value
      - .offset:         16
        .size:           4
        .value_kind:     by_value
      - .actual_access:  read_only
        .address_space:  global
        .offset:         24
        .size:           8
        .value_kind:     global_buffer
      - .actual_access:  read_only
        .address_space:  global
        .offset:         32
        .size:           8
        .value_kind:     global_buffer
      - .actual_access:  read_only
        .address_space:  global
        .offset:         40
        .size:           8
        .value_kind:     global_buffer
      - .actual_access:  read_only
        .address_space:  global
        .offset:         48
        .size:           8
        .value_kind:     global_buffer
      - .actual_access:  read_only
        .address_space:  global
        .offset:         56
        .size:           8
        .value_kind:     global_buffer
      - .actual_access:  read_only
        .address_space:  global
        .offset:         64
        .size:           8
        .value_kind:     global_buffer
      - .offset:         72
        .size:           8
        .value_kind:     by_value
      - .address_space:  global
        .offset:         80
        .size:           8
        .value_kind:     global_buffer
      - .offset:         88
        .size:           4
        .value_kind:     by_value
      - .offset:         92
        .size:           1
        .value_kind:     by_value
    .group_segment_fixed_size: 0
    .kernarg_segment_align: 8
    .kernarg_segment_size: 96
    .language:       OpenCL C
    .language_version:
      - 2
      - 0
    .max_flat_workgroup_size: 256
    .name:           _ZN9rocsparseL18bsrxmvn_3x3_kernelILj256ELj8EdiidddEEvT3_20rocsparse_direction_NS_24const_host_device_scalarIT1_EES1_PKS1_PKT2_SA_S7_PKT4_PKT5_S5_PT6_21rocsparse_index_base_b
    .private_segment_fixed_size: 0
    .sgpr_count:     16
    .sgpr_spill_count: 0
    .symbol:         _ZN9rocsparseL18bsrxmvn_3x3_kernelILj256ELj8EdiidddEEvT3_20rocsparse_direction_NS_24const_host_device_scalarIT1_EES1_PKS1_PKT2_SA_S7_PKT4_PKT5_S5_PT6_21rocsparse_index_base_b.kd
    .uniform_work_group_size: 1
    .uses_dynamic_stack: false
    .vgpr_count:     45
    .vgpr_spill_count: 0
    .wavefront_size: 32
    .workgroup_processor_mode: 1
  - .args:
      - .offset:         0
        .size:           4
        .value_kind:     by_value
      - .offset:         4
        .size:           4
        .value_kind:     by_value
      - .offset:         8
        .size:           8
        .value_kind:     by_value
      - .offset:         16
        .size:           4
        .value_kind:     by_value
      - .actual_access:  read_only
        .address_space:  global
        .offset:         24
        .size:           8
        .value_kind:     global_buffer
      - .actual_access:  read_only
        .address_space:  global
        .offset:         32
        .size:           8
        .value_kind:     global_buffer
      - .actual_access:  read_only
        .address_space:  global
        .offset:         40
        .size:           8
        .value_kind:     global_buffer
      - .actual_access:  read_only
        .address_space:  global
        .offset:         48
        .size:           8
        .value_kind:     global_buffer
      - .actual_access:  read_only
        .address_space:  global
        .offset:         56
        .size:           8
        .value_kind:     global_buffer
      - .actual_access:  read_only
        .address_space:  global
        .offset:         64
        .size:           8
        .value_kind:     global_buffer
      - .offset:         72
        .size:           8
        .value_kind:     by_value
      - .address_space:  global
        .offset:         80
        .size:           8
        .value_kind:     global_buffer
      - .offset:         88
        .size:           4
        .value_kind:     by_value
      - .offset:         92
        .size:           1
        .value_kind:     by_value
    .group_segment_fixed_size: 0
    .kernarg_segment_align: 8
    .kernarg_segment_size: 96
    .language:       OpenCL C
    .language_version:
      - 2
      - 0
    .max_flat_workgroup_size: 256
    .name:           _ZN9rocsparseL18bsrxmvn_3x3_kernelILj256ELj16EdiidddEEvT3_20rocsparse_direction_NS_24const_host_device_scalarIT1_EES1_PKS1_PKT2_SA_S7_PKT4_PKT5_S5_PT6_21rocsparse_index_base_b
    .private_segment_fixed_size: 0
    .sgpr_count:     16
    .sgpr_spill_count: 0
    .symbol:         _ZN9rocsparseL18bsrxmvn_3x3_kernelILj256ELj16EdiidddEEvT3_20rocsparse_direction_NS_24const_host_device_scalarIT1_EES1_PKS1_PKT2_SA_S7_PKT4_PKT5_S5_PT6_21rocsparse_index_base_b.kd
    .uniform_work_group_size: 1
    .uses_dynamic_stack: false
    .vgpr_count:     45
    .vgpr_spill_count: 0
    .wavefront_size: 32
    .workgroup_processor_mode: 1
  - .args:
      - .offset:         0
        .size:           4
        .value_kind:     by_value
      - .offset:         4
        .size:           4
        .value_kind:     by_value
      - .offset:         8
        .size:           8
        .value_kind:     by_value
      - .offset:         16
        .size:           4
        .value_kind:     by_value
      - .actual_access:  read_only
        .address_space:  global
        .offset:         24
        .size:           8
        .value_kind:     global_buffer
      - .actual_access:  read_only
        .address_space:  global
        .offset:         32
        .size:           8
        .value_kind:     global_buffer
      - .actual_access:  read_only
        .address_space:  global
        .offset:         40
        .size:           8
        .value_kind:     global_buffer
      - .actual_access:  read_only
        .address_space:  global
        .offset:         48
        .size:           8
        .value_kind:     global_buffer
      - .actual_access:  read_only
        .address_space:  global
        .offset:         56
        .size:           8
        .value_kind:     global_buffer
      - .actual_access:  read_only
        .address_space:  global
        .offset:         64
        .size:           8
        .value_kind:     global_buffer
      - .offset:         72
        .size:           8
        .value_kind:     by_value
      - .address_space:  global
        .offset:         80
        .size:           8
        .value_kind:     global_buffer
      - .offset:         88
        .size:           4
        .value_kind:     by_value
      - .offset:         92
        .size:           1
        .value_kind:     by_value
    .group_segment_fixed_size: 0
    .kernarg_segment_align: 8
    .kernarg_segment_size: 96
    .language:       OpenCL C
    .language_version:
      - 2
      - 0
    .max_flat_workgroup_size: 256
    .name:           _ZN9rocsparseL18bsrxmvn_3x3_kernelILj256ELj32EdiidddEEvT3_20rocsparse_direction_NS_24const_host_device_scalarIT1_EES1_PKS1_PKT2_SA_S7_PKT4_PKT5_S5_PT6_21rocsparse_index_base_b
    .private_segment_fixed_size: 0
    .sgpr_count:     16
    .sgpr_spill_count: 0
    .symbol:         _ZN9rocsparseL18bsrxmvn_3x3_kernelILj256ELj32EdiidddEEvT3_20rocsparse_direction_NS_24const_host_device_scalarIT1_EES1_PKS1_PKT2_SA_S7_PKT4_PKT5_S5_PT6_21rocsparse_index_base_b.kd
    .uniform_work_group_size: 1
    .uses_dynamic_stack: false
    .vgpr_count:     45
    .vgpr_spill_count: 0
    .wavefront_size: 32
    .workgroup_processor_mode: 1
  - .args:
      - .offset:         0
        .size:           4
        .value_kind:     by_value
      - .offset:         4
        .size:           4
        .value_kind:     by_value
      - .offset:         8
        .size:           8
        .value_kind:     by_value
      - .offset:         16
        .size:           4
        .value_kind:     by_value
      - .actual_access:  read_only
        .address_space:  global
        .offset:         24
        .size:           8
        .value_kind:     global_buffer
      - .actual_access:  read_only
        .address_space:  global
        .offset:         32
        .size:           8
        .value_kind:     global_buffer
      - .actual_access:  read_only
        .address_space:  global
        .offset:         40
        .size:           8
        .value_kind:     global_buffer
      - .actual_access:  read_only
        .address_space:  global
        .offset:         48
        .size:           8
        .value_kind:     global_buffer
      - .actual_access:  read_only
        .address_space:  global
        .offset:         56
        .size:           8
        .value_kind:     global_buffer
      - .actual_access:  read_only
        .address_space:  global
        .offset:         64
        .size:           8
        .value_kind:     global_buffer
      - .offset:         72
        .size:           8
        .value_kind:     by_value
      - .address_space:  global
        .offset:         80
        .size:           8
        .value_kind:     global_buffer
      - .offset:         88
        .size:           4
        .value_kind:     by_value
      - .offset:         92
        .size:           1
        .value_kind:     by_value
    .group_segment_fixed_size: 0
    .kernarg_segment_align: 8
    .kernarg_segment_size: 96
    .language:       OpenCL C
    .language_version:
      - 2
      - 0
    .max_flat_workgroup_size: 256
    .name:           _ZN9rocsparseL18bsrxmvn_3x3_kernelILj256ELj64EdiidddEEvT3_20rocsparse_direction_NS_24const_host_device_scalarIT1_EES1_PKS1_PKT2_SA_S7_PKT4_PKT5_S5_PT6_21rocsparse_index_base_b
    .private_segment_fixed_size: 0
    .sgpr_count:     16
    .sgpr_spill_count: 0
    .symbol:         _ZN9rocsparseL18bsrxmvn_3x3_kernelILj256ELj64EdiidddEEvT3_20rocsparse_direction_NS_24const_host_device_scalarIT1_EES1_PKS1_PKT2_SA_S7_PKT4_PKT5_S5_PT6_21rocsparse_index_base_b.kd
    .uniform_work_group_size: 1
    .uses_dynamic_stack: false
    .vgpr_count:     45
    .vgpr_spill_count: 0
    .wavefront_size: 32
    .workgroup_processor_mode: 1
  - .args:
      - .offset:         0
        .size:           4
        .value_kind:     by_value
      - .offset:         4
        .size:           4
        .value_kind:     by_value
      - .offset:         8
        .size:           8
        .value_kind:     by_value
      - .offset:         16
        .size:           4
        .value_kind:     by_value
      - .actual_access:  read_only
        .address_space:  global
        .offset:         24
        .size:           8
        .value_kind:     global_buffer
      - .actual_access:  read_only
        .address_space:  global
        .offset:         32
        .size:           8
        .value_kind:     global_buffer
      - .actual_access:  read_only
        .address_space:  global
        .offset:         40
        .size:           8
        .value_kind:     global_buffer
      - .actual_access:  read_only
        .address_space:  global
        .offset:         48
        .size:           8
        .value_kind:     global_buffer
      - .actual_access:  read_only
        .address_space:  global
        .offset:         56
        .size:           8
        .value_kind:     global_buffer
      - .actual_access:  read_only
        .address_space:  global
        .offset:         64
        .size:           8
        .value_kind:     global_buffer
      - .offset:         72
        .size:           8
        .value_kind:     by_value
      - .address_space:  global
        .offset:         80
        .size:           8
        .value_kind:     global_buffer
      - .offset:         88
        .size:           4
        .value_kind:     by_value
      - .offset:         92
        .size:           1
        .value_kind:     by_value
    .group_segment_fixed_size: 0
    .kernarg_segment_align: 8
    .kernarg_segment_size: 96
    .language:       OpenCL C
    .language_version:
      - 2
      - 0
    .max_flat_workgroup_size: 256
    .name:           _ZN9rocsparseL18bsrxmvn_3x3_kernelILj256ELj4E21rocsparse_complex_numIfEiiS2_S2_S2_EEvT3_20rocsparse_direction_NS_24const_host_device_scalarIT1_EES3_PKS3_PKT2_SC_S9_PKT4_PKT5_S7_PT6_21rocsparse_index_base_b
    .private_segment_fixed_size: 0
    .sgpr_count:     16
    .sgpr_spill_count: 0
    .symbol:         _ZN9rocsparseL18bsrxmvn_3x3_kernelILj256ELj4E21rocsparse_complex_numIfEiiS2_S2_S2_EEvT3_20rocsparse_direction_NS_24const_host_device_scalarIT1_EES3_PKS3_PKT2_SC_S9_PKT4_PKT5_S7_PT6_21rocsparse_index_base_b.kd
    .uniform_work_group_size: 1
    .uses_dynamic_stack: false
    .vgpr_count:     45
    .vgpr_spill_count: 0
    .wavefront_size: 32
    .workgroup_processor_mode: 1
  - .args:
      - .offset:         0
        .size:           4
        .value_kind:     by_value
      - .offset:         4
        .size:           4
        .value_kind:     by_value
      - .offset:         8
        .size:           8
        .value_kind:     by_value
      - .offset:         16
        .size:           4
        .value_kind:     by_value
      - .actual_access:  read_only
        .address_space:  global
        .offset:         24
        .size:           8
        .value_kind:     global_buffer
      - .actual_access:  read_only
        .address_space:  global
        .offset:         32
        .size:           8
        .value_kind:     global_buffer
      - .actual_access:  read_only
        .address_space:  global
        .offset:         40
        .size:           8
        .value_kind:     global_buffer
      - .actual_access:  read_only
        .address_space:  global
        .offset:         48
        .size:           8
        .value_kind:     global_buffer
      - .actual_access:  read_only
        .address_space:  global
        .offset:         56
        .size:           8
        .value_kind:     global_buffer
      - .actual_access:  read_only
        .address_space:  global
        .offset:         64
        .size:           8
        .value_kind:     global_buffer
      - .offset:         72
        .size:           8
        .value_kind:     by_value
      - .address_space:  global
        .offset:         80
        .size:           8
        .value_kind:     global_buffer
      - .offset:         88
        .size:           4
        .value_kind:     by_value
      - .offset:         92
        .size:           1
        .value_kind:     by_value
    .group_segment_fixed_size: 0
    .kernarg_segment_align: 8
    .kernarg_segment_size: 96
    .language:       OpenCL C
    .language_version:
      - 2
      - 0
    .max_flat_workgroup_size: 256
    .name:           _ZN9rocsparseL18bsrxmvn_3x3_kernelILj256ELj8E21rocsparse_complex_numIfEiiS2_S2_S2_EEvT3_20rocsparse_direction_NS_24const_host_device_scalarIT1_EES3_PKS3_PKT2_SC_S9_PKT4_PKT5_S7_PT6_21rocsparse_index_base_b
    .private_segment_fixed_size: 0
    .sgpr_count:     16
    .sgpr_spill_count: 0
    .symbol:         _ZN9rocsparseL18bsrxmvn_3x3_kernelILj256ELj8E21rocsparse_complex_numIfEiiS2_S2_S2_EEvT3_20rocsparse_direction_NS_24const_host_device_scalarIT1_EES3_PKS3_PKT2_SC_S9_PKT4_PKT5_S7_PT6_21rocsparse_index_base_b.kd
    .uniform_work_group_size: 1
    .uses_dynamic_stack: false
    .vgpr_count:     45
    .vgpr_spill_count: 0
    .wavefront_size: 32
    .workgroup_processor_mode: 1
  - .args:
      - .offset:         0
        .size:           4
        .value_kind:     by_value
      - .offset:         4
        .size:           4
        .value_kind:     by_value
      - .offset:         8
        .size:           8
        .value_kind:     by_value
      - .offset:         16
        .size:           4
        .value_kind:     by_value
      - .actual_access:  read_only
        .address_space:  global
        .offset:         24
        .size:           8
        .value_kind:     global_buffer
      - .actual_access:  read_only
        .address_space:  global
        .offset:         32
        .size:           8
        .value_kind:     global_buffer
      - .actual_access:  read_only
        .address_space:  global
        .offset:         40
        .size:           8
        .value_kind:     global_buffer
      - .actual_access:  read_only
        .address_space:  global
        .offset:         48
        .size:           8
        .value_kind:     global_buffer
      - .actual_access:  read_only
        .address_space:  global
        .offset:         56
        .size:           8
        .value_kind:     global_buffer
      - .actual_access:  read_only
        .address_space:  global
        .offset:         64
        .size:           8
        .value_kind:     global_buffer
      - .offset:         72
        .size:           8
        .value_kind:     by_value
      - .address_space:  global
        .offset:         80
        .size:           8
        .value_kind:     global_buffer
      - .offset:         88
        .size:           4
        .value_kind:     by_value
      - .offset:         92
        .size:           1
        .value_kind:     by_value
    .group_segment_fixed_size: 0
    .kernarg_segment_align: 8
    .kernarg_segment_size: 96
    .language:       OpenCL C
    .language_version:
      - 2
      - 0
    .max_flat_workgroup_size: 256
    .name:           _ZN9rocsparseL18bsrxmvn_3x3_kernelILj256ELj16E21rocsparse_complex_numIfEiiS2_S2_S2_EEvT3_20rocsparse_direction_NS_24const_host_device_scalarIT1_EES3_PKS3_PKT2_SC_S9_PKT4_PKT5_S7_PT6_21rocsparse_index_base_b
    .private_segment_fixed_size: 0
    .sgpr_count:     16
    .sgpr_spill_count: 0
    .symbol:         _ZN9rocsparseL18bsrxmvn_3x3_kernelILj256ELj16E21rocsparse_complex_numIfEiiS2_S2_S2_EEvT3_20rocsparse_direction_NS_24const_host_device_scalarIT1_EES3_PKS3_PKT2_SC_S9_PKT4_PKT5_S7_PT6_21rocsparse_index_base_b.kd
    .uniform_work_group_size: 1
    .uses_dynamic_stack: false
    .vgpr_count:     45
    .vgpr_spill_count: 0
    .wavefront_size: 32
    .workgroup_processor_mode: 1
  - .args:
      - .offset:         0
        .size:           4
        .value_kind:     by_value
      - .offset:         4
        .size:           4
        .value_kind:     by_value
      - .offset:         8
        .size:           8
        .value_kind:     by_value
      - .offset:         16
        .size:           4
        .value_kind:     by_value
      - .actual_access:  read_only
        .address_space:  global
        .offset:         24
        .size:           8
        .value_kind:     global_buffer
      - .actual_access:  read_only
        .address_space:  global
        .offset:         32
        .size:           8
        .value_kind:     global_buffer
      - .actual_access:  read_only
        .address_space:  global
        .offset:         40
        .size:           8
        .value_kind:     global_buffer
      - .actual_access:  read_only
        .address_space:  global
        .offset:         48
        .size:           8
        .value_kind:     global_buffer
      - .actual_access:  read_only
        .address_space:  global
        .offset:         56
        .size:           8
        .value_kind:     global_buffer
      - .actual_access:  read_only
        .address_space:  global
        .offset:         64
        .size:           8
        .value_kind:     global_buffer
      - .offset:         72
        .size:           8
        .value_kind:     by_value
      - .address_space:  global
        .offset:         80
        .size:           8
        .value_kind:     global_buffer
      - .offset:         88
        .size:           4
        .value_kind:     by_value
      - .offset:         92
        .size:           1
        .value_kind:     by_value
    .group_segment_fixed_size: 0
    .kernarg_segment_align: 8
    .kernarg_segment_size: 96
    .language:       OpenCL C
    .language_version:
      - 2
      - 0
    .max_flat_workgroup_size: 256
    .name:           _ZN9rocsparseL18bsrxmvn_3x3_kernelILj256ELj32E21rocsparse_complex_numIfEiiS2_S2_S2_EEvT3_20rocsparse_direction_NS_24const_host_device_scalarIT1_EES3_PKS3_PKT2_SC_S9_PKT4_PKT5_S7_PT6_21rocsparse_index_base_b
    .private_segment_fixed_size: 0
    .sgpr_count:     16
    .sgpr_spill_count: 0
    .symbol:         _ZN9rocsparseL18bsrxmvn_3x3_kernelILj256ELj32E21rocsparse_complex_numIfEiiS2_S2_S2_EEvT3_20rocsparse_direction_NS_24const_host_device_scalarIT1_EES3_PKS3_PKT2_SC_S9_PKT4_PKT5_S7_PT6_21rocsparse_index_base_b.kd
    .uniform_work_group_size: 1
    .uses_dynamic_stack: false
    .vgpr_count:     45
    .vgpr_spill_count: 0
    .wavefront_size: 32
    .workgroup_processor_mode: 1
  - .args:
      - .offset:         0
        .size:           4
        .value_kind:     by_value
      - .offset:         4
        .size:           4
        .value_kind:     by_value
      - .offset:         8
        .size:           8
        .value_kind:     by_value
      - .offset:         16
        .size:           4
        .value_kind:     by_value
      - .actual_access:  read_only
        .address_space:  global
        .offset:         24
        .size:           8
        .value_kind:     global_buffer
      - .actual_access:  read_only
        .address_space:  global
        .offset:         32
        .size:           8
        .value_kind:     global_buffer
      - .actual_access:  read_only
        .address_space:  global
        .offset:         40
        .size:           8
        .value_kind:     global_buffer
      - .actual_access:  read_only
        .address_space:  global
        .offset:         48
        .size:           8
        .value_kind:     global_buffer
      - .actual_access:  read_only
        .address_space:  global
        .offset:         56
        .size:           8
        .value_kind:     global_buffer
      - .actual_access:  read_only
        .address_space:  global
        .offset:         64
        .size:           8
        .value_kind:     global_buffer
      - .offset:         72
        .size:           8
        .value_kind:     by_value
      - .address_space:  global
        .offset:         80
        .size:           8
        .value_kind:     global_buffer
      - .offset:         88
        .size:           4
        .value_kind:     by_value
      - .offset:         92
        .size:           1
        .value_kind:     by_value
    .group_segment_fixed_size: 0
    .kernarg_segment_align: 8
    .kernarg_segment_size: 96
    .language:       OpenCL C
    .language_version:
      - 2
      - 0
    .max_flat_workgroup_size: 256
    .name:           _ZN9rocsparseL18bsrxmvn_3x3_kernelILj256ELj64E21rocsparse_complex_numIfEiiS2_S2_S2_EEvT3_20rocsparse_direction_NS_24const_host_device_scalarIT1_EES3_PKS3_PKT2_SC_S9_PKT4_PKT5_S7_PT6_21rocsparse_index_base_b
    .private_segment_fixed_size: 0
    .sgpr_count:     16
    .sgpr_spill_count: 0
    .symbol:         _ZN9rocsparseL18bsrxmvn_3x3_kernelILj256ELj64E21rocsparse_complex_numIfEiiS2_S2_S2_EEvT3_20rocsparse_direction_NS_24const_host_device_scalarIT1_EES3_PKS3_PKT2_SC_S9_PKT4_PKT5_S7_PT6_21rocsparse_index_base_b.kd
    .uniform_work_group_size: 1
    .uses_dynamic_stack: false
    .vgpr_count:     45
    .vgpr_spill_count: 0
    .wavefront_size: 32
    .workgroup_processor_mode: 1
  - .args:
      - .offset:         0
        .size:           4
        .value_kind:     by_value
      - .offset:         4
        .size:           4
        .value_kind:     by_value
      - .offset:         8
        .size:           16
        .value_kind:     by_value
      - .offset:         24
        .size:           4
        .value_kind:     by_value
      - .actual_access:  read_only
        .address_space:  global
        .offset:         32
        .size:           8
        .value_kind:     global_buffer
      - .actual_access:  read_only
        .address_space:  global
        .offset:         40
        .size:           8
        .value_kind:     global_buffer
      - .actual_access:  read_only
        .address_space:  global
        .offset:         48
        .size:           8
        .value_kind:     global_buffer
      - .actual_access:  read_only
        .address_space:  global
        .offset:         56
        .size:           8
        .value_kind:     global_buffer
      - .actual_access:  read_only
        .address_space:  global
        .offset:         64
        .size:           8
        .value_kind:     global_buffer
      - .actual_access:  read_only
        .address_space:  global
        .offset:         72
        .size:           8
        .value_kind:     global_buffer
      - .offset:         80
        .size:           16
        .value_kind:     by_value
      - .address_space:  global
        .offset:         96
        .size:           8
        .value_kind:     global_buffer
      - .offset:         104
        .size:           4
        .value_kind:     by_value
      - .offset:         108
        .size:           1
        .value_kind:     by_value
    .group_segment_fixed_size: 0
    .kernarg_segment_align: 8
    .kernarg_segment_size: 112
    .language:       OpenCL C
    .language_version:
      - 2
      - 0
    .max_flat_workgroup_size: 256
    .name:           _ZN9rocsparseL18bsrxmvn_3x3_kernelILj256ELj4E21rocsparse_complex_numIdEiiS2_S2_S2_EEvT3_20rocsparse_direction_NS_24const_host_device_scalarIT1_EES3_PKS3_PKT2_SC_S9_PKT4_PKT5_S7_PT6_21rocsparse_index_base_b
    .private_segment_fixed_size: 0
    .sgpr_count:     16
    .sgpr_spill_count: 0
    .symbol:         _ZN9rocsparseL18bsrxmvn_3x3_kernelILj256ELj4E21rocsparse_complex_numIdEiiS2_S2_S2_EEvT3_20rocsparse_direction_NS_24const_host_device_scalarIT1_EES3_PKS3_PKT2_SC_S9_PKT4_PKT5_S7_PT6_21rocsparse_index_base_b.kd
    .uniform_work_group_size: 1
    .uses_dynamic_stack: false
    .vgpr_count:     79
    .vgpr_spill_count: 0
    .wavefront_size: 32
    .workgroup_processor_mode: 1
  - .args:
      - .offset:         0
        .size:           4
        .value_kind:     by_value
      - .offset:         4
        .size:           4
        .value_kind:     by_value
      - .offset:         8
        .size:           16
        .value_kind:     by_value
      - .offset:         24
        .size:           4
        .value_kind:     by_value
      - .actual_access:  read_only
        .address_space:  global
        .offset:         32
        .size:           8
        .value_kind:     global_buffer
      - .actual_access:  read_only
        .address_space:  global
        .offset:         40
        .size:           8
        .value_kind:     global_buffer
      - .actual_access:  read_only
        .address_space:  global
        .offset:         48
        .size:           8
        .value_kind:     global_buffer
      - .actual_access:  read_only
        .address_space:  global
        .offset:         56
        .size:           8
        .value_kind:     global_buffer
      - .actual_access:  read_only
        .address_space:  global
        .offset:         64
        .size:           8
        .value_kind:     global_buffer
      - .actual_access:  read_only
        .address_space:  global
        .offset:         72
        .size:           8
        .value_kind:     global_buffer
      - .offset:         80
        .size:           16
        .value_kind:     by_value
      - .address_space:  global
        .offset:         96
        .size:           8
        .value_kind:     global_buffer
      - .offset:         104
        .size:           4
        .value_kind:     by_value
      - .offset:         108
        .size:           1
        .value_kind:     by_value
    .group_segment_fixed_size: 0
    .kernarg_segment_align: 8
    .kernarg_segment_size: 112
    .language:       OpenCL C
    .language_version:
      - 2
      - 0
    .max_flat_workgroup_size: 256
    .name:           _ZN9rocsparseL18bsrxmvn_3x3_kernelILj256ELj8E21rocsparse_complex_numIdEiiS2_S2_S2_EEvT3_20rocsparse_direction_NS_24const_host_device_scalarIT1_EES3_PKS3_PKT2_SC_S9_PKT4_PKT5_S7_PT6_21rocsparse_index_base_b
    .private_segment_fixed_size: 0
    .sgpr_count:     16
    .sgpr_spill_count: 0
    .symbol:         _ZN9rocsparseL18bsrxmvn_3x3_kernelILj256ELj8E21rocsparse_complex_numIdEiiS2_S2_S2_EEvT3_20rocsparse_direction_NS_24const_host_device_scalarIT1_EES3_PKS3_PKT2_SC_S9_PKT4_PKT5_S7_PT6_21rocsparse_index_base_b.kd
    .uniform_work_group_size: 1
    .uses_dynamic_stack: false
    .vgpr_count:     79
    .vgpr_spill_count: 0
    .wavefront_size: 32
    .workgroup_processor_mode: 1
  - .args:
      - .offset:         0
        .size:           4
        .value_kind:     by_value
      - .offset:         4
        .size:           4
        .value_kind:     by_value
      - .offset:         8
        .size:           16
        .value_kind:     by_value
      - .offset:         24
        .size:           4
        .value_kind:     by_value
      - .actual_access:  read_only
        .address_space:  global
        .offset:         32
        .size:           8
        .value_kind:     global_buffer
      - .actual_access:  read_only
        .address_space:  global
        .offset:         40
        .size:           8
        .value_kind:     global_buffer
      - .actual_access:  read_only
        .address_space:  global
        .offset:         48
        .size:           8
        .value_kind:     global_buffer
      - .actual_access:  read_only
        .address_space:  global
        .offset:         56
        .size:           8
        .value_kind:     global_buffer
      - .actual_access:  read_only
        .address_space:  global
        .offset:         64
        .size:           8
        .value_kind:     global_buffer
      - .actual_access:  read_only
        .address_space:  global
        .offset:         72
        .size:           8
        .value_kind:     global_buffer
      - .offset:         80
        .size:           16
        .value_kind:     by_value
      - .address_space:  global
        .offset:         96
        .size:           8
        .value_kind:     global_buffer
      - .offset:         104
        .size:           4
        .value_kind:     by_value
      - .offset:         108
        .size:           1
        .value_kind:     by_value
    .group_segment_fixed_size: 0
    .kernarg_segment_align: 8
    .kernarg_segment_size: 112
    .language:       OpenCL C
    .language_version:
      - 2
      - 0
    .max_flat_workgroup_size: 256
    .name:           _ZN9rocsparseL18bsrxmvn_3x3_kernelILj256ELj16E21rocsparse_complex_numIdEiiS2_S2_S2_EEvT3_20rocsparse_direction_NS_24const_host_device_scalarIT1_EES3_PKS3_PKT2_SC_S9_PKT4_PKT5_S7_PT6_21rocsparse_index_base_b
    .private_segment_fixed_size: 0
    .sgpr_count:     16
    .sgpr_spill_count: 0
    .symbol:         _ZN9rocsparseL18bsrxmvn_3x3_kernelILj256ELj16E21rocsparse_complex_numIdEiiS2_S2_S2_EEvT3_20rocsparse_direction_NS_24const_host_device_scalarIT1_EES3_PKS3_PKT2_SC_S9_PKT4_PKT5_S7_PT6_21rocsparse_index_base_b.kd
    .uniform_work_group_size: 1
    .uses_dynamic_stack: false
    .vgpr_count:     79
    .vgpr_spill_count: 0
    .wavefront_size: 32
    .workgroup_processor_mode: 1
  - .args:
      - .offset:         0
        .size:           4
        .value_kind:     by_value
      - .offset:         4
        .size:           4
        .value_kind:     by_value
      - .offset:         8
        .size:           16
        .value_kind:     by_value
      - .offset:         24
        .size:           4
        .value_kind:     by_value
      - .actual_access:  read_only
        .address_space:  global
        .offset:         32
        .size:           8
        .value_kind:     global_buffer
      - .actual_access:  read_only
        .address_space:  global
        .offset:         40
        .size:           8
        .value_kind:     global_buffer
      - .actual_access:  read_only
        .address_space:  global
        .offset:         48
        .size:           8
        .value_kind:     global_buffer
      - .actual_access:  read_only
        .address_space:  global
        .offset:         56
        .size:           8
        .value_kind:     global_buffer
      - .actual_access:  read_only
        .address_space:  global
        .offset:         64
        .size:           8
        .value_kind:     global_buffer
      - .actual_access:  read_only
        .address_space:  global
        .offset:         72
        .size:           8
        .value_kind:     global_buffer
      - .offset:         80
        .size:           16
        .value_kind:     by_value
      - .address_space:  global
        .offset:         96
        .size:           8
        .value_kind:     global_buffer
      - .offset:         104
        .size:           4
        .value_kind:     by_value
      - .offset:         108
        .size:           1
        .value_kind:     by_value
    .group_segment_fixed_size: 0
    .kernarg_segment_align: 8
    .kernarg_segment_size: 112
    .language:       OpenCL C
    .language_version:
      - 2
      - 0
    .max_flat_workgroup_size: 256
    .name:           _ZN9rocsparseL18bsrxmvn_3x3_kernelILj256ELj32E21rocsparse_complex_numIdEiiS2_S2_S2_EEvT3_20rocsparse_direction_NS_24const_host_device_scalarIT1_EES3_PKS3_PKT2_SC_S9_PKT4_PKT5_S7_PT6_21rocsparse_index_base_b
    .private_segment_fixed_size: 0
    .sgpr_count:     16
    .sgpr_spill_count: 0
    .symbol:         _ZN9rocsparseL18bsrxmvn_3x3_kernelILj256ELj32E21rocsparse_complex_numIdEiiS2_S2_S2_EEvT3_20rocsparse_direction_NS_24const_host_device_scalarIT1_EES3_PKS3_PKT2_SC_S9_PKT4_PKT5_S7_PT6_21rocsparse_index_base_b.kd
    .uniform_work_group_size: 1
    .uses_dynamic_stack: false
    .vgpr_count:     79
    .vgpr_spill_count: 0
    .wavefront_size: 32
    .workgroup_processor_mode: 1
  - .args:
      - .offset:         0
        .size:           4
        .value_kind:     by_value
      - .offset:         4
        .size:           4
        .value_kind:     by_value
      - .offset:         8
        .size:           16
        .value_kind:     by_value
      - .offset:         24
        .size:           4
        .value_kind:     by_value
      - .actual_access:  read_only
        .address_space:  global
        .offset:         32
        .size:           8
        .value_kind:     global_buffer
      - .actual_access:  read_only
        .address_space:  global
        .offset:         40
        .size:           8
        .value_kind:     global_buffer
      - .actual_access:  read_only
        .address_space:  global
        .offset:         48
        .size:           8
        .value_kind:     global_buffer
      - .actual_access:  read_only
        .address_space:  global
        .offset:         56
        .size:           8
        .value_kind:     global_buffer
      - .actual_access:  read_only
        .address_space:  global
        .offset:         64
        .size:           8
        .value_kind:     global_buffer
      - .actual_access:  read_only
        .address_space:  global
        .offset:         72
        .size:           8
        .value_kind:     global_buffer
      - .offset:         80
        .size:           16
        .value_kind:     by_value
      - .address_space:  global
        .offset:         96
        .size:           8
        .value_kind:     global_buffer
      - .offset:         104
        .size:           4
        .value_kind:     by_value
      - .offset:         108
        .size:           1
        .value_kind:     by_value
    .group_segment_fixed_size: 0
    .kernarg_segment_align: 8
    .kernarg_segment_size: 112
    .language:       OpenCL C
    .language_version:
      - 2
      - 0
    .max_flat_workgroup_size: 256
    .name:           _ZN9rocsparseL18bsrxmvn_3x3_kernelILj256ELj64E21rocsparse_complex_numIdEiiS2_S2_S2_EEvT3_20rocsparse_direction_NS_24const_host_device_scalarIT1_EES3_PKS3_PKT2_SC_S9_PKT4_PKT5_S7_PT6_21rocsparse_index_base_b
    .private_segment_fixed_size: 0
    .sgpr_count:     16
    .sgpr_spill_count: 0
    .symbol:         _ZN9rocsparseL18bsrxmvn_3x3_kernelILj256ELj64E21rocsparse_complex_numIdEiiS2_S2_S2_EEvT3_20rocsparse_direction_NS_24const_host_device_scalarIT1_EES3_PKS3_PKT2_SC_S9_PKT4_PKT5_S7_PT6_21rocsparse_index_base_b.kd
    .uniform_work_group_size: 1
    .uses_dynamic_stack: false
    .vgpr_count:     79
    .vgpr_spill_count: 0
    .wavefront_size: 32
    .workgroup_processor_mode: 1
  - .args:
      - .offset:         0
        .size:           4
        .value_kind:     by_value
      - .offset:         4
        .size:           4
        .value_kind:     by_value
      - .offset:         8
        .size:           8
        .value_kind:     by_value
      - .offset:         16
        .size:           4
        .value_kind:     by_value
      - .actual_access:  read_only
        .address_space:  global
        .offset:         24
        .size:           8
        .value_kind:     global_buffer
      - .actual_access:  read_only
        .address_space:  global
        .offset:         32
        .size:           8
        .value_kind:     global_buffer
      - .actual_access:  read_only
        .address_space:  global
        .offset:         40
        .size:           8
        .value_kind:     global_buffer
      - .actual_access:  read_only
        .address_space:  global
        .offset:         48
        .size:           8
        .value_kind:     global_buffer
      - .actual_access:  read_only
        .address_space:  global
        .offset:         56
        .size:           8
        .value_kind:     global_buffer
      - .actual_access:  read_only
        .address_space:  global
        .offset:         64
        .size:           8
        .value_kind:     global_buffer
      - .offset:         72
        .size:           8
        .value_kind:     by_value
      - .address_space:  global
        .offset:         80
        .size:           8
        .value_kind:     global_buffer
      - .offset:         88
        .size:           4
        .value_kind:     by_value
      - .offset:         92
        .size:           1
        .value_kind:     by_value
    .group_segment_fixed_size: 0
    .kernarg_segment_align: 8
    .kernarg_segment_size: 96
    .language:       OpenCL C
    .language_version:
      - 2
      - 0
    .max_flat_workgroup_size: 256
    .name:           _ZN9rocsparseL18bsrxmvn_3x3_kernelILj256ELj4EflifffEEvT3_20rocsparse_direction_NS_24const_host_device_scalarIT1_EES1_PKS1_PKT2_SA_S7_PKT4_PKT5_S5_PT6_21rocsparse_index_base_b
    .private_segment_fixed_size: 0
    .sgpr_count:     20
    .sgpr_spill_count: 0
    .symbol:         _ZN9rocsparseL18bsrxmvn_3x3_kernelILj256ELj4EflifffEEvT3_20rocsparse_direction_NS_24const_host_device_scalarIT1_EES1_PKS1_PKT2_SA_S7_PKT4_PKT5_S5_PT6_21rocsparse_index_base_b.kd
    .uniform_work_group_size: 1
    .uses_dynamic_stack: false
    .vgpr_count:     29
    .vgpr_spill_count: 0
    .wavefront_size: 32
    .workgroup_processor_mode: 1
  - .args:
      - .offset:         0
        .size:           4
        .value_kind:     by_value
      - .offset:         4
        .size:           4
        .value_kind:     by_value
      - .offset:         8
        .size:           8
        .value_kind:     by_value
      - .offset:         16
        .size:           4
        .value_kind:     by_value
      - .actual_access:  read_only
        .address_space:  global
        .offset:         24
        .size:           8
        .value_kind:     global_buffer
      - .actual_access:  read_only
        .address_space:  global
        .offset:         32
        .size:           8
        .value_kind:     global_buffer
      - .actual_access:  read_only
        .address_space:  global
        .offset:         40
        .size:           8
        .value_kind:     global_buffer
      - .actual_access:  read_only
        .address_space:  global
        .offset:         48
        .size:           8
        .value_kind:     global_buffer
      - .actual_access:  read_only
        .address_space:  global
        .offset:         56
        .size:           8
        .value_kind:     global_buffer
      - .actual_access:  read_only
        .address_space:  global
        .offset:         64
        .size:           8
        .value_kind:     global_buffer
      - .offset:         72
        .size:           8
        .value_kind:     by_value
      - .address_space:  global
        .offset:         80
        .size:           8
        .value_kind:     global_buffer
      - .offset:         88
        .size:           4
        .value_kind:     by_value
      - .offset:         92
        .size:           1
        .value_kind:     by_value
    .group_segment_fixed_size: 0
    .kernarg_segment_align: 8
    .kernarg_segment_size: 96
    .language:       OpenCL C
    .language_version:
      - 2
      - 0
    .max_flat_workgroup_size: 256
    .name:           _ZN9rocsparseL18bsrxmvn_3x3_kernelILj256ELj8EflifffEEvT3_20rocsparse_direction_NS_24const_host_device_scalarIT1_EES1_PKS1_PKT2_SA_S7_PKT4_PKT5_S5_PT6_21rocsparse_index_base_b
    .private_segment_fixed_size: 0
    .sgpr_count:     20
    .sgpr_spill_count: 0
    .symbol:         _ZN9rocsparseL18bsrxmvn_3x3_kernelILj256ELj8EflifffEEvT3_20rocsparse_direction_NS_24const_host_device_scalarIT1_EES1_PKS1_PKT2_SA_S7_PKT4_PKT5_S5_PT6_21rocsparse_index_base_b.kd
    .uniform_work_group_size: 1
    .uses_dynamic_stack: false
    .vgpr_count:     29
    .vgpr_spill_count: 0
    .wavefront_size: 32
    .workgroup_processor_mode: 1
  - .args:
      - .offset:         0
        .size:           4
        .value_kind:     by_value
      - .offset:         4
        .size:           4
        .value_kind:     by_value
      - .offset:         8
        .size:           8
        .value_kind:     by_value
      - .offset:         16
        .size:           4
        .value_kind:     by_value
      - .actual_access:  read_only
        .address_space:  global
        .offset:         24
        .size:           8
        .value_kind:     global_buffer
      - .actual_access:  read_only
        .address_space:  global
        .offset:         32
        .size:           8
        .value_kind:     global_buffer
      - .actual_access:  read_only
        .address_space:  global
        .offset:         40
        .size:           8
        .value_kind:     global_buffer
      - .actual_access:  read_only
        .address_space:  global
        .offset:         48
        .size:           8
        .value_kind:     global_buffer
      - .actual_access:  read_only
        .address_space:  global
        .offset:         56
        .size:           8
        .value_kind:     global_buffer
      - .actual_access:  read_only
        .address_space:  global
        .offset:         64
        .size:           8
        .value_kind:     global_buffer
      - .offset:         72
        .size:           8
        .value_kind:     by_value
      - .address_space:  global
        .offset:         80
        .size:           8
        .value_kind:     global_buffer
      - .offset:         88
        .size:           4
        .value_kind:     by_value
      - .offset:         92
        .size:           1
        .value_kind:     by_value
    .group_segment_fixed_size: 0
    .kernarg_segment_align: 8
    .kernarg_segment_size: 96
    .language:       OpenCL C
    .language_version:
      - 2
      - 0
    .max_flat_workgroup_size: 256
    .name:           _ZN9rocsparseL18bsrxmvn_3x3_kernelILj256ELj16EflifffEEvT3_20rocsparse_direction_NS_24const_host_device_scalarIT1_EES1_PKS1_PKT2_SA_S7_PKT4_PKT5_S5_PT6_21rocsparse_index_base_b
    .private_segment_fixed_size: 0
    .sgpr_count:     20
    .sgpr_spill_count: 0
    .symbol:         _ZN9rocsparseL18bsrxmvn_3x3_kernelILj256ELj16EflifffEEvT3_20rocsparse_direction_NS_24const_host_device_scalarIT1_EES1_PKS1_PKT2_SA_S7_PKT4_PKT5_S5_PT6_21rocsparse_index_base_b.kd
    .uniform_work_group_size: 1
    .uses_dynamic_stack: false
    .vgpr_count:     29
    .vgpr_spill_count: 0
    .wavefront_size: 32
    .workgroup_processor_mode: 1
  - .args:
      - .offset:         0
        .size:           4
        .value_kind:     by_value
      - .offset:         4
        .size:           4
        .value_kind:     by_value
      - .offset:         8
        .size:           8
        .value_kind:     by_value
      - .offset:         16
        .size:           4
        .value_kind:     by_value
      - .actual_access:  read_only
        .address_space:  global
        .offset:         24
        .size:           8
        .value_kind:     global_buffer
      - .actual_access:  read_only
        .address_space:  global
        .offset:         32
        .size:           8
        .value_kind:     global_buffer
      - .actual_access:  read_only
        .address_space:  global
        .offset:         40
        .size:           8
        .value_kind:     global_buffer
      - .actual_access:  read_only
        .address_space:  global
        .offset:         48
        .size:           8
        .value_kind:     global_buffer
      - .actual_access:  read_only
        .address_space:  global
        .offset:         56
        .size:           8
        .value_kind:     global_buffer
      - .actual_access:  read_only
        .address_space:  global
        .offset:         64
        .size:           8
        .value_kind:     global_buffer
      - .offset:         72
        .size:           8
        .value_kind:     by_value
      - .address_space:  global
        .offset:         80
        .size:           8
        .value_kind:     global_buffer
      - .offset:         88
        .size:           4
        .value_kind:     by_value
      - .offset:         92
        .size:           1
        .value_kind:     by_value
    .group_segment_fixed_size: 0
    .kernarg_segment_align: 8
    .kernarg_segment_size: 96
    .language:       OpenCL C
    .language_version:
      - 2
      - 0
    .max_flat_workgroup_size: 256
    .name:           _ZN9rocsparseL18bsrxmvn_3x3_kernelILj256ELj32EflifffEEvT3_20rocsparse_direction_NS_24const_host_device_scalarIT1_EES1_PKS1_PKT2_SA_S7_PKT4_PKT5_S5_PT6_21rocsparse_index_base_b
    .private_segment_fixed_size: 0
    .sgpr_count:     20
    .sgpr_spill_count: 0
    .symbol:         _ZN9rocsparseL18bsrxmvn_3x3_kernelILj256ELj32EflifffEEvT3_20rocsparse_direction_NS_24const_host_device_scalarIT1_EES1_PKS1_PKT2_SA_S7_PKT4_PKT5_S5_PT6_21rocsparse_index_base_b.kd
    .uniform_work_group_size: 1
    .uses_dynamic_stack: false
    .vgpr_count:     29
    .vgpr_spill_count: 0
    .wavefront_size: 32
    .workgroup_processor_mode: 1
  - .args:
      - .offset:         0
        .size:           4
        .value_kind:     by_value
      - .offset:         4
        .size:           4
        .value_kind:     by_value
      - .offset:         8
        .size:           8
        .value_kind:     by_value
      - .offset:         16
        .size:           4
        .value_kind:     by_value
      - .actual_access:  read_only
        .address_space:  global
        .offset:         24
        .size:           8
        .value_kind:     global_buffer
      - .actual_access:  read_only
        .address_space:  global
        .offset:         32
        .size:           8
        .value_kind:     global_buffer
      - .actual_access:  read_only
        .address_space:  global
        .offset:         40
        .size:           8
        .value_kind:     global_buffer
      - .actual_access:  read_only
        .address_space:  global
        .offset:         48
        .size:           8
        .value_kind:     global_buffer
      - .actual_access:  read_only
        .address_space:  global
        .offset:         56
        .size:           8
        .value_kind:     global_buffer
      - .actual_access:  read_only
        .address_space:  global
        .offset:         64
        .size:           8
        .value_kind:     global_buffer
      - .offset:         72
        .size:           8
        .value_kind:     by_value
      - .address_space:  global
        .offset:         80
        .size:           8
        .value_kind:     global_buffer
      - .offset:         88
        .size:           4
        .value_kind:     by_value
      - .offset:         92
        .size:           1
        .value_kind:     by_value
    .group_segment_fixed_size: 0
    .kernarg_segment_align: 8
    .kernarg_segment_size: 96
    .language:       OpenCL C
    .language_version:
      - 2
      - 0
    .max_flat_workgroup_size: 256
    .name:           _ZN9rocsparseL18bsrxmvn_3x3_kernelILj256ELj64EflifffEEvT3_20rocsparse_direction_NS_24const_host_device_scalarIT1_EES1_PKS1_PKT2_SA_S7_PKT4_PKT5_S5_PT6_21rocsparse_index_base_b
    .private_segment_fixed_size: 0
    .sgpr_count:     20
    .sgpr_spill_count: 0
    .symbol:         _ZN9rocsparseL18bsrxmvn_3x3_kernelILj256ELj64EflifffEEvT3_20rocsparse_direction_NS_24const_host_device_scalarIT1_EES1_PKS1_PKT2_SA_S7_PKT4_PKT5_S5_PT6_21rocsparse_index_base_b.kd
    .uniform_work_group_size: 1
    .uses_dynamic_stack: false
    .vgpr_count:     29
    .vgpr_spill_count: 0
    .wavefront_size: 32
    .workgroup_processor_mode: 1
  - .args:
      - .offset:         0
        .size:           4
        .value_kind:     by_value
      - .offset:         4
        .size:           4
        .value_kind:     by_value
      - .offset:         8
        .size:           8
        .value_kind:     by_value
      - .offset:         16
        .size:           4
        .value_kind:     by_value
      - .actual_access:  read_only
        .address_space:  global
        .offset:         24
        .size:           8
        .value_kind:     global_buffer
      - .actual_access:  read_only
        .address_space:  global
        .offset:         32
        .size:           8
        .value_kind:     global_buffer
      - .actual_access:  read_only
        .address_space:  global
        .offset:         40
        .size:           8
        .value_kind:     global_buffer
      - .actual_access:  read_only
        .address_space:  global
        .offset:         48
        .size:           8
        .value_kind:     global_buffer
      - .actual_access:  read_only
        .address_space:  global
        .offset:         56
        .size:           8
        .value_kind:     global_buffer
      - .actual_access:  read_only
        .address_space:  global
        .offset:         64
        .size:           8
        .value_kind:     global_buffer
      - .offset:         72
        .size:           8
        .value_kind:     by_value
      - .address_space:  global
        .offset:         80
        .size:           8
        .value_kind:     global_buffer
      - .offset:         88
        .size:           4
        .value_kind:     by_value
      - .offset:         92
        .size:           1
        .value_kind:     by_value
    .group_segment_fixed_size: 0
    .kernarg_segment_align: 8
    .kernarg_segment_size: 96
    .language:       OpenCL C
    .language_version:
      - 2
      - 0
    .max_flat_workgroup_size: 256
    .name:           _ZN9rocsparseL18bsrxmvn_3x3_kernelILj256ELj4EdlidddEEvT3_20rocsparse_direction_NS_24const_host_device_scalarIT1_EES1_PKS1_PKT2_SA_S7_PKT4_PKT5_S5_PT6_21rocsparse_index_base_b
    .private_segment_fixed_size: 0
    .sgpr_count:     16
    .sgpr_spill_count: 0
    .symbol:         _ZN9rocsparseL18bsrxmvn_3x3_kernelILj256ELj4EdlidddEEvT3_20rocsparse_direction_NS_24const_host_device_scalarIT1_EES1_PKS1_PKT2_SA_S7_PKT4_PKT5_S5_PT6_21rocsparse_index_base_b.kd
    .uniform_work_group_size: 1
    .uses_dynamic_stack: false
    .vgpr_count:     48
    .vgpr_spill_count: 0
    .wavefront_size: 32
    .workgroup_processor_mode: 1
  - .args:
      - .offset:         0
        .size:           4
        .value_kind:     by_value
      - .offset:         4
        .size:           4
        .value_kind:     by_value
      - .offset:         8
        .size:           8
        .value_kind:     by_value
      - .offset:         16
        .size:           4
        .value_kind:     by_value
      - .actual_access:  read_only
        .address_space:  global
        .offset:         24
        .size:           8
        .value_kind:     global_buffer
      - .actual_access:  read_only
        .address_space:  global
        .offset:         32
        .size:           8
        .value_kind:     global_buffer
      - .actual_access:  read_only
        .address_space:  global
        .offset:         40
        .size:           8
        .value_kind:     global_buffer
      - .actual_access:  read_only
        .address_space:  global
        .offset:         48
        .size:           8
        .value_kind:     global_buffer
      - .actual_access:  read_only
        .address_space:  global
        .offset:         56
        .size:           8
        .value_kind:     global_buffer
      - .actual_access:  read_only
        .address_space:  global
        .offset:         64
        .size:           8
        .value_kind:     global_buffer
      - .offset:         72
        .size:           8
        .value_kind:     by_value
      - .address_space:  global
        .offset:         80
        .size:           8
        .value_kind:     global_buffer
      - .offset:         88
        .size:           4
        .value_kind:     by_value
      - .offset:         92
        .size:           1
        .value_kind:     by_value
    .group_segment_fixed_size: 0
    .kernarg_segment_align: 8
    .kernarg_segment_size: 96
    .language:       OpenCL C
    .language_version:
      - 2
      - 0
    .max_flat_workgroup_size: 256
    .name:           _ZN9rocsparseL18bsrxmvn_3x3_kernelILj256ELj8EdlidddEEvT3_20rocsparse_direction_NS_24const_host_device_scalarIT1_EES1_PKS1_PKT2_SA_S7_PKT4_PKT5_S5_PT6_21rocsparse_index_base_b
    .private_segment_fixed_size: 0
    .sgpr_count:     16
    .sgpr_spill_count: 0
    .symbol:         _ZN9rocsparseL18bsrxmvn_3x3_kernelILj256ELj8EdlidddEEvT3_20rocsparse_direction_NS_24const_host_device_scalarIT1_EES1_PKS1_PKT2_SA_S7_PKT4_PKT5_S5_PT6_21rocsparse_index_base_b.kd
    .uniform_work_group_size: 1
    .uses_dynamic_stack: false
    .vgpr_count:     48
    .vgpr_spill_count: 0
    .wavefront_size: 32
    .workgroup_processor_mode: 1
  - .args:
      - .offset:         0
        .size:           4
        .value_kind:     by_value
      - .offset:         4
        .size:           4
        .value_kind:     by_value
      - .offset:         8
        .size:           8
        .value_kind:     by_value
      - .offset:         16
        .size:           4
        .value_kind:     by_value
      - .actual_access:  read_only
        .address_space:  global
        .offset:         24
        .size:           8
        .value_kind:     global_buffer
      - .actual_access:  read_only
        .address_space:  global
        .offset:         32
        .size:           8
        .value_kind:     global_buffer
      - .actual_access:  read_only
        .address_space:  global
        .offset:         40
        .size:           8
        .value_kind:     global_buffer
      - .actual_access:  read_only
        .address_space:  global
        .offset:         48
        .size:           8
        .value_kind:     global_buffer
      - .actual_access:  read_only
        .address_space:  global
        .offset:         56
        .size:           8
        .value_kind:     global_buffer
      - .actual_access:  read_only
        .address_space:  global
        .offset:         64
        .size:           8
        .value_kind:     global_buffer
      - .offset:         72
        .size:           8
        .value_kind:     by_value
      - .address_space:  global
        .offset:         80
        .size:           8
        .value_kind:     global_buffer
      - .offset:         88
        .size:           4
        .value_kind:     by_value
      - .offset:         92
        .size:           1
        .value_kind:     by_value
    .group_segment_fixed_size: 0
    .kernarg_segment_align: 8
    .kernarg_segment_size: 96
    .language:       OpenCL C
    .language_version:
      - 2
      - 0
    .max_flat_workgroup_size: 256
    .name:           _ZN9rocsparseL18bsrxmvn_3x3_kernelILj256ELj16EdlidddEEvT3_20rocsparse_direction_NS_24const_host_device_scalarIT1_EES1_PKS1_PKT2_SA_S7_PKT4_PKT5_S5_PT6_21rocsparse_index_base_b
    .private_segment_fixed_size: 0
    .sgpr_count:     16
    .sgpr_spill_count: 0
    .symbol:         _ZN9rocsparseL18bsrxmvn_3x3_kernelILj256ELj16EdlidddEEvT3_20rocsparse_direction_NS_24const_host_device_scalarIT1_EES1_PKS1_PKT2_SA_S7_PKT4_PKT5_S5_PT6_21rocsparse_index_base_b.kd
    .uniform_work_group_size: 1
    .uses_dynamic_stack: false
    .vgpr_count:     48
    .vgpr_spill_count: 0
    .wavefront_size: 32
    .workgroup_processor_mode: 1
  - .args:
      - .offset:         0
        .size:           4
        .value_kind:     by_value
      - .offset:         4
        .size:           4
        .value_kind:     by_value
      - .offset:         8
        .size:           8
        .value_kind:     by_value
      - .offset:         16
        .size:           4
        .value_kind:     by_value
      - .actual_access:  read_only
        .address_space:  global
        .offset:         24
        .size:           8
        .value_kind:     global_buffer
      - .actual_access:  read_only
        .address_space:  global
        .offset:         32
        .size:           8
        .value_kind:     global_buffer
      - .actual_access:  read_only
        .address_space:  global
        .offset:         40
        .size:           8
        .value_kind:     global_buffer
      - .actual_access:  read_only
        .address_space:  global
        .offset:         48
        .size:           8
        .value_kind:     global_buffer
      - .actual_access:  read_only
        .address_space:  global
        .offset:         56
        .size:           8
        .value_kind:     global_buffer
      - .actual_access:  read_only
        .address_space:  global
        .offset:         64
        .size:           8
        .value_kind:     global_buffer
      - .offset:         72
        .size:           8
        .value_kind:     by_value
      - .address_space:  global
        .offset:         80
        .size:           8
        .value_kind:     global_buffer
      - .offset:         88
        .size:           4
        .value_kind:     by_value
      - .offset:         92
        .size:           1
        .value_kind:     by_value
    .group_segment_fixed_size: 0
    .kernarg_segment_align: 8
    .kernarg_segment_size: 96
    .language:       OpenCL C
    .language_version:
      - 2
      - 0
    .max_flat_workgroup_size: 256
    .name:           _ZN9rocsparseL18bsrxmvn_3x3_kernelILj256ELj32EdlidddEEvT3_20rocsparse_direction_NS_24const_host_device_scalarIT1_EES1_PKS1_PKT2_SA_S7_PKT4_PKT5_S5_PT6_21rocsparse_index_base_b
    .private_segment_fixed_size: 0
    .sgpr_count:     16
    .sgpr_spill_count: 0
    .symbol:         _ZN9rocsparseL18bsrxmvn_3x3_kernelILj256ELj32EdlidddEEvT3_20rocsparse_direction_NS_24const_host_device_scalarIT1_EES1_PKS1_PKT2_SA_S7_PKT4_PKT5_S5_PT6_21rocsparse_index_base_b.kd
    .uniform_work_group_size: 1
    .uses_dynamic_stack: false
    .vgpr_count:     48
    .vgpr_spill_count: 0
    .wavefront_size: 32
    .workgroup_processor_mode: 1
  - .args:
      - .offset:         0
        .size:           4
        .value_kind:     by_value
      - .offset:         4
        .size:           4
        .value_kind:     by_value
      - .offset:         8
        .size:           8
        .value_kind:     by_value
      - .offset:         16
        .size:           4
        .value_kind:     by_value
      - .actual_access:  read_only
        .address_space:  global
        .offset:         24
        .size:           8
        .value_kind:     global_buffer
      - .actual_access:  read_only
        .address_space:  global
        .offset:         32
        .size:           8
        .value_kind:     global_buffer
      - .actual_access:  read_only
        .address_space:  global
        .offset:         40
        .size:           8
        .value_kind:     global_buffer
      - .actual_access:  read_only
        .address_space:  global
        .offset:         48
        .size:           8
        .value_kind:     global_buffer
      - .actual_access:  read_only
        .address_space:  global
        .offset:         56
        .size:           8
        .value_kind:     global_buffer
      - .actual_access:  read_only
        .address_space:  global
        .offset:         64
        .size:           8
        .value_kind:     global_buffer
      - .offset:         72
        .size:           8
        .value_kind:     by_value
      - .address_space:  global
        .offset:         80
        .size:           8
        .value_kind:     global_buffer
      - .offset:         88
        .size:           4
        .value_kind:     by_value
      - .offset:         92
        .size:           1
        .value_kind:     by_value
    .group_segment_fixed_size: 0
    .kernarg_segment_align: 8
    .kernarg_segment_size: 96
    .language:       OpenCL C
    .language_version:
      - 2
      - 0
    .max_flat_workgroup_size: 256
    .name:           _ZN9rocsparseL18bsrxmvn_3x3_kernelILj256ELj64EdlidddEEvT3_20rocsparse_direction_NS_24const_host_device_scalarIT1_EES1_PKS1_PKT2_SA_S7_PKT4_PKT5_S5_PT6_21rocsparse_index_base_b
    .private_segment_fixed_size: 0
    .sgpr_count:     16
    .sgpr_spill_count: 0
    .symbol:         _ZN9rocsparseL18bsrxmvn_3x3_kernelILj256ELj64EdlidddEEvT3_20rocsparse_direction_NS_24const_host_device_scalarIT1_EES1_PKS1_PKT2_SA_S7_PKT4_PKT5_S5_PT6_21rocsparse_index_base_b.kd
    .uniform_work_group_size: 1
    .uses_dynamic_stack: false
    .vgpr_count:     48
    .vgpr_spill_count: 0
    .wavefront_size: 32
    .workgroup_processor_mode: 1
  - .args:
      - .offset:         0
        .size:           4
        .value_kind:     by_value
      - .offset:         4
        .size:           4
        .value_kind:     by_value
      - .offset:         8
        .size:           8
        .value_kind:     by_value
      - .offset:         16
        .size:           4
        .value_kind:     by_value
      - .actual_access:  read_only
        .address_space:  global
        .offset:         24
        .size:           8
        .value_kind:     global_buffer
      - .actual_access:  read_only
        .address_space:  global
        .offset:         32
        .size:           8
        .value_kind:     global_buffer
      - .actual_access:  read_only
        .address_space:  global
        .offset:         40
        .size:           8
        .value_kind:     global_buffer
      - .actual_access:  read_only
        .address_space:  global
        .offset:         48
        .size:           8
        .value_kind:     global_buffer
      - .actual_access:  read_only
        .address_space:  global
        .offset:         56
        .size:           8
        .value_kind:     global_buffer
      - .actual_access:  read_only
        .address_space:  global
        .offset:         64
        .size:           8
        .value_kind:     global_buffer
      - .offset:         72
        .size:           8
        .value_kind:     by_value
      - .address_space:  global
        .offset:         80
        .size:           8
        .value_kind:     global_buffer
      - .offset:         88
        .size:           4
        .value_kind:     by_value
      - .offset:         92
        .size:           1
        .value_kind:     by_value
    .group_segment_fixed_size: 0
    .kernarg_segment_align: 8
    .kernarg_segment_size: 96
    .language:       OpenCL C
    .language_version:
      - 2
      - 0
    .max_flat_workgroup_size: 256
    .name:           _ZN9rocsparseL18bsrxmvn_3x3_kernelILj256ELj4E21rocsparse_complex_numIfEliS2_S2_S2_EEvT3_20rocsparse_direction_NS_24const_host_device_scalarIT1_EES3_PKS3_PKT2_SC_S9_PKT4_PKT5_S7_PT6_21rocsparse_index_base_b
    .private_segment_fixed_size: 0
    .sgpr_count:     16
    .sgpr_spill_count: 0
    .symbol:         _ZN9rocsparseL18bsrxmvn_3x3_kernelILj256ELj4E21rocsparse_complex_numIfEliS2_S2_S2_EEvT3_20rocsparse_direction_NS_24const_host_device_scalarIT1_EES3_PKS3_PKT2_SC_S9_PKT4_PKT5_S7_PT6_21rocsparse_index_base_b.kd
    .uniform_work_group_size: 1
    .uses_dynamic_stack: false
    .vgpr_count:     48
    .vgpr_spill_count: 0
    .wavefront_size: 32
    .workgroup_processor_mode: 1
  - .args:
      - .offset:         0
        .size:           4
        .value_kind:     by_value
      - .offset:         4
        .size:           4
        .value_kind:     by_value
      - .offset:         8
        .size:           8
        .value_kind:     by_value
      - .offset:         16
        .size:           4
        .value_kind:     by_value
      - .actual_access:  read_only
        .address_space:  global
        .offset:         24
        .size:           8
        .value_kind:     global_buffer
      - .actual_access:  read_only
        .address_space:  global
        .offset:         32
        .size:           8
        .value_kind:     global_buffer
      - .actual_access:  read_only
        .address_space:  global
        .offset:         40
        .size:           8
        .value_kind:     global_buffer
      - .actual_access:  read_only
        .address_space:  global
        .offset:         48
        .size:           8
        .value_kind:     global_buffer
      - .actual_access:  read_only
        .address_space:  global
        .offset:         56
        .size:           8
        .value_kind:     global_buffer
      - .actual_access:  read_only
        .address_space:  global
        .offset:         64
        .size:           8
        .value_kind:     global_buffer
      - .offset:         72
        .size:           8
        .value_kind:     by_value
      - .address_space:  global
        .offset:         80
        .size:           8
        .value_kind:     global_buffer
      - .offset:         88
        .size:           4
        .value_kind:     by_value
      - .offset:         92
        .size:           1
        .value_kind:     by_value
    .group_segment_fixed_size: 0
    .kernarg_segment_align: 8
    .kernarg_segment_size: 96
    .language:       OpenCL C
    .language_version:
      - 2
      - 0
    .max_flat_workgroup_size: 256
    .name:           _ZN9rocsparseL18bsrxmvn_3x3_kernelILj256ELj8E21rocsparse_complex_numIfEliS2_S2_S2_EEvT3_20rocsparse_direction_NS_24const_host_device_scalarIT1_EES3_PKS3_PKT2_SC_S9_PKT4_PKT5_S7_PT6_21rocsparse_index_base_b
    .private_segment_fixed_size: 0
    .sgpr_count:     16
    .sgpr_spill_count: 0
    .symbol:         _ZN9rocsparseL18bsrxmvn_3x3_kernelILj256ELj8E21rocsparse_complex_numIfEliS2_S2_S2_EEvT3_20rocsparse_direction_NS_24const_host_device_scalarIT1_EES3_PKS3_PKT2_SC_S9_PKT4_PKT5_S7_PT6_21rocsparse_index_base_b.kd
    .uniform_work_group_size: 1
    .uses_dynamic_stack: false
    .vgpr_count:     48
    .vgpr_spill_count: 0
    .wavefront_size: 32
    .workgroup_processor_mode: 1
  - .args:
      - .offset:         0
        .size:           4
        .value_kind:     by_value
      - .offset:         4
        .size:           4
        .value_kind:     by_value
      - .offset:         8
        .size:           8
        .value_kind:     by_value
      - .offset:         16
        .size:           4
        .value_kind:     by_value
      - .actual_access:  read_only
        .address_space:  global
        .offset:         24
        .size:           8
        .value_kind:     global_buffer
      - .actual_access:  read_only
        .address_space:  global
        .offset:         32
        .size:           8
        .value_kind:     global_buffer
      - .actual_access:  read_only
        .address_space:  global
        .offset:         40
        .size:           8
        .value_kind:     global_buffer
      - .actual_access:  read_only
        .address_space:  global
        .offset:         48
        .size:           8
        .value_kind:     global_buffer
      - .actual_access:  read_only
        .address_space:  global
        .offset:         56
        .size:           8
        .value_kind:     global_buffer
      - .actual_access:  read_only
        .address_space:  global
        .offset:         64
        .size:           8
        .value_kind:     global_buffer
      - .offset:         72
        .size:           8
        .value_kind:     by_value
      - .address_space:  global
        .offset:         80
        .size:           8
        .value_kind:     global_buffer
      - .offset:         88
        .size:           4
        .value_kind:     by_value
      - .offset:         92
        .size:           1
        .value_kind:     by_value
    .group_segment_fixed_size: 0
    .kernarg_segment_align: 8
    .kernarg_segment_size: 96
    .language:       OpenCL C
    .language_version:
      - 2
      - 0
    .max_flat_workgroup_size: 256
    .name:           _ZN9rocsparseL18bsrxmvn_3x3_kernelILj256ELj16E21rocsparse_complex_numIfEliS2_S2_S2_EEvT3_20rocsparse_direction_NS_24const_host_device_scalarIT1_EES3_PKS3_PKT2_SC_S9_PKT4_PKT5_S7_PT6_21rocsparse_index_base_b
    .private_segment_fixed_size: 0
    .sgpr_count:     16
    .sgpr_spill_count: 0
    .symbol:         _ZN9rocsparseL18bsrxmvn_3x3_kernelILj256ELj16E21rocsparse_complex_numIfEliS2_S2_S2_EEvT3_20rocsparse_direction_NS_24const_host_device_scalarIT1_EES3_PKS3_PKT2_SC_S9_PKT4_PKT5_S7_PT6_21rocsparse_index_base_b.kd
    .uniform_work_group_size: 1
    .uses_dynamic_stack: false
    .vgpr_count:     48
    .vgpr_spill_count: 0
    .wavefront_size: 32
    .workgroup_processor_mode: 1
  - .args:
      - .offset:         0
        .size:           4
        .value_kind:     by_value
      - .offset:         4
        .size:           4
        .value_kind:     by_value
      - .offset:         8
        .size:           8
        .value_kind:     by_value
      - .offset:         16
        .size:           4
        .value_kind:     by_value
      - .actual_access:  read_only
        .address_space:  global
        .offset:         24
        .size:           8
        .value_kind:     global_buffer
      - .actual_access:  read_only
        .address_space:  global
        .offset:         32
        .size:           8
        .value_kind:     global_buffer
      - .actual_access:  read_only
        .address_space:  global
        .offset:         40
        .size:           8
        .value_kind:     global_buffer
      - .actual_access:  read_only
        .address_space:  global
        .offset:         48
        .size:           8
        .value_kind:     global_buffer
      - .actual_access:  read_only
        .address_space:  global
        .offset:         56
        .size:           8
        .value_kind:     global_buffer
      - .actual_access:  read_only
        .address_space:  global
        .offset:         64
        .size:           8
        .value_kind:     global_buffer
      - .offset:         72
        .size:           8
        .value_kind:     by_value
      - .address_space:  global
        .offset:         80
        .size:           8
        .value_kind:     global_buffer
      - .offset:         88
        .size:           4
        .value_kind:     by_value
      - .offset:         92
        .size:           1
        .value_kind:     by_value
    .group_segment_fixed_size: 0
    .kernarg_segment_align: 8
    .kernarg_segment_size: 96
    .language:       OpenCL C
    .language_version:
      - 2
      - 0
    .max_flat_workgroup_size: 256
    .name:           _ZN9rocsparseL18bsrxmvn_3x3_kernelILj256ELj32E21rocsparse_complex_numIfEliS2_S2_S2_EEvT3_20rocsparse_direction_NS_24const_host_device_scalarIT1_EES3_PKS3_PKT2_SC_S9_PKT4_PKT5_S7_PT6_21rocsparse_index_base_b
    .private_segment_fixed_size: 0
    .sgpr_count:     16
    .sgpr_spill_count: 0
    .symbol:         _ZN9rocsparseL18bsrxmvn_3x3_kernelILj256ELj32E21rocsparse_complex_numIfEliS2_S2_S2_EEvT3_20rocsparse_direction_NS_24const_host_device_scalarIT1_EES3_PKS3_PKT2_SC_S9_PKT4_PKT5_S7_PT6_21rocsparse_index_base_b.kd
    .uniform_work_group_size: 1
    .uses_dynamic_stack: false
    .vgpr_count:     48
    .vgpr_spill_count: 0
    .wavefront_size: 32
    .workgroup_processor_mode: 1
  - .args:
      - .offset:         0
        .size:           4
        .value_kind:     by_value
      - .offset:         4
        .size:           4
        .value_kind:     by_value
      - .offset:         8
        .size:           8
        .value_kind:     by_value
      - .offset:         16
        .size:           4
        .value_kind:     by_value
      - .actual_access:  read_only
        .address_space:  global
        .offset:         24
        .size:           8
        .value_kind:     global_buffer
      - .actual_access:  read_only
        .address_space:  global
        .offset:         32
        .size:           8
        .value_kind:     global_buffer
      - .actual_access:  read_only
        .address_space:  global
        .offset:         40
        .size:           8
        .value_kind:     global_buffer
      - .actual_access:  read_only
        .address_space:  global
        .offset:         48
        .size:           8
        .value_kind:     global_buffer
      - .actual_access:  read_only
        .address_space:  global
        .offset:         56
        .size:           8
        .value_kind:     global_buffer
      - .actual_access:  read_only
        .address_space:  global
        .offset:         64
        .size:           8
        .value_kind:     global_buffer
      - .offset:         72
        .size:           8
        .value_kind:     by_value
      - .address_space:  global
        .offset:         80
        .size:           8
        .value_kind:     global_buffer
      - .offset:         88
        .size:           4
        .value_kind:     by_value
      - .offset:         92
        .size:           1
        .value_kind:     by_value
    .group_segment_fixed_size: 0
    .kernarg_segment_align: 8
    .kernarg_segment_size: 96
    .language:       OpenCL C
    .language_version:
      - 2
      - 0
    .max_flat_workgroup_size: 256
    .name:           _ZN9rocsparseL18bsrxmvn_3x3_kernelILj256ELj64E21rocsparse_complex_numIfEliS2_S2_S2_EEvT3_20rocsparse_direction_NS_24const_host_device_scalarIT1_EES3_PKS3_PKT2_SC_S9_PKT4_PKT5_S7_PT6_21rocsparse_index_base_b
    .private_segment_fixed_size: 0
    .sgpr_count:     16
    .sgpr_spill_count: 0
    .symbol:         _ZN9rocsparseL18bsrxmvn_3x3_kernelILj256ELj64E21rocsparse_complex_numIfEliS2_S2_S2_EEvT3_20rocsparse_direction_NS_24const_host_device_scalarIT1_EES3_PKS3_PKT2_SC_S9_PKT4_PKT5_S7_PT6_21rocsparse_index_base_b.kd
    .uniform_work_group_size: 1
    .uses_dynamic_stack: false
    .vgpr_count:     48
    .vgpr_spill_count: 0
    .wavefront_size: 32
    .workgroup_processor_mode: 1
  - .args:
      - .offset:         0
        .size:           4
        .value_kind:     by_value
      - .offset:         4
        .size:           4
        .value_kind:     by_value
      - .offset:         8
        .size:           16
        .value_kind:     by_value
      - .offset:         24
        .size:           4
        .value_kind:     by_value
      - .actual_access:  read_only
        .address_space:  global
        .offset:         32
        .size:           8
        .value_kind:     global_buffer
      - .actual_access:  read_only
        .address_space:  global
        .offset:         40
        .size:           8
        .value_kind:     global_buffer
      - .actual_access:  read_only
        .address_space:  global
        .offset:         48
        .size:           8
        .value_kind:     global_buffer
      - .actual_access:  read_only
        .address_space:  global
        .offset:         56
        .size:           8
        .value_kind:     global_buffer
      - .actual_access:  read_only
        .address_space:  global
        .offset:         64
        .size:           8
        .value_kind:     global_buffer
      - .actual_access:  read_only
        .address_space:  global
        .offset:         72
        .size:           8
        .value_kind:     global_buffer
      - .offset:         80
        .size:           16
        .value_kind:     by_value
      - .address_space:  global
        .offset:         96
        .size:           8
        .value_kind:     global_buffer
      - .offset:         104
        .size:           4
        .value_kind:     by_value
      - .offset:         108
        .size:           1
        .value_kind:     by_value
    .group_segment_fixed_size: 0
    .kernarg_segment_align: 8
    .kernarg_segment_size: 112
    .language:       OpenCL C
    .language_version:
      - 2
      - 0
    .max_flat_workgroup_size: 256
    .name:           _ZN9rocsparseL18bsrxmvn_3x3_kernelILj256ELj4E21rocsparse_complex_numIdEliS2_S2_S2_EEvT3_20rocsparse_direction_NS_24const_host_device_scalarIT1_EES3_PKS3_PKT2_SC_S9_PKT4_PKT5_S7_PT6_21rocsparse_index_base_b
    .private_segment_fixed_size: 0
    .sgpr_count:     16
    .sgpr_spill_count: 0
    .symbol:         _ZN9rocsparseL18bsrxmvn_3x3_kernelILj256ELj4E21rocsparse_complex_numIdEliS2_S2_S2_EEvT3_20rocsparse_direction_NS_24const_host_device_scalarIT1_EES3_PKS3_PKT2_SC_S9_PKT4_PKT5_S7_PT6_21rocsparse_index_base_b.kd
    .uniform_work_group_size: 1
    .uses_dynamic_stack: false
    .vgpr_count:     82
    .vgpr_spill_count: 0
    .wavefront_size: 32
    .workgroup_processor_mode: 1
  - .args:
      - .offset:         0
        .size:           4
        .value_kind:     by_value
      - .offset:         4
        .size:           4
        .value_kind:     by_value
      - .offset:         8
        .size:           16
        .value_kind:     by_value
      - .offset:         24
        .size:           4
        .value_kind:     by_value
      - .actual_access:  read_only
        .address_space:  global
        .offset:         32
        .size:           8
        .value_kind:     global_buffer
      - .actual_access:  read_only
        .address_space:  global
        .offset:         40
        .size:           8
        .value_kind:     global_buffer
      - .actual_access:  read_only
        .address_space:  global
        .offset:         48
        .size:           8
        .value_kind:     global_buffer
      - .actual_access:  read_only
        .address_space:  global
        .offset:         56
        .size:           8
        .value_kind:     global_buffer
      - .actual_access:  read_only
        .address_space:  global
        .offset:         64
        .size:           8
        .value_kind:     global_buffer
      - .actual_access:  read_only
        .address_space:  global
        .offset:         72
        .size:           8
        .value_kind:     global_buffer
      - .offset:         80
        .size:           16
        .value_kind:     by_value
      - .address_space:  global
        .offset:         96
        .size:           8
        .value_kind:     global_buffer
      - .offset:         104
        .size:           4
        .value_kind:     by_value
      - .offset:         108
        .size:           1
        .value_kind:     by_value
    .group_segment_fixed_size: 0
    .kernarg_segment_align: 8
    .kernarg_segment_size: 112
    .language:       OpenCL C
    .language_version:
      - 2
      - 0
    .max_flat_workgroup_size: 256
    .name:           _ZN9rocsparseL18bsrxmvn_3x3_kernelILj256ELj8E21rocsparse_complex_numIdEliS2_S2_S2_EEvT3_20rocsparse_direction_NS_24const_host_device_scalarIT1_EES3_PKS3_PKT2_SC_S9_PKT4_PKT5_S7_PT6_21rocsparse_index_base_b
    .private_segment_fixed_size: 0
    .sgpr_count:     16
    .sgpr_spill_count: 0
    .symbol:         _ZN9rocsparseL18bsrxmvn_3x3_kernelILj256ELj8E21rocsparse_complex_numIdEliS2_S2_S2_EEvT3_20rocsparse_direction_NS_24const_host_device_scalarIT1_EES3_PKS3_PKT2_SC_S9_PKT4_PKT5_S7_PT6_21rocsparse_index_base_b.kd
    .uniform_work_group_size: 1
    .uses_dynamic_stack: false
    .vgpr_count:     82
    .vgpr_spill_count: 0
    .wavefront_size: 32
    .workgroup_processor_mode: 1
  - .args:
      - .offset:         0
        .size:           4
        .value_kind:     by_value
      - .offset:         4
        .size:           4
        .value_kind:     by_value
      - .offset:         8
        .size:           16
        .value_kind:     by_value
      - .offset:         24
        .size:           4
        .value_kind:     by_value
      - .actual_access:  read_only
        .address_space:  global
        .offset:         32
        .size:           8
        .value_kind:     global_buffer
      - .actual_access:  read_only
        .address_space:  global
        .offset:         40
        .size:           8
        .value_kind:     global_buffer
      - .actual_access:  read_only
        .address_space:  global
        .offset:         48
        .size:           8
        .value_kind:     global_buffer
      - .actual_access:  read_only
        .address_space:  global
        .offset:         56
        .size:           8
        .value_kind:     global_buffer
      - .actual_access:  read_only
        .address_space:  global
        .offset:         64
        .size:           8
        .value_kind:     global_buffer
      - .actual_access:  read_only
        .address_space:  global
        .offset:         72
        .size:           8
        .value_kind:     global_buffer
      - .offset:         80
        .size:           16
        .value_kind:     by_value
      - .address_space:  global
        .offset:         96
        .size:           8
        .value_kind:     global_buffer
      - .offset:         104
        .size:           4
        .value_kind:     by_value
      - .offset:         108
        .size:           1
        .value_kind:     by_value
    .group_segment_fixed_size: 0
    .kernarg_segment_align: 8
    .kernarg_segment_size: 112
    .language:       OpenCL C
    .language_version:
      - 2
      - 0
    .max_flat_workgroup_size: 256
    .name:           _ZN9rocsparseL18bsrxmvn_3x3_kernelILj256ELj16E21rocsparse_complex_numIdEliS2_S2_S2_EEvT3_20rocsparse_direction_NS_24const_host_device_scalarIT1_EES3_PKS3_PKT2_SC_S9_PKT4_PKT5_S7_PT6_21rocsparse_index_base_b
    .private_segment_fixed_size: 0
    .sgpr_count:     16
    .sgpr_spill_count: 0
    .symbol:         _ZN9rocsparseL18bsrxmvn_3x3_kernelILj256ELj16E21rocsparse_complex_numIdEliS2_S2_S2_EEvT3_20rocsparse_direction_NS_24const_host_device_scalarIT1_EES3_PKS3_PKT2_SC_S9_PKT4_PKT5_S7_PT6_21rocsparse_index_base_b.kd
    .uniform_work_group_size: 1
    .uses_dynamic_stack: false
    .vgpr_count:     82
    .vgpr_spill_count: 0
    .wavefront_size: 32
    .workgroup_processor_mode: 1
  - .args:
      - .offset:         0
        .size:           4
        .value_kind:     by_value
      - .offset:         4
        .size:           4
        .value_kind:     by_value
      - .offset:         8
        .size:           16
        .value_kind:     by_value
      - .offset:         24
        .size:           4
        .value_kind:     by_value
      - .actual_access:  read_only
        .address_space:  global
        .offset:         32
        .size:           8
        .value_kind:     global_buffer
      - .actual_access:  read_only
        .address_space:  global
        .offset:         40
        .size:           8
        .value_kind:     global_buffer
      - .actual_access:  read_only
        .address_space:  global
        .offset:         48
        .size:           8
        .value_kind:     global_buffer
      - .actual_access:  read_only
        .address_space:  global
        .offset:         56
        .size:           8
        .value_kind:     global_buffer
      - .actual_access:  read_only
        .address_space:  global
        .offset:         64
        .size:           8
        .value_kind:     global_buffer
      - .actual_access:  read_only
        .address_space:  global
        .offset:         72
        .size:           8
        .value_kind:     global_buffer
      - .offset:         80
        .size:           16
        .value_kind:     by_value
      - .address_space:  global
        .offset:         96
        .size:           8
        .value_kind:     global_buffer
      - .offset:         104
        .size:           4
        .value_kind:     by_value
      - .offset:         108
        .size:           1
        .value_kind:     by_value
    .group_segment_fixed_size: 0
    .kernarg_segment_align: 8
    .kernarg_segment_size: 112
    .language:       OpenCL C
    .language_version:
      - 2
      - 0
    .max_flat_workgroup_size: 256
    .name:           _ZN9rocsparseL18bsrxmvn_3x3_kernelILj256ELj32E21rocsparse_complex_numIdEliS2_S2_S2_EEvT3_20rocsparse_direction_NS_24const_host_device_scalarIT1_EES3_PKS3_PKT2_SC_S9_PKT4_PKT5_S7_PT6_21rocsparse_index_base_b
    .private_segment_fixed_size: 0
    .sgpr_count:     16
    .sgpr_spill_count: 0
    .symbol:         _ZN9rocsparseL18bsrxmvn_3x3_kernelILj256ELj32E21rocsparse_complex_numIdEliS2_S2_S2_EEvT3_20rocsparse_direction_NS_24const_host_device_scalarIT1_EES3_PKS3_PKT2_SC_S9_PKT4_PKT5_S7_PT6_21rocsparse_index_base_b.kd
    .uniform_work_group_size: 1
    .uses_dynamic_stack: false
    .vgpr_count:     82
    .vgpr_spill_count: 0
    .wavefront_size: 32
    .workgroup_processor_mode: 1
  - .args:
      - .offset:         0
        .size:           4
        .value_kind:     by_value
      - .offset:         4
        .size:           4
        .value_kind:     by_value
      - .offset:         8
        .size:           16
        .value_kind:     by_value
      - .offset:         24
        .size:           4
        .value_kind:     by_value
      - .actual_access:  read_only
        .address_space:  global
        .offset:         32
        .size:           8
        .value_kind:     global_buffer
      - .actual_access:  read_only
        .address_space:  global
        .offset:         40
        .size:           8
        .value_kind:     global_buffer
      - .actual_access:  read_only
        .address_space:  global
        .offset:         48
        .size:           8
        .value_kind:     global_buffer
      - .actual_access:  read_only
        .address_space:  global
        .offset:         56
        .size:           8
        .value_kind:     global_buffer
      - .actual_access:  read_only
        .address_space:  global
        .offset:         64
        .size:           8
        .value_kind:     global_buffer
      - .actual_access:  read_only
        .address_space:  global
        .offset:         72
        .size:           8
        .value_kind:     global_buffer
      - .offset:         80
        .size:           16
        .value_kind:     by_value
      - .address_space:  global
        .offset:         96
        .size:           8
        .value_kind:     global_buffer
      - .offset:         104
        .size:           4
        .value_kind:     by_value
      - .offset:         108
        .size:           1
        .value_kind:     by_value
    .group_segment_fixed_size: 0
    .kernarg_segment_align: 8
    .kernarg_segment_size: 112
    .language:       OpenCL C
    .language_version:
      - 2
      - 0
    .max_flat_workgroup_size: 256
    .name:           _ZN9rocsparseL18bsrxmvn_3x3_kernelILj256ELj64E21rocsparse_complex_numIdEliS2_S2_S2_EEvT3_20rocsparse_direction_NS_24const_host_device_scalarIT1_EES3_PKS3_PKT2_SC_S9_PKT4_PKT5_S7_PT6_21rocsparse_index_base_b
    .private_segment_fixed_size: 0
    .sgpr_count:     16
    .sgpr_spill_count: 0
    .symbol:         _ZN9rocsparseL18bsrxmvn_3x3_kernelILj256ELj64E21rocsparse_complex_numIdEliS2_S2_S2_EEvT3_20rocsparse_direction_NS_24const_host_device_scalarIT1_EES3_PKS3_PKT2_SC_S9_PKT4_PKT5_S7_PT6_21rocsparse_index_base_b.kd
    .uniform_work_group_size: 1
    .uses_dynamic_stack: false
    .vgpr_count:     82
    .vgpr_spill_count: 0
    .wavefront_size: 32
    .workgroup_processor_mode: 1
  - .args:
      - .offset:         0
        .size:           8
        .value_kind:     by_value
      - .offset:         8
        .size:           4
        .value_kind:     by_value
      - .offset:         16
        .size:           8
        .value_kind:     by_value
      - .offset:         24
        .size:           8
        .value_kind:     by_value
      - .actual_access:  read_only
        .address_space:  global
        .offset:         32
        .size:           8
        .value_kind:     global_buffer
      - .actual_access:  read_only
        .address_space:  global
        .offset:         40
        .size:           8
        .value_kind:     global_buffer
      - .actual_access:  read_only
        .address_space:  global
        .offset:         48
        .size:           8
        .value_kind:     global_buffer
      - .actual_access:  read_only
        .address_space:  global
        .offset:         56
        .size:           8
        .value_kind:     global_buffer
      - .actual_access:  read_only
        .address_space:  global
        .offset:         64
        .size:           8
        .value_kind:     global_buffer
      - .actual_access:  read_only
        .address_space:  global
        .offset:         72
        .size:           8
        .value_kind:     global_buffer
      - .offset:         80
        .size:           8
        .value_kind:     by_value
      - .address_space:  global
        .offset:         88
        .size:           8
        .value_kind:     global_buffer
      - .offset:         96
        .size:           4
        .value_kind:     by_value
      - .offset:         100
        .size:           1
        .value_kind:     by_value
    .group_segment_fixed_size: 0
    .kernarg_segment_align: 8
    .kernarg_segment_size: 104
    .language:       OpenCL C
    .language_version:
      - 2
      - 0
    .max_flat_workgroup_size: 256
    .name:           _ZN9rocsparseL18bsrxmvn_3x3_kernelILj256ELj4EfllfffEEvT3_20rocsparse_direction_NS_24const_host_device_scalarIT1_EES1_PKS1_PKT2_SA_S7_PKT4_PKT5_S5_PT6_21rocsparse_index_base_b
    .private_segment_fixed_size: 0
    .sgpr_count:     20
    .sgpr_spill_count: 0
    .symbol:         _ZN9rocsparseL18bsrxmvn_3x3_kernelILj256ELj4EfllfffEEvT3_20rocsparse_direction_NS_24const_host_device_scalarIT1_EES1_PKS1_PKT2_SA_S7_PKT4_PKT5_S5_PT6_21rocsparse_index_base_b.kd
    .uniform_work_group_size: 1
    .uses_dynamic_stack: false
    .vgpr_count:     32
    .vgpr_spill_count: 0
    .wavefront_size: 32
    .workgroup_processor_mode: 1
  - .args:
      - .offset:         0
        .size:           8
        .value_kind:     by_value
      - .offset:         8
        .size:           4
        .value_kind:     by_value
      - .offset:         16
        .size:           8
        .value_kind:     by_value
      - .offset:         24
        .size:           8
        .value_kind:     by_value
      - .actual_access:  read_only
        .address_space:  global
        .offset:         32
        .size:           8
        .value_kind:     global_buffer
      - .actual_access:  read_only
        .address_space:  global
        .offset:         40
        .size:           8
        .value_kind:     global_buffer
      - .actual_access:  read_only
        .address_space:  global
        .offset:         48
        .size:           8
        .value_kind:     global_buffer
      - .actual_access:  read_only
        .address_space:  global
        .offset:         56
        .size:           8
        .value_kind:     global_buffer
      - .actual_access:  read_only
        .address_space:  global
        .offset:         64
        .size:           8
        .value_kind:     global_buffer
      - .actual_access:  read_only
        .address_space:  global
        .offset:         72
        .size:           8
        .value_kind:     global_buffer
      - .offset:         80
        .size:           8
        .value_kind:     by_value
      - .address_space:  global
        .offset:         88
        .size:           8
        .value_kind:     global_buffer
      - .offset:         96
        .size:           4
        .value_kind:     by_value
      - .offset:         100
        .size:           1
        .value_kind:     by_value
    .group_segment_fixed_size: 0
    .kernarg_segment_align: 8
    .kernarg_segment_size: 104
    .language:       OpenCL C
    .language_version:
      - 2
      - 0
    .max_flat_workgroup_size: 256
    .name:           _ZN9rocsparseL18bsrxmvn_3x3_kernelILj256ELj8EfllfffEEvT3_20rocsparse_direction_NS_24const_host_device_scalarIT1_EES1_PKS1_PKT2_SA_S7_PKT4_PKT5_S5_PT6_21rocsparse_index_base_b
    .private_segment_fixed_size: 0
    .sgpr_count:     20
    .sgpr_spill_count: 0
    .symbol:         _ZN9rocsparseL18bsrxmvn_3x3_kernelILj256ELj8EfllfffEEvT3_20rocsparse_direction_NS_24const_host_device_scalarIT1_EES1_PKS1_PKT2_SA_S7_PKT4_PKT5_S5_PT6_21rocsparse_index_base_b.kd
    .uniform_work_group_size: 1
    .uses_dynamic_stack: false
    .vgpr_count:     32
    .vgpr_spill_count: 0
    .wavefront_size: 32
    .workgroup_processor_mode: 1
  - .args:
      - .offset:         0
        .size:           8
        .value_kind:     by_value
      - .offset:         8
        .size:           4
        .value_kind:     by_value
      - .offset:         16
        .size:           8
        .value_kind:     by_value
      - .offset:         24
        .size:           8
        .value_kind:     by_value
      - .actual_access:  read_only
        .address_space:  global
        .offset:         32
        .size:           8
        .value_kind:     global_buffer
      - .actual_access:  read_only
        .address_space:  global
        .offset:         40
        .size:           8
        .value_kind:     global_buffer
      - .actual_access:  read_only
        .address_space:  global
        .offset:         48
        .size:           8
        .value_kind:     global_buffer
      - .actual_access:  read_only
        .address_space:  global
        .offset:         56
        .size:           8
        .value_kind:     global_buffer
      - .actual_access:  read_only
        .address_space:  global
        .offset:         64
        .size:           8
        .value_kind:     global_buffer
      - .actual_access:  read_only
        .address_space:  global
        .offset:         72
        .size:           8
        .value_kind:     global_buffer
      - .offset:         80
        .size:           8
        .value_kind:     by_value
      - .address_space:  global
        .offset:         88
        .size:           8
        .value_kind:     global_buffer
      - .offset:         96
        .size:           4
        .value_kind:     by_value
      - .offset:         100
        .size:           1
        .value_kind:     by_value
    .group_segment_fixed_size: 0
    .kernarg_segment_align: 8
    .kernarg_segment_size: 104
    .language:       OpenCL C
    .language_version:
      - 2
      - 0
    .max_flat_workgroup_size: 256
    .name:           _ZN9rocsparseL18bsrxmvn_3x3_kernelILj256ELj16EfllfffEEvT3_20rocsparse_direction_NS_24const_host_device_scalarIT1_EES1_PKS1_PKT2_SA_S7_PKT4_PKT5_S5_PT6_21rocsparse_index_base_b
    .private_segment_fixed_size: 0
    .sgpr_count:     20
    .sgpr_spill_count: 0
    .symbol:         _ZN9rocsparseL18bsrxmvn_3x3_kernelILj256ELj16EfllfffEEvT3_20rocsparse_direction_NS_24const_host_device_scalarIT1_EES1_PKS1_PKT2_SA_S7_PKT4_PKT5_S5_PT6_21rocsparse_index_base_b.kd
    .uniform_work_group_size: 1
    .uses_dynamic_stack: false
    .vgpr_count:     32
    .vgpr_spill_count: 0
    .wavefront_size: 32
    .workgroup_processor_mode: 1
  - .args:
      - .offset:         0
        .size:           8
        .value_kind:     by_value
      - .offset:         8
        .size:           4
        .value_kind:     by_value
      - .offset:         16
        .size:           8
        .value_kind:     by_value
      - .offset:         24
        .size:           8
        .value_kind:     by_value
      - .actual_access:  read_only
        .address_space:  global
        .offset:         32
        .size:           8
        .value_kind:     global_buffer
      - .actual_access:  read_only
        .address_space:  global
        .offset:         40
        .size:           8
        .value_kind:     global_buffer
      - .actual_access:  read_only
        .address_space:  global
        .offset:         48
        .size:           8
        .value_kind:     global_buffer
      - .actual_access:  read_only
        .address_space:  global
        .offset:         56
        .size:           8
        .value_kind:     global_buffer
      - .actual_access:  read_only
        .address_space:  global
        .offset:         64
        .size:           8
        .value_kind:     global_buffer
      - .actual_access:  read_only
        .address_space:  global
        .offset:         72
        .size:           8
        .value_kind:     global_buffer
      - .offset:         80
        .size:           8
        .value_kind:     by_value
      - .address_space:  global
        .offset:         88
        .size:           8
        .value_kind:     global_buffer
      - .offset:         96
        .size:           4
        .value_kind:     by_value
      - .offset:         100
        .size:           1
        .value_kind:     by_value
    .group_segment_fixed_size: 0
    .kernarg_segment_align: 8
    .kernarg_segment_size: 104
    .language:       OpenCL C
    .language_version:
      - 2
      - 0
    .max_flat_workgroup_size: 256
    .name:           _ZN9rocsparseL18bsrxmvn_3x3_kernelILj256ELj32EfllfffEEvT3_20rocsparse_direction_NS_24const_host_device_scalarIT1_EES1_PKS1_PKT2_SA_S7_PKT4_PKT5_S5_PT6_21rocsparse_index_base_b
    .private_segment_fixed_size: 0
    .sgpr_count:     20
    .sgpr_spill_count: 0
    .symbol:         _ZN9rocsparseL18bsrxmvn_3x3_kernelILj256ELj32EfllfffEEvT3_20rocsparse_direction_NS_24const_host_device_scalarIT1_EES1_PKS1_PKT2_SA_S7_PKT4_PKT5_S5_PT6_21rocsparse_index_base_b.kd
    .uniform_work_group_size: 1
    .uses_dynamic_stack: false
    .vgpr_count:     32
    .vgpr_spill_count: 0
    .wavefront_size: 32
    .workgroup_processor_mode: 1
  - .args:
      - .offset:         0
        .size:           8
        .value_kind:     by_value
      - .offset:         8
        .size:           4
        .value_kind:     by_value
      - .offset:         16
        .size:           8
        .value_kind:     by_value
      - .offset:         24
        .size:           8
        .value_kind:     by_value
      - .actual_access:  read_only
        .address_space:  global
        .offset:         32
        .size:           8
        .value_kind:     global_buffer
      - .actual_access:  read_only
        .address_space:  global
        .offset:         40
        .size:           8
        .value_kind:     global_buffer
      - .actual_access:  read_only
        .address_space:  global
        .offset:         48
        .size:           8
        .value_kind:     global_buffer
      - .actual_access:  read_only
        .address_space:  global
        .offset:         56
        .size:           8
        .value_kind:     global_buffer
      - .actual_access:  read_only
        .address_space:  global
        .offset:         64
        .size:           8
        .value_kind:     global_buffer
      - .actual_access:  read_only
        .address_space:  global
        .offset:         72
        .size:           8
        .value_kind:     global_buffer
      - .offset:         80
        .size:           8
        .value_kind:     by_value
      - .address_space:  global
        .offset:         88
        .size:           8
        .value_kind:     global_buffer
      - .offset:         96
        .size:           4
        .value_kind:     by_value
      - .offset:         100
        .size:           1
        .value_kind:     by_value
    .group_segment_fixed_size: 0
    .kernarg_segment_align: 8
    .kernarg_segment_size: 104
    .language:       OpenCL C
    .language_version:
      - 2
      - 0
    .max_flat_workgroup_size: 256
    .name:           _ZN9rocsparseL18bsrxmvn_3x3_kernelILj256ELj64EfllfffEEvT3_20rocsparse_direction_NS_24const_host_device_scalarIT1_EES1_PKS1_PKT2_SA_S7_PKT4_PKT5_S5_PT6_21rocsparse_index_base_b
    .private_segment_fixed_size: 0
    .sgpr_count:     20
    .sgpr_spill_count: 0
    .symbol:         _ZN9rocsparseL18bsrxmvn_3x3_kernelILj256ELj64EfllfffEEvT3_20rocsparse_direction_NS_24const_host_device_scalarIT1_EES1_PKS1_PKT2_SA_S7_PKT4_PKT5_S5_PT6_21rocsparse_index_base_b.kd
    .uniform_work_group_size: 1
    .uses_dynamic_stack: false
    .vgpr_count:     32
    .vgpr_spill_count: 0
    .wavefront_size: 32
    .workgroup_processor_mode: 1
  - .args:
      - .offset:         0
        .size:           8
        .value_kind:     by_value
      - .offset:         8
        .size:           4
        .value_kind:     by_value
      - .offset:         16
        .size:           8
        .value_kind:     by_value
      - .offset:         24
        .size:           8
        .value_kind:     by_value
      - .actual_access:  read_only
        .address_space:  global
        .offset:         32
        .size:           8
        .value_kind:     global_buffer
      - .actual_access:  read_only
        .address_space:  global
        .offset:         40
        .size:           8
        .value_kind:     global_buffer
      - .actual_access:  read_only
        .address_space:  global
        .offset:         48
        .size:           8
        .value_kind:     global_buffer
      - .actual_access:  read_only
        .address_space:  global
        .offset:         56
        .size:           8
        .value_kind:     global_buffer
      - .actual_access:  read_only
        .address_space:  global
        .offset:         64
        .size:           8
        .value_kind:     global_buffer
      - .actual_access:  read_only
        .address_space:  global
        .offset:         72
        .size:           8
        .value_kind:     global_buffer
      - .offset:         80
        .size:           8
        .value_kind:     by_value
      - .address_space:  global
        .offset:         88
        .size:           8
        .value_kind:     global_buffer
      - .offset:         96
        .size:           4
        .value_kind:     by_value
      - .offset:         100
        .size:           1
        .value_kind:     by_value
    .group_segment_fixed_size: 0
    .kernarg_segment_align: 8
    .kernarg_segment_size: 104
    .language:       OpenCL C
    .language_version:
      - 2
      - 0
    .max_flat_workgroup_size: 256
    .name:           _ZN9rocsparseL18bsrxmvn_3x3_kernelILj256ELj4EdlldddEEvT3_20rocsparse_direction_NS_24const_host_device_scalarIT1_EES1_PKS1_PKT2_SA_S7_PKT4_PKT5_S5_PT6_21rocsparse_index_base_b
    .private_segment_fixed_size: 0
    .sgpr_count:     14
    .sgpr_spill_count: 0
    .symbol:         _ZN9rocsparseL18bsrxmvn_3x3_kernelILj256ELj4EdlldddEEvT3_20rocsparse_direction_NS_24const_host_device_scalarIT1_EES1_PKS1_PKT2_SA_S7_PKT4_PKT5_S5_PT6_21rocsparse_index_base_b.kd
    .uniform_work_group_size: 1
    .uses_dynamic_stack: false
    .vgpr_count:     53
    .vgpr_spill_count: 0
    .wavefront_size: 32
    .workgroup_processor_mode: 1
  - .args:
      - .offset:         0
        .size:           8
        .value_kind:     by_value
      - .offset:         8
        .size:           4
        .value_kind:     by_value
      - .offset:         16
        .size:           8
        .value_kind:     by_value
      - .offset:         24
        .size:           8
        .value_kind:     by_value
      - .actual_access:  read_only
        .address_space:  global
        .offset:         32
        .size:           8
        .value_kind:     global_buffer
      - .actual_access:  read_only
        .address_space:  global
        .offset:         40
        .size:           8
        .value_kind:     global_buffer
      - .actual_access:  read_only
        .address_space:  global
        .offset:         48
        .size:           8
        .value_kind:     global_buffer
      - .actual_access:  read_only
        .address_space:  global
        .offset:         56
        .size:           8
        .value_kind:     global_buffer
      - .actual_access:  read_only
        .address_space:  global
        .offset:         64
        .size:           8
        .value_kind:     global_buffer
      - .actual_access:  read_only
        .address_space:  global
        .offset:         72
        .size:           8
        .value_kind:     global_buffer
      - .offset:         80
        .size:           8
        .value_kind:     by_value
      - .address_space:  global
        .offset:         88
        .size:           8
        .value_kind:     global_buffer
      - .offset:         96
        .size:           4
        .value_kind:     by_value
      - .offset:         100
        .size:           1
        .value_kind:     by_value
    .group_segment_fixed_size: 0
    .kernarg_segment_align: 8
    .kernarg_segment_size: 104
    .language:       OpenCL C
    .language_version:
      - 2
      - 0
    .max_flat_workgroup_size: 256
    .name:           _ZN9rocsparseL18bsrxmvn_3x3_kernelILj256ELj8EdlldddEEvT3_20rocsparse_direction_NS_24const_host_device_scalarIT1_EES1_PKS1_PKT2_SA_S7_PKT4_PKT5_S5_PT6_21rocsparse_index_base_b
    .private_segment_fixed_size: 0
    .sgpr_count:     14
    .sgpr_spill_count: 0
    .symbol:         _ZN9rocsparseL18bsrxmvn_3x3_kernelILj256ELj8EdlldddEEvT3_20rocsparse_direction_NS_24const_host_device_scalarIT1_EES1_PKS1_PKT2_SA_S7_PKT4_PKT5_S5_PT6_21rocsparse_index_base_b.kd
    .uniform_work_group_size: 1
    .uses_dynamic_stack: false
    .vgpr_count:     53
    .vgpr_spill_count: 0
    .wavefront_size: 32
    .workgroup_processor_mode: 1
  - .args:
      - .offset:         0
        .size:           8
        .value_kind:     by_value
      - .offset:         8
        .size:           4
        .value_kind:     by_value
      - .offset:         16
        .size:           8
        .value_kind:     by_value
      - .offset:         24
        .size:           8
        .value_kind:     by_value
      - .actual_access:  read_only
        .address_space:  global
        .offset:         32
        .size:           8
        .value_kind:     global_buffer
      - .actual_access:  read_only
        .address_space:  global
        .offset:         40
        .size:           8
        .value_kind:     global_buffer
      - .actual_access:  read_only
        .address_space:  global
        .offset:         48
        .size:           8
        .value_kind:     global_buffer
      - .actual_access:  read_only
        .address_space:  global
        .offset:         56
        .size:           8
        .value_kind:     global_buffer
      - .actual_access:  read_only
        .address_space:  global
        .offset:         64
        .size:           8
        .value_kind:     global_buffer
      - .actual_access:  read_only
        .address_space:  global
        .offset:         72
        .size:           8
        .value_kind:     global_buffer
      - .offset:         80
        .size:           8
        .value_kind:     by_value
      - .address_space:  global
        .offset:         88
        .size:           8
        .value_kind:     global_buffer
      - .offset:         96
        .size:           4
        .value_kind:     by_value
      - .offset:         100
        .size:           1
        .value_kind:     by_value
    .group_segment_fixed_size: 0
    .kernarg_segment_align: 8
    .kernarg_segment_size: 104
    .language:       OpenCL C
    .language_version:
      - 2
      - 0
    .max_flat_workgroup_size: 256
    .name:           _ZN9rocsparseL18bsrxmvn_3x3_kernelILj256ELj16EdlldddEEvT3_20rocsparse_direction_NS_24const_host_device_scalarIT1_EES1_PKS1_PKT2_SA_S7_PKT4_PKT5_S5_PT6_21rocsparse_index_base_b
    .private_segment_fixed_size: 0
    .sgpr_count:     14
    .sgpr_spill_count: 0
    .symbol:         _ZN9rocsparseL18bsrxmvn_3x3_kernelILj256ELj16EdlldddEEvT3_20rocsparse_direction_NS_24const_host_device_scalarIT1_EES1_PKS1_PKT2_SA_S7_PKT4_PKT5_S5_PT6_21rocsparse_index_base_b.kd
    .uniform_work_group_size: 1
    .uses_dynamic_stack: false
    .vgpr_count:     53
    .vgpr_spill_count: 0
    .wavefront_size: 32
    .workgroup_processor_mode: 1
  - .args:
      - .offset:         0
        .size:           8
        .value_kind:     by_value
      - .offset:         8
        .size:           4
        .value_kind:     by_value
      - .offset:         16
        .size:           8
        .value_kind:     by_value
      - .offset:         24
        .size:           8
        .value_kind:     by_value
      - .actual_access:  read_only
        .address_space:  global
        .offset:         32
        .size:           8
        .value_kind:     global_buffer
      - .actual_access:  read_only
        .address_space:  global
        .offset:         40
        .size:           8
        .value_kind:     global_buffer
      - .actual_access:  read_only
        .address_space:  global
        .offset:         48
        .size:           8
        .value_kind:     global_buffer
      - .actual_access:  read_only
        .address_space:  global
        .offset:         56
        .size:           8
        .value_kind:     global_buffer
      - .actual_access:  read_only
        .address_space:  global
        .offset:         64
        .size:           8
        .value_kind:     global_buffer
      - .actual_access:  read_only
        .address_space:  global
        .offset:         72
        .size:           8
        .value_kind:     global_buffer
      - .offset:         80
        .size:           8
        .value_kind:     by_value
      - .address_space:  global
        .offset:         88
        .size:           8
        .value_kind:     global_buffer
      - .offset:         96
        .size:           4
        .value_kind:     by_value
      - .offset:         100
        .size:           1
        .value_kind:     by_value
    .group_segment_fixed_size: 0
    .kernarg_segment_align: 8
    .kernarg_segment_size: 104
    .language:       OpenCL C
    .language_version:
      - 2
      - 0
    .max_flat_workgroup_size: 256
    .name:           _ZN9rocsparseL18bsrxmvn_3x3_kernelILj256ELj32EdlldddEEvT3_20rocsparse_direction_NS_24const_host_device_scalarIT1_EES1_PKS1_PKT2_SA_S7_PKT4_PKT5_S5_PT6_21rocsparse_index_base_b
    .private_segment_fixed_size: 0
    .sgpr_count:     14
    .sgpr_spill_count: 0
    .symbol:         _ZN9rocsparseL18bsrxmvn_3x3_kernelILj256ELj32EdlldddEEvT3_20rocsparse_direction_NS_24const_host_device_scalarIT1_EES1_PKS1_PKT2_SA_S7_PKT4_PKT5_S5_PT6_21rocsparse_index_base_b.kd
    .uniform_work_group_size: 1
    .uses_dynamic_stack: false
    .vgpr_count:     53
    .vgpr_spill_count: 0
    .wavefront_size: 32
    .workgroup_processor_mode: 1
  - .args:
      - .offset:         0
        .size:           8
        .value_kind:     by_value
      - .offset:         8
        .size:           4
        .value_kind:     by_value
      - .offset:         16
        .size:           8
        .value_kind:     by_value
      - .offset:         24
        .size:           8
        .value_kind:     by_value
      - .actual_access:  read_only
        .address_space:  global
        .offset:         32
        .size:           8
        .value_kind:     global_buffer
      - .actual_access:  read_only
        .address_space:  global
        .offset:         40
        .size:           8
        .value_kind:     global_buffer
      - .actual_access:  read_only
        .address_space:  global
        .offset:         48
        .size:           8
        .value_kind:     global_buffer
      - .actual_access:  read_only
        .address_space:  global
        .offset:         56
        .size:           8
        .value_kind:     global_buffer
      - .actual_access:  read_only
        .address_space:  global
        .offset:         64
        .size:           8
        .value_kind:     global_buffer
      - .actual_access:  read_only
        .address_space:  global
        .offset:         72
        .size:           8
        .value_kind:     global_buffer
      - .offset:         80
        .size:           8
        .value_kind:     by_value
      - .address_space:  global
        .offset:         88
        .size:           8
        .value_kind:     global_buffer
      - .offset:         96
        .size:           4
        .value_kind:     by_value
      - .offset:         100
        .size:           1
        .value_kind:     by_value
    .group_segment_fixed_size: 0
    .kernarg_segment_align: 8
    .kernarg_segment_size: 104
    .language:       OpenCL C
    .language_version:
      - 2
      - 0
    .max_flat_workgroup_size: 256
    .name:           _ZN9rocsparseL18bsrxmvn_3x3_kernelILj256ELj64EdlldddEEvT3_20rocsparse_direction_NS_24const_host_device_scalarIT1_EES1_PKS1_PKT2_SA_S7_PKT4_PKT5_S5_PT6_21rocsparse_index_base_b
    .private_segment_fixed_size: 0
    .sgpr_count:     14
    .sgpr_spill_count: 0
    .symbol:         _ZN9rocsparseL18bsrxmvn_3x3_kernelILj256ELj64EdlldddEEvT3_20rocsparse_direction_NS_24const_host_device_scalarIT1_EES1_PKS1_PKT2_SA_S7_PKT4_PKT5_S5_PT6_21rocsparse_index_base_b.kd
    .uniform_work_group_size: 1
    .uses_dynamic_stack: false
    .vgpr_count:     53
    .vgpr_spill_count: 0
    .wavefront_size: 32
    .workgroup_processor_mode: 1
  - .args:
      - .offset:         0
        .size:           8
        .value_kind:     by_value
      - .offset:         8
        .size:           4
        .value_kind:     by_value
      - .offset:         16
        .size:           8
        .value_kind:     by_value
      - .offset:         24
        .size:           8
        .value_kind:     by_value
      - .actual_access:  read_only
        .address_space:  global
        .offset:         32
        .size:           8
        .value_kind:     global_buffer
      - .actual_access:  read_only
        .address_space:  global
        .offset:         40
        .size:           8
        .value_kind:     global_buffer
      - .actual_access:  read_only
        .address_space:  global
        .offset:         48
        .size:           8
        .value_kind:     global_buffer
      - .actual_access:  read_only
        .address_space:  global
        .offset:         56
        .size:           8
        .value_kind:     global_buffer
      - .actual_access:  read_only
        .address_space:  global
        .offset:         64
        .size:           8
        .value_kind:     global_buffer
      - .actual_access:  read_only
        .address_space:  global
        .offset:         72
        .size:           8
        .value_kind:     global_buffer
      - .offset:         80
        .size:           8
        .value_kind:     by_value
      - .address_space:  global
        .offset:         88
        .size:           8
        .value_kind:     global_buffer
      - .offset:         96
        .size:           4
        .value_kind:     by_value
      - .offset:         100
        .size:           1
        .value_kind:     by_value
    .group_segment_fixed_size: 0
    .kernarg_segment_align: 8
    .kernarg_segment_size: 104
    .language:       OpenCL C
    .language_version:
      - 2
      - 0
    .max_flat_workgroup_size: 256
    .name:           _ZN9rocsparseL18bsrxmvn_3x3_kernelILj256ELj4E21rocsparse_complex_numIfEllS2_S2_S2_EEvT3_20rocsparse_direction_NS_24const_host_device_scalarIT1_EES3_PKS3_PKT2_SC_S9_PKT4_PKT5_S7_PT6_21rocsparse_index_base_b
    .private_segment_fixed_size: 0
    .sgpr_count:     14
    .sgpr_spill_count: 0
    .symbol:         _ZN9rocsparseL18bsrxmvn_3x3_kernelILj256ELj4E21rocsparse_complex_numIfEllS2_S2_S2_EEvT3_20rocsparse_direction_NS_24const_host_device_scalarIT1_EES3_PKS3_PKT2_SC_S9_PKT4_PKT5_S7_PT6_21rocsparse_index_base_b.kd
    .uniform_work_group_size: 1
    .uses_dynamic_stack: false
    .vgpr_count:     51
    .vgpr_spill_count: 0
    .wavefront_size: 32
    .workgroup_processor_mode: 1
  - .args:
      - .offset:         0
        .size:           8
        .value_kind:     by_value
      - .offset:         8
        .size:           4
        .value_kind:     by_value
      - .offset:         16
        .size:           8
        .value_kind:     by_value
      - .offset:         24
        .size:           8
        .value_kind:     by_value
      - .actual_access:  read_only
        .address_space:  global
        .offset:         32
        .size:           8
        .value_kind:     global_buffer
      - .actual_access:  read_only
        .address_space:  global
        .offset:         40
        .size:           8
        .value_kind:     global_buffer
      - .actual_access:  read_only
        .address_space:  global
        .offset:         48
        .size:           8
        .value_kind:     global_buffer
      - .actual_access:  read_only
        .address_space:  global
        .offset:         56
        .size:           8
        .value_kind:     global_buffer
      - .actual_access:  read_only
        .address_space:  global
        .offset:         64
        .size:           8
        .value_kind:     global_buffer
      - .actual_access:  read_only
        .address_space:  global
        .offset:         72
        .size:           8
        .value_kind:     global_buffer
      - .offset:         80
        .size:           8
        .value_kind:     by_value
      - .address_space:  global
        .offset:         88
        .size:           8
        .value_kind:     global_buffer
      - .offset:         96
        .size:           4
        .value_kind:     by_value
      - .offset:         100
        .size:           1
        .value_kind:     by_value
    .group_segment_fixed_size: 0
    .kernarg_segment_align: 8
    .kernarg_segment_size: 104
    .language:       OpenCL C
    .language_version:
      - 2
      - 0
    .max_flat_workgroup_size: 256
    .name:           _ZN9rocsparseL18bsrxmvn_3x3_kernelILj256ELj8E21rocsparse_complex_numIfEllS2_S2_S2_EEvT3_20rocsparse_direction_NS_24const_host_device_scalarIT1_EES3_PKS3_PKT2_SC_S9_PKT4_PKT5_S7_PT6_21rocsparse_index_base_b
    .private_segment_fixed_size: 0
    .sgpr_count:     14
    .sgpr_spill_count: 0
    .symbol:         _ZN9rocsparseL18bsrxmvn_3x3_kernelILj256ELj8E21rocsparse_complex_numIfEllS2_S2_S2_EEvT3_20rocsparse_direction_NS_24const_host_device_scalarIT1_EES3_PKS3_PKT2_SC_S9_PKT4_PKT5_S7_PT6_21rocsparse_index_base_b.kd
    .uniform_work_group_size: 1
    .uses_dynamic_stack: false
    .vgpr_count:     51
    .vgpr_spill_count: 0
    .wavefront_size: 32
    .workgroup_processor_mode: 1
  - .args:
      - .offset:         0
        .size:           8
        .value_kind:     by_value
      - .offset:         8
        .size:           4
        .value_kind:     by_value
      - .offset:         16
        .size:           8
        .value_kind:     by_value
      - .offset:         24
        .size:           8
        .value_kind:     by_value
      - .actual_access:  read_only
        .address_space:  global
        .offset:         32
        .size:           8
        .value_kind:     global_buffer
      - .actual_access:  read_only
        .address_space:  global
        .offset:         40
        .size:           8
        .value_kind:     global_buffer
      - .actual_access:  read_only
        .address_space:  global
        .offset:         48
        .size:           8
        .value_kind:     global_buffer
      - .actual_access:  read_only
        .address_space:  global
        .offset:         56
        .size:           8
        .value_kind:     global_buffer
      - .actual_access:  read_only
        .address_space:  global
        .offset:         64
        .size:           8
        .value_kind:     global_buffer
      - .actual_access:  read_only
        .address_space:  global
        .offset:         72
        .size:           8
        .value_kind:     global_buffer
      - .offset:         80
        .size:           8
        .value_kind:     by_value
      - .address_space:  global
        .offset:         88
        .size:           8
        .value_kind:     global_buffer
      - .offset:         96
        .size:           4
        .value_kind:     by_value
      - .offset:         100
        .size:           1
        .value_kind:     by_value
    .group_segment_fixed_size: 0
    .kernarg_segment_align: 8
    .kernarg_segment_size: 104
    .language:       OpenCL C
    .language_version:
      - 2
      - 0
    .max_flat_workgroup_size: 256
    .name:           _ZN9rocsparseL18bsrxmvn_3x3_kernelILj256ELj16E21rocsparse_complex_numIfEllS2_S2_S2_EEvT3_20rocsparse_direction_NS_24const_host_device_scalarIT1_EES3_PKS3_PKT2_SC_S9_PKT4_PKT5_S7_PT6_21rocsparse_index_base_b
    .private_segment_fixed_size: 0
    .sgpr_count:     14
    .sgpr_spill_count: 0
    .symbol:         _ZN9rocsparseL18bsrxmvn_3x3_kernelILj256ELj16E21rocsparse_complex_numIfEllS2_S2_S2_EEvT3_20rocsparse_direction_NS_24const_host_device_scalarIT1_EES3_PKS3_PKT2_SC_S9_PKT4_PKT5_S7_PT6_21rocsparse_index_base_b.kd
    .uniform_work_group_size: 1
    .uses_dynamic_stack: false
    .vgpr_count:     51
    .vgpr_spill_count: 0
    .wavefront_size: 32
    .workgroup_processor_mode: 1
  - .args:
      - .offset:         0
        .size:           8
        .value_kind:     by_value
      - .offset:         8
        .size:           4
        .value_kind:     by_value
      - .offset:         16
        .size:           8
        .value_kind:     by_value
      - .offset:         24
        .size:           8
        .value_kind:     by_value
      - .actual_access:  read_only
        .address_space:  global
        .offset:         32
        .size:           8
        .value_kind:     global_buffer
      - .actual_access:  read_only
        .address_space:  global
        .offset:         40
        .size:           8
        .value_kind:     global_buffer
      - .actual_access:  read_only
        .address_space:  global
        .offset:         48
        .size:           8
        .value_kind:     global_buffer
      - .actual_access:  read_only
        .address_space:  global
        .offset:         56
        .size:           8
        .value_kind:     global_buffer
      - .actual_access:  read_only
        .address_space:  global
        .offset:         64
        .size:           8
        .value_kind:     global_buffer
      - .actual_access:  read_only
        .address_space:  global
        .offset:         72
        .size:           8
        .value_kind:     global_buffer
      - .offset:         80
        .size:           8
        .value_kind:     by_value
      - .address_space:  global
        .offset:         88
        .size:           8
        .value_kind:     global_buffer
      - .offset:         96
        .size:           4
        .value_kind:     by_value
      - .offset:         100
        .size:           1
        .value_kind:     by_value
    .group_segment_fixed_size: 0
    .kernarg_segment_align: 8
    .kernarg_segment_size: 104
    .language:       OpenCL C
    .language_version:
      - 2
      - 0
    .max_flat_workgroup_size: 256
    .name:           _ZN9rocsparseL18bsrxmvn_3x3_kernelILj256ELj32E21rocsparse_complex_numIfEllS2_S2_S2_EEvT3_20rocsparse_direction_NS_24const_host_device_scalarIT1_EES3_PKS3_PKT2_SC_S9_PKT4_PKT5_S7_PT6_21rocsparse_index_base_b
    .private_segment_fixed_size: 0
    .sgpr_count:     14
    .sgpr_spill_count: 0
    .symbol:         _ZN9rocsparseL18bsrxmvn_3x3_kernelILj256ELj32E21rocsparse_complex_numIfEllS2_S2_S2_EEvT3_20rocsparse_direction_NS_24const_host_device_scalarIT1_EES3_PKS3_PKT2_SC_S9_PKT4_PKT5_S7_PT6_21rocsparse_index_base_b.kd
    .uniform_work_group_size: 1
    .uses_dynamic_stack: false
    .vgpr_count:     51
    .vgpr_spill_count: 0
    .wavefront_size: 32
    .workgroup_processor_mode: 1
  - .args:
      - .offset:         0
        .size:           8
        .value_kind:     by_value
      - .offset:         8
        .size:           4
        .value_kind:     by_value
      - .offset:         16
        .size:           8
        .value_kind:     by_value
      - .offset:         24
        .size:           8
        .value_kind:     by_value
      - .actual_access:  read_only
        .address_space:  global
        .offset:         32
        .size:           8
        .value_kind:     global_buffer
      - .actual_access:  read_only
        .address_space:  global
        .offset:         40
        .size:           8
        .value_kind:     global_buffer
      - .actual_access:  read_only
        .address_space:  global
        .offset:         48
        .size:           8
        .value_kind:     global_buffer
      - .actual_access:  read_only
        .address_space:  global
        .offset:         56
        .size:           8
        .value_kind:     global_buffer
      - .actual_access:  read_only
        .address_space:  global
        .offset:         64
        .size:           8
        .value_kind:     global_buffer
      - .actual_access:  read_only
        .address_space:  global
        .offset:         72
        .size:           8
        .value_kind:     global_buffer
      - .offset:         80
        .size:           8
        .value_kind:     by_value
      - .address_space:  global
        .offset:         88
        .size:           8
        .value_kind:     global_buffer
      - .offset:         96
        .size:           4
        .value_kind:     by_value
      - .offset:         100
        .size:           1
        .value_kind:     by_value
    .group_segment_fixed_size: 0
    .kernarg_segment_align: 8
    .kernarg_segment_size: 104
    .language:       OpenCL C
    .language_version:
      - 2
      - 0
    .max_flat_workgroup_size: 256
    .name:           _ZN9rocsparseL18bsrxmvn_3x3_kernelILj256ELj64E21rocsparse_complex_numIfEllS2_S2_S2_EEvT3_20rocsparse_direction_NS_24const_host_device_scalarIT1_EES3_PKS3_PKT2_SC_S9_PKT4_PKT5_S7_PT6_21rocsparse_index_base_b
    .private_segment_fixed_size: 0
    .sgpr_count:     14
    .sgpr_spill_count: 0
    .symbol:         _ZN9rocsparseL18bsrxmvn_3x3_kernelILj256ELj64E21rocsparse_complex_numIfEllS2_S2_S2_EEvT3_20rocsparse_direction_NS_24const_host_device_scalarIT1_EES3_PKS3_PKT2_SC_S9_PKT4_PKT5_S7_PT6_21rocsparse_index_base_b.kd
    .uniform_work_group_size: 1
    .uses_dynamic_stack: false
    .vgpr_count:     51
    .vgpr_spill_count: 0
    .wavefront_size: 32
    .workgroup_processor_mode: 1
  - .args:
      - .offset:         0
        .size:           8
        .value_kind:     by_value
      - .offset:         8
        .size:           4
        .value_kind:     by_value
      - .offset:         16
        .size:           16
        .value_kind:     by_value
      - .offset:         32
        .size:           8
        .value_kind:     by_value
      - .actual_access:  read_only
        .address_space:  global
        .offset:         40
        .size:           8
        .value_kind:     global_buffer
      - .actual_access:  read_only
        .address_space:  global
        .offset:         48
        .size:           8
        .value_kind:     global_buffer
      - .actual_access:  read_only
        .address_space:  global
        .offset:         56
        .size:           8
        .value_kind:     global_buffer
      - .actual_access:  read_only
        .address_space:  global
        .offset:         64
        .size:           8
        .value_kind:     global_buffer
      - .actual_access:  read_only
        .address_space:  global
        .offset:         72
        .size:           8
        .value_kind:     global_buffer
      - .actual_access:  read_only
        .address_space:  global
        .offset:         80
        .size:           8
        .value_kind:     global_buffer
      - .offset:         88
        .size:           16
        .value_kind:     by_value
      - .address_space:  global
        .offset:         104
        .size:           8
        .value_kind:     global_buffer
      - .offset:         112
        .size:           4
        .value_kind:     by_value
      - .offset:         116
        .size:           1
        .value_kind:     by_value
    .group_segment_fixed_size: 0
    .kernarg_segment_align: 8
    .kernarg_segment_size: 120
    .language:       OpenCL C
    .language_version:
      - 2
      - 0
    .max_flat_workgroup_size: 256
    .name:           _ZN9rocsparseL18bsrxmvn_3x3_kernelILj256ELj4E21rocsparse_complex_numIdEllS2_S2_S2_EEvT3_20rocsparse_direction_NS_24const_host_device_scalarIT1_EES3_PKS3_PKT2_SC_S9_PKT4_PKT5_S7_PT6_21rocsparse_index_base_b
    .private_segment_fixed_size: 0
    .sgpr_count:     14
    .sgpr_spill_count: 0
    .symbol:         _ZN9rocsparseL18bsrxmvn_3x3_kernelILj256ELj4E21rocsparse_complex_numIdEllS2_S2_S2_EEvT3_20rocsparse_direction_NS_24const_host_device_scalarIT1_EES3_PKS3_PKT2_SC_S9_PKT4_PKT5_S7_PT6_21rocsparse_index_base_b.kd
    .uniform_work_group_size: 1
    .uses_dynamic_stack: false
    .vgpr_count:     85
    .vgpr_spill_count: 0
    .wavefront_size: 32
    .workgroup_processor_mode: 1
  - .args:
      - .offset:         0
        .size:           8
        .value_kind:     by_value
      - .offset:         8
        .size:           4
        .value_kind:     by_value
      - .offset:         16
        .size:           16
        .value_kind:     by_value
      - .offset:         32
        .size:           8
        .value_kind:     by_value
      - .actual_access:  read_only
        .address_space:  global
        .offset:         40
        .size:           8
        .value_kind:     global_buffer
      - .actual_access:  read_only
        .address_space:  global
        .offset:         48
        .size:           8
        .value_kind:     global_buffer
      - .actual_access:  read_only
        .address_space:  global
        .offset:         56
        .size:           8
        .value_kind:     global_buffer
      - .actual_access:  read_only
        .address_space:  global
        .offset:         64
        .size:           8
        .value_kind:     global_buffer
      - .actual_access:  read_only
        .address_space:  global
        .offset:         72
        .size:           8
        .value_kind:     global_buffer
      - .actual_access:  read_only
        .address_space:  global
        .offset:         80
        .size:           8
        .value_kind:     global_buffer
      - .offset:         88
        .size:           16
        .value_kind:     by_value
      - .address_space:  global
        .offset:         104
        .size:           8
        .value_kind:     global_buffer
      - .offset:         112
        .size:           4
        .value_kind:     by_value
      - .offset:         116
        .size:           1
        .value_kind:     by_value
    .group_segment_fixed_size: 0
    .kernarg_segment_align: 8
    .kernarg_segment_size: 120
    .language:       OpenCL C
    .language_version:
      - 2
      - 0
    .max_flat_workgroup_size: 256
    .name:           _ZN9rocsparseL18bsrxmvn_3x3_kernelILj256ELj8E21rocsparse_complex_numIdEllS2_S2_S2_EEvT3_20rocsparse_direction_NS_24const_host_device_scalarIT1_EES3_PKS3_PKT2_SC_S9_PKT4_PKT5_S7_PT6_21rocsparse_index_base_b
    .private_segment_fixed_size: 0
    .sgpr_count:     14
    .sgpr_spill_count: 0
    .symbol:         _ZN9rocsparseL18bsrxmvn_3x3_kernelILj256ELj8E21rocsparse_complex_numIdEllS2_S2_S2_EEvT3_20rocsparse_direction_NS_24const_host_device_scalarIT1_EES3_PKS3_PKT2_SC_S9_PKT4_PKT5_S7_PT6_21rocsparse_index_base_b.kd
    .uniform_work_group_size: 1
    .uses_dynamic_stack: false
    .vgpr_count:     85
    .vgpr_spill_count: 0
    .wavefront_size: 32
    .workgroup_processor_mode: 1
  - .args:
      - .offset:         0
        .size:           8
        .value_kind:     by_value
      - .offset:         8
        .size:           4
        .value_kind:     by_value
      - .offset:         16
        .size:           16
        .value_kind:     by_value
      - .offset:         32
        .size:           8
        .value_kind:     by_value
      - .actual_access:  read_only
        .address_space:  global
        .offset:         40
        .size:           8
        .value_kind:     global_buffer
      - .actual_access:  read_only
        .address_space:  global
        .offset:         48
        .size:           8
        .value_kind:     global_buffer
      - .actual_access:  read_only
        .address_space:  global
        .offset:         56
        .size:           8
        .value_kind:     global_buffer
      - .actual_access:  read_only
        .address_space:  global
        .offset:         64
        .size:           8
        .value_kind:     global_buffer
      - .actual_access:  read_only
        .address_space:  global
        .offset:         72
        .size:           8
        .value_kind:     global_buffer
      - .actual_access:  read_only
        .address_space:  global
        .offset:         80
        .size:           8
        .value_kind:     global_buffer
      - .offset:         88
        .size:           16
        .value_kind:     by_value
      - .address_space:  global
        .offset:         104
        .size:           8
        .value_kind:     global_buffer
      - .offset:         112
        .size:           4
        .value_kind:     by_value
      - .offset:         116
        .size:           1
        .value_kind:     by_value
    .group_segment_fixed_size: 0
    .kernarg_segment_align: 8
    .kernarg_segment_size: 120
    .language:       OpenCL C
    .language_version:
      - 2
      - 0
    .max_flat_workgroup_size: 256
    .name:           _ZN9rocsparseL18bsrxmvn_3x3_kernelILj256ELj16E21rocsparse_complex_numIdEllS2_S2_S2_EEvT3_20rocsparse_direction_NS_24const_host_device_scalarIT1_EES3_PKS3_PKT2_SC_S9_PKT4_PKT5_S7_PT6_21rocsparse_index_base_b
    .private_segment_fixed_size: 0
    .sgpr_count:     14
    .sgpr_spill_count: 0
    .symbol:         _ZN9rocsparseL18bsrxmvn_3x3_kernelILj256ELj16E21rocsparse_complex_numIdEllS2_S2_S2_EEvT3_20rocsparse_direction_NS_24const_host_device_scalarIT1_EES3_PKS3_PKT2_SC_S9_PKT4_PKT5_S7_PT6_21rocsparse_index_base_b.kd
    .uniform_work_group_size: 1
    .uses_dynamic_stack: false
    .vgpr_count:     85
    .vgpr_spill_count: 0
    .wavefront_size: 32
    .workgroup_processor_mode: 1
  - .args:
      - .offset:         0
        .size:           8
        .value_kind:     by_value
      - .offset:         8
        .size:           4
        .value_kind:     by_value
      - .offset:         16
        .size:           16
        .value_kind:     by_value
      - .offset:         32
        .size:           8
        .value_kind:     by_value
      - .actual_access:  read_only
        .address_space:  global
        .offset:         40
        .size:           8
        .value_kind:     global_buffer
      - .actual_access:  read_only
        .address_space:  global
        .offset:         48
        .size:           8
        .value_kind:     global_buffer
      - .actual_access:  read_only
        .address_space:  global
        .offset:         56
        .size:           8
        .value_kind:     global_buffer
      - .actual_access:  read_only
        .address_space:  global
        .offset:         64
        .size:           8
        .value_kind:     global_buffer
      - .actual_access:  read_only
        .address_space:  global
        .offset:         72
        .size:           8
        .value_kind:     global_buffer
      - .actual_access:  read_only
        .address_space:  global
        .offset:         80
        .size:           8
        .value_kind:     global_buffer
      - .offset:         88
        .size:           16
        .value_kind:     by_value
      - .address_space:  global
        .offset:         104
        .size:           8
        .value_kind:     global_buffer
      - .offset:         112
        .size:           4
        .value_kind:     by_value
      - .offset:         116
        .size:           1
        .value_kind:     by_value
    .group_segment_fixed_size: 0
    .kernarg_segment_align: 8
    .kernarg_segment_size: 120
    .language:       OpenCL C
    .language_version:
      - 2
      - 0
    .max_flat_workgroup_size: 256
    .name:           _ZN9rocsparseL18bsrxmvn_3x3_kernelILj256ELj32E21rocsparse_complex_numIdEllS2_S2_S2_EEvT3_20rocsparse_direction_NS_24const_host_device_scalarIT1_EES3_PKS3_PKT2_SC_S9_PKT4_PKT5_S7_PT6_21rocsparse_index_base_b
    .private_segment_fixed_size: 0
    .sgpr_count:     14
    .sgpr_spill_count: 0
    .symbol:         _ZN9rocsparseL18bsrxmvn_3x3_kernelILj256ELj32E21rocsparse_complex_numIdEllS2_S2_S2_EEvT3_20rocsparse_direction_NS_24const_host_device_scalarIT1_EES3_PKS3_PKT2_SC_S9_PKT4_PKT5_S7_PT6_21rocsparse_index_base_b.kd
    .uniform_work_group_size: 1
    .uses_dynamic_stack: false
    .vgpr_count:     85
    .vgpr_spill_count: 0
    .wavefront_size: 32
    .workgroup_processor_mode: 1
  - .args:
      - .offset:         0
        .size:           8
        .value_kind:     by_value
      - .offset:         8
        .size:           4
        .value_kind:     by_value
      - .offset:         16
        .size:           16
        .value_kind:     by_value
      - .offset:         32
        .size:           8
        .value_kind:     by_value
      - .actual_access:  read_only
        .address_space:  global
        .offset:         40
        .size:           8
        .value_kind:     global_buffer
      - .actual_access:  read_only
        .address_space:  global
        .offset:         48
        .size:           8
        .value_kind:     global_buffer
      - .actual_access:  read_only
        .address_space:  global
        .offset:         56
        .size:           8
        .value_kind:     global_buffer
      - .actual_access:  read_only
        .address_space:  global
        .offset:         64
        .size:           8
        .value_kind:     global_buffer
      - .actual_access:  read_only
        .address_space:  global
        .offset:         72
        .size:           8
        .value_kind:     global_buffer
      - .actual_access:  read_only
        .address_space:  global
        .offset:         80
        .size:           8
        .value_kind:     global_buffer
      - .offset:         88
        .size:           16
        .value_kind:     by_value
      - .address_space:  global
        .offset:         104
        .size:           8
        .value_kind:     global_buffer
      - .offset:         112
        .size:           4
        .value_kind:     by_value
      - .offset:         116
        .size:           1
        .value_kind:     by_value
    .group_segment_fixed_size: 0
    .kernarg_segment_align: 8
    .kernarg_segment_size: 120
    .language:       OpenCL C
    .language_version:
      - 2
      - 0
    .max_flat_workgroup_size: 256
    .name:           _ZN9rocsparseL18bsrxmvn_3x3_kernelILj256ELj64E21rocsparse_complex_numIdEllS2_S2_S2_EEvT3_20rocsparse_direction_NS_24const_host_device_scalarIT1_EES3_PKS3_PKT2_SC_S9_PKT4_PKT5_S7_PT6_21rocsparse_index_base_b
    .private_segment_fixed_size: 0
    .sgpr_count:     14
    .sgpr_spill_count: 0
    .symbol:         _ZN9rocsparseL18bsrxmvn_3x3_kernelILj256ELj64E21rocsparse_complex_numIdEllS2_S2_S2_EEvT3_20rocsparse_direction_NS_24const_host_device_scalarIT1_EES3_PKS3_PKT2_SC_S9_PKT4_PKT5_S7_PT6_21rocsparse_index_base_b.kd
    .uniform_work_group_size: 1
    .uses_dynamic_stack: false
    .vgpr_count:     85
    .vgpr_spill_count: 0
    .wavefront_size: 32
    .workgroup_processor_mode: 1
  - .args:
      - .offset:         0
        .size:           4
        .value_kind:     by_value
      - .offset:         4
        .size:           4
        .value_kind:     by_value
      - .offset:         8
        .size:           8
        .value_kind:     by_value
      - .offset:         16
        .size:           4
        .value_kind:     by_value
      - .actual_access:  read_only
        .address_space:  global
        .offset:         24
        .size:           8
        .value_kind:     global_buffer
      - .actual_access:  read_only
        .address_space:  global
        .offset:         32
        .size:           8
        .value_kind:     global_buffer
      - .actual_access:  read_only
        .address_space:  global
        .offset:         40
        .size:           8
        .value_kind:     global_buffer
      - .actual_access:  read_only
        .address_space:  global
        .offset:         48
        .size:           8
        .value_kind:     global_buffer
      - .actual_access:  read_only
        .address_space:  global
        .offset:         56
        .size:           8
        .value_kind:     global_buffer
      - .actual_access:  read_only
        .address_space:  global
        .offset:         64
        .size:           8
        .value_kind:     global_buffer
      - .offset:         72
        .size:           8
        .value_kind:     by_value
      - .address_space:  global
        .offset:         80
        .size:           8
        .value_kind:     global_buffer
      - .offset:         88
        .size:           4
        .value_kind:     by_value
      - .offset:         92
        .size:           1
        .value_kind:     by_value
    .group_segment_fixed_size: 0
    .kernarg_segment_align: 8
    .kernarg_segment_size: 96
    .language:       OpenCL C
    .language_version:
      - 2
      - 0
    .max_flat_workgroup_size: 256
    .name:           _ZN9rocsparseL18bsrxmvn_3x3_kernelILj256ELj4EiiiaaiEEvT3_20rocsparse_direction_NS_24const_host_device_scalarIT1_EES1_PKS1_PKT2_SA_S7_PKT4_PKT5_S5_PT6_21rocsparse_index_base_b
    .private_segment_fixed_size: 0
    .sgpr_count:     17
    .sgpr_spill_count: 0
    .symbol:         _ZN9rocsparseL18bsrxmvn_3x3_kernelILj256ELj4EiiiaaiEEvT3_20rocsparse_direction_NS_24const_host_device_scalarIT1_EES1_PKS1_PKT2_SA_S7_PKT4_PKT5_S5_PT6_21rocsparse_index_base_b.kd
    .uniform_work_group_size: 1
    .uses_dynamic_stack: false
    .vgpr_count:     21
    .vgpr_spill_count: 0
    .wavefront_size: 32
    .workgroup_processor_mode: 1
  - .args:
      - .offset:         0
        .size:           4
        .value_kind:     by_value
      - .offset:         4
        .size:           4
        .value_kind:     by_value
      - .offset:         8
        .size:           8
        .value_kind:     by_value
      - .offset:         16
        .size:           4
        .value_kind:     by_value
      - .actual_access:  read_only
        .address_space:  global
        .offset:         24
        .size:           8
        .value_kind:     global_buffer
      - .actual_access:  read_only
        .address_space:  global
        .offset:         32
        .size:           8
        .value_kind:     global_buffer
      - .actual_access:  read_only
        .address_space:  global
        .offset:         40
        .size:           8
        .value_kind:     global_buffer
      - .actual_access:  read_only
        .address_space:  global
        .offset:         48
        .size:           8
        .value_kind:     global_buffer
      - .actual_access:  read_only
        .address_space:  global
        .offset:         56
        .size:           8
        .value_kind:     global_buffer
      - .actual_access:  read_only
        .address_space:  global
        .offset:         64
        .size:           8
        .value_kind:     global_buffer
      - .offset:         72
        .size:           8
        .value_kind:     by_value
      - .address_space:  global
        .offset:         80
        .size:           8
        .value_kind:     global_buffer
      - .offset:         88
        .size:           4
        .value_kind:     by_value
      - .offset:         92
        .size:           1
        .value_kind:     by_value
    .group_segment_fixed_size: 0
    .kernarg_segment_align: 8
    .kernarg_segment_size: 96
    .language:       OpenCL C
    .language_version:
      - 2
      - 0
    .max_flat_workgroup_size: 256
    .name:           _ZN9rocsparseL18bsrxmvn_3x3_kernelILj256ELj8EiiiaaiEEvT3_20rocsparse_direction_NS_24const_host_device_scalarIT1_EES1_PKS1_PKT2_SA_S7_PKT4_PKT5_S5_PT6_21rocsparse_index_base_b
    .private_segment_fixed_size: 0
    .sgpr_count:     17
    .sgpr_spill_count: 0
    .symbol:         _ZN9rocsparseL18bsrxmvn_3x3_kernelILj256ELj8EiiiaaiEEvT3_20rocsparse_direction_NS_24const_host_device_scalarIT1_EES1_PKS1_PKT2_SA_S7_PKT4_PKT5_S5_PT6_21rocsparse_index_base_b.kd
    .uniform_work_group_size: 1
    .uses_dynamic_stack: false
    .vgpr_count:     21
    .vgpr_spill_count: 0
    .wavefront_size: 32
    .workgroup_processor_mode: 1
  - .args:
      - .offset:         0
        .size:           4
        .value_kind:     by_value
      - .offset:         4
        .size:           4
        .value_kind:     by_value
      - .offset:         8
        .size:           8
        .value_kind:     by_value
      - .offset:         16
        .size:           4
        .value_kind:     by_value
      - .actual_access:  read_only
        .address_space:  global
        .offset:         24
        .size:           8
        .value_kind:     global_buffer
      - .actual_access:  read_only
        .address_space:  global
        .offset:         32
        .size:           8
        .value_kind:     global_buffer
      - .actual_access:  read_only
        .address_space:  global
        .offset:         40
        .size:           8
        .value_kind:     global_buffer
      - .actual_access:  read_only
        .address_space:  global
        .offset:         48
        .size:           8
        .value_kind:     global_buffer
      - .actual_access:  read_only
        .address_space:  global
        .offset:         56
        .size:           8
        .value_kind:     global_buffer
      - .actual_access:  read_only
        .address_space:  global
        .offset:         64
        .size:           8
        .value_kind:     global_buffer
      - .offset:         72
        .size:           8
        .value_kind:     by_value
      - .address_space:  global
        .offset:         80
        .size:           8
        .value_kind:     global_buffer
      - .offset:         88
        .size:           4
        .value_kind:     by_value
      - .offset:         92
        .size:           1
        .value_kind:     by_value
    .group_segment_fixed_size: 0
    .kernarg_segment_align: 8
    .kernarg_segment_size: 96
    .language:       OpenCL C
    .language_version:
      - 2
      - 0
    .max_flat_workgroup_size: 256
    .name:           _ZN9rocsparseL18bsrxmvn_3x3_kernelILj256ELj16EiiiaaiEEvT3_20rocsparse_direction_NS_24const_host_device_scalarIT1_EES1_PKS1_PKT2_SA_S7_PKT4_PKT5_S5_PT6_21rocsparse_index_base_b
    .private_segment_fixed_size: 0
    .sgpr_count:     17
    .sgpr_spill_count: 0
    .symbol:         _ZN9rocsparseL18bsrxmvn_3x3_kernelILj256ELj16EiiiaaiEEvT3_20rocsparse_direction_NS_24const_host_device_scalarIT1_EES1_PKS1_PKT2_SA_S7_PKT4_PKT5_S5_PT6_21rocsparse_index_base_b.kd
    .uniform_work_group_size: 1
    .uses_dynamic_stack: false
    .vgpr_count:     21
    .vgpr_spill_count: 0
    .wavefront_size: 32
    .workgroup_processor_mode: 1
  - .args:
      - .offset:         0
        .size:           4
        .value_kind:     by_value
      - .offset:         4
        .size:           4
        .value_kind:     by_value
      - .offset:         8
        .size:           8
        .value_kind:     by_value
      - .offset:         16
        .size:           4
        .value_kind:     by_value
      - .actual_access:  read_only
        .address_space:  global
        .offset:         24
        .size:           8
        .value_kind:     global_buffer
      - .actual_access:  read_only
        .address_space:  global
        .offset:         32
        .size:           8
        .value_kind:     global_buffer
      - .actual_access:  read_only
        .address_space:  global
        .offset:         40
        .size:           8
        .value_kind:     global_buffer
      - .actual_access:  read_only
        .address_space:  global
        .offset:         48
        .size:           8
        .value_kind:     global_buffer
      - .actual_access:  read_only
        .address_space:  global
        .offset:         56
        .size:           8
        .value_kind:     global_buffer
      - .actual_access:  read_only
        .address_space:  global
        .offset:         64
        .size:           8
        .value_kind:     global_buffer
      - .offset:         72
        .size:           8
        .value_kind:     by_value
      - .address_space:  global
        .offset:         80
        .size:           8
        .value_kind:     global_buffer
      - .offset:         88
        .size:           4
        .value_kind:     by_value
      - .offset:         92
        .size:           1
        .value_kind:     by_value
    .group_segment_fixed_size: 0
    .kernarg_segment_align: 8
    .kernarg_segment_size: 96
    .language:       OpenCL C
    .language_version:
      - 2
      - 0
    .max_flat_workgroup_size: 256
    .name:           _ZN9rocsparseL18bsrxmvn_3x3_kernelILj256ELj32EiiiaaiEEvT3_20rocsparse_direction_NS_24const_host_device_scalarIT1_EES1_PKS1_PKT2_SA_S7_PKT4_PKT5_S5_PT6_21rocsparse_index_base_b
    .private_segment_fixed_size: 0
    .sgpr_count:     17
    .sgpr_spill_count: 0
    .symbol:         _ZN9rocsparseL18bsrxmvn_3x3_kernelILj256ELj32EiiiaaiEEvT3_20rocsparse_direction_NS_24const_host_device_scalarIT1_EES1_PKS1_PKT2_SA_S7_PKT4_PKT5_S5_PT6_21rocsparse_index_base_b.kd
    .uniform_work_group_size: 1
    .uses_dynamic_stack: false
    .vgpr_count:     21
    .vgpr_spill_count: 0
    .wavefront_size: 32
    .workgroup_processor_mode: 1
  - .args:
      - .offset:         0
        .size:           4
        .value_kind:     by_value
      - .offset:         4
        .size:           4
        .value_kind:     by_value
      - .offset:         8
        .size:           8
        .value_kind:     by_value
      - .offset:         16
        .size:           4
        .value_kind:     by_value
      - .actual_access:  read_only
        .address_space:  global
        .offset:         24
        .size:           8
        .value_kind:     global_buffer
      - .actual_access:  read_only
        .address_space:  global
        .offset:         32
        .size:           8
        .value_kind:     global_buffer
      - .actual_access:  read_only
        .address_space:  global
        .offset:         40
        .size:           8
        .value_kind:     global_buffer
      - .actual_access:  read_only
        .address_space:  global
        .offset:         48
        .size:           8
        .value_kind:     global_buffer
      - .actual_access:  read_only
        .address_space:  global
        .offset:         56
        .size:           8
        .value_kind:     global_buffer
      - .actual_access:  read_only
        .address_space:  global
        .offset:         64
        .size:           8
        .value_kind:     global_buffer
      - .offset:         72
        .size:           8
        .value_kind:     by_value
      - .address_space:  global
        .offset:         80
        .size:           8
        .value_kind:     global_buffer
      - .offset:         88
        .size:           4
        .value_kind:     by_value
      - .offset:         92
        .size:           1
        .value_kind:     by_value
    .group_segment_fixed_size: 0
    .kernarg_segment_align: 8
    .kernarg_segment_size: 96
    .language:       OpenCL C
    .language_version:
      - 2
      - 0
    .max_flat_workgroup_size: 256
    .name:           _ZN9rocsparseL18bsrxmvn_3x3_kernelILj256ELj64EiiiaaiEEvT3_20rocsparse_direction_NS_24const_host_device_scalarIT1_EES1_PKS1_PKT2_SA_S7_PKT4_PKT5_S5_PT6_21rocsparse_index_base_b
    .private_segment_fixed_size: 0
    .sgpr_count:     17
    .sgpr_spill_count: 0
    .symbol:         _ZN9rocsparseL18bsrxmvn_3x3_kernelILj256ELj64EiiiaaiEEvT3_20rocsparse_direction_NS_24const_host_device_scalarIT1_EES1_PKS1_PKT2_SA_S7_PKT4_PKT5_S5_PT6_21rocsparse_index_base_b.kd
    .uniform_work_group_size: 1
    .uses_dynamic_stack: false
    .vgpr_count:     21
    .vgpr_spill_count: 0
    .wavefront_size: 32
    .workgroup_processor_mode: 1
  - .args:
      - .offset:         0
        .size:           4
        .value_kind:     by_value
      - .offset:         4
        .size:           4
        .value_kind:     by_value
      - .offset:         8
        .size:           8
        .value_kind:     by_value
      - .offset:         16
        .size:           4
        .value_kind:     by_value
      - .actual_access:  read_only
        .address_space:  global
        .offset:         24
        .size:           8
        .value_kind:     global_buffer
      - .actual_access:  read_only
        .address_space:  global
        .offset:         32
        .size:           8
        .value_kind:     global_buffer
      - .actual_access:  read_only
        .address_space:  global
        .offset:         40
        .size:           8
        .value_kind:     global_buffer
      - .actual_access:  read_only
        .address_space:  global
        .offset:         48
        .size:           8
        .value_kind:     global_buffer
      - .actual_access:  read_only
        .address_space:  global
        .offset:         56
        .size:           8
        .value_kind:     global_buffer
      - .actual_access:  read_only
        .address_space:  global
        .offset:         64
        .size:           8
        .value_kind:     global_buffer
      - .offset:         72
        .size:           8
        .value_kind:     by_value
      - .address_space:  global
        .offset:         80
        .size:           8
        .value_kind:     global_buffer
      - .offset:         88
        .size:           4
        .value_kind:     by_value
      - .offset:         92
        .size:           1
        .value_kind:     by_value
    .group_segment_fixed_size: 0
    .kernarg_segment_align: 8
    .kernarg_segment_size: 96
    .language:       OpenCL C
    .language_version:
      - 2
      - 0
    .max_flat_workgroup_size: 256
    .name:           _ZN9rocsparseL18bsrxmvn_3x3_kernelILj256ELj4EiliaaiEEvT3_20rocsparse_direction_NS_24const_host_device_scalarIT1_EES1_PKS1_PKT2_SA_S7_PKT4_PKT5_S5_PT6_21rocsparse_index_base_b
    .private_segment_fixed_size: 0
    .sgpr_count:     17
    .sgpr_spill_count: 0
    .symbol:         _ZN9rocsparseL18bsrxmvn_3x3_kernelILj256ELj4EiliaaiEEvT3_20rocsparse_direction_NS_24const_host_device_scalarIT1_EES1_PKS1_PKT2_SA_S7_PKT4_PKT5_S5_PT6_21rocsparse_index_base_b.kd
    .uniform_work_group_size: 1
    .uses_dynamic_stack: false
    .vgpr_count:     26
    .vgpr_spill_count: 0
    .wavefront_size: 32
    .workgroup_processor_mode: 1
  - .args:
      - .offset:         0
        .size:           4
        .value_kind:     by_value
      - .offset:         4
        .size:           4
        .value_kind:     by_value
      - .offset:         8
        .size:           8
        .value_kind:     by_value
      - .offset:         16
        .size:           4
        .value_kind:     by_value
      - .actual_access:  read_only
        .address_space:  global
        .offset:         24
        .size:           8
        .value_kind:     global_buffer
      - .actual_access:  read_only
        .address_space:  global
        .offset:         32
        .size:           8
        .value_kind:     global_buffer
      - .actual_access:  read_only
        .address_space:  global
        .offset:         40
        .size:           8
        .value_kind:     global_buffer
      - .actual_access:  read_only
        .address_space:  global
        .offset:         48
        .size:           8
        .value_kind:     global_buffer
      - .actual_access:  read_only
        .address_space:  global
        .offset:         56
        .size:           8
        .value_kind:     global_buffer
      - .actual_access:  read_only
        .address_space:  global
        .offset:         64
        .size:           8
        .value_kind:     global_buffer
      - .offset:         72
        .size:           8
        .value_kind:     by_value
      - .address_space:  global
        .offset:         80
        .size:           8
        .value_kind:     global_buffer
      - .offset:         88
        .size:           4
        .value_kind:     by_value
      - .offset:         92
        .size:           1
        .value_kind:     by_value
    .group_segment_fixed_size: 0
    .kernarg_segment_align: 8
    .kernarg_segment_size: 96
    .language:       OpenCL C
    .language_version:
      - 2
      - 0
    .max_flat_workgroup_size: 256
    .name:           _ZN9rocsparseL18bsrxmvn_3x3_kernelILj256ELj8EiliaaiEEvT3_20rocsparse_direction_NS_24const_host_device_scalarIT1_EES1_PKS1_PKT2_SA_S7_PKT4_PKT5_S5_PT6_21rocsparse_index_base_b
    .private_segment_fixed_size: 0
    .sgpr_count:     17
    .sgpr_spill_count: 0
    .symbol:         _ZN9rocsparseL18bsrxmvn_3x3_kernelILj256ELj8EiliaaiEEvT3_20rocsparse_direction_NS_24const_host_device_scalarIT1_EES1_PKS1_PKT2_SA_S7_PKT4_PKT5_S5_PT6_21rocsparse_index_base_b.kd
    .uniform_work_group_size: 1
    .uses_dynamic_stack: false
    .vgpr_count:     26
    .vgpr_spill_count: 0
    .wavefront_size: 32
    .workgroup_processor_mode: 1
  - .args:
      - .offset:         0
        .size:           4
        .value_kind:     by_value
      - .offset:         4
        .size:           4
        .value_kind:     by_value
      - .offset:         8
        .size:           8
        .value_kind:     by_value
      - .offset:         16
        .size:           4
        .value_kind:     by_value
      - .actual_access:  read_only
        .address_space:  global
        .offset:         24
        .size:           8
        .value_kind:     global_buffer
      - .actual_access:  read_only
        .address_space:  global
        .offset:         32
        .size:           8
        .value_kind:     global_buffer
      - .actual_access:  read_only
        .address_space:  global
        .offset:         40
        .size:           8
        .value_kind:     global_buffer
      - .actual_access:  read_only
        .address_space:  global
        .offset:         48
        .size:           8
        .value_kind:     global_buffer
      - .actual_access:  read_only
        .address_space:  global
        .offset:         56
        .size:           8
        .value_kind:     global_buffer
      - .actual_access:  read_only
        .address_space:  global
        .offset:         64
        .size:           8
        .value_kind:     global_buffer
      - .offset:         72
        .size:           8
        .value_kind:     by_value
      - .address_space:  global
        .offset:         80
        .size:           8
        .value_kind:     global_buffer
      - .offset:         88
        .size:           4
        .value_kind:     by_value
      - .offset:         92
        .size:           1
        .value_kind:     by_value
    .group_segment_fixed_size: 0
    .kernarg_segment_align: 8
    .kernarg_segment_size: 96
    .language:       OpenCL C
    .language_version:
      - 2
      - 0
    .max_flat_workgroup_size: 256
    .name:           _ZN9rocsparseL18bsrxmvn_3x3_kernelILj256ELj16EiliaaiEEvT3_20rocsparse_direction_NS_24const_host_device_scalarIT1_EES1_PKS1_PKT2_SA_S7_PKT4_PKT5_S5_PT6_21rocsparse_index_base_b
    .private_segment_fixed_size: 0
    .sgpr_count:     17
    .sgpr_spill_count: 0
    .symbol:         _ZN9rocsparseL18bsrxmvn_3x3_kernelILj256ELj16EiliaaiEEvT3_20rocsparse_direction_NS_24const_host_device_scalarIT1_EES1_PKS1_PKT2_SA_S7_PKT4_PKT5_S5_PT6_21rocsparse_index_base_b.kd
    .uniform_work_group_size: 1
    .uses_dynamic_stack: false
    .vgpr_count:     26
    .vgpr_spill_count: 0
    .wavefront_size: 32
    .workgroup_processor_mode: 1
  - .args:
      - .offset:         0
        .size:           4
        .value_kind:     by_value
      - .offset:         4
        .size:           4
        .value_kind:     by_value
      - .offset:         8
        .size:           8
        .value_kind:     by_value
      - .offset:         16
        .size:           4
        .value_kind:     by_value
      - .actual_access:  read_only
        .address_space:  global
        .offset:         24
        .size:           8
        .value_kind:     global_buffer
      - .actual_access:  read_only
        .address_space:  global
        .offset:         32
        .size:           8
        .value_kind:     global_buffer
      - .actual_access:  read_only
        .address_space:  global
        .offset:         40
        .size:           8
        .value_kind:     global_buffer
      - .actual_access:  read_only
        .address_space:  global
        .offset:         48
        .size:           8
        .value_kind:     global_buffer
      - .actual_access:  read_only
        .address_space:  global
        .offset:         56
        .size:           8
        .value_kind:     global_buffer
      - .actual_access:  read_only
        .address_space:  global
        .offset:         64
        .size:           8
        .value_kind:     global_buffer
      - .offset:         72
        .size:           8
        .value_kind:     by_value
      - .address_space:  global
        .offset:         80
        .size:           8
        .value_kind:     global_buffer
      - .offset:         88
        .size:           4
        .value_kind:     by_value
      - .offset:         92
        .size:           1
        .value_kind:     by_value
    .group_segment_fixed_size: 0
    .kernarg_segment_align: 8
    .kernarg_segment_size: 96
    .language:       OpenCL C
    .language_version:
      - 2
      - 0
    .max_flat_workgroup_size: 256
    .name:           _ZN9rocsparseL18bsrxmvn_3x3_kernelILj256ELj32EiliaaiEEvT3_20rocsparse_direction_NS_24const_host_device_scalarIT1_EES1_PKS1_PKT2_SA_S7_PKT4_PKT5_S5_PT6_21rocsparse_index_base_b
    .private_segment_fixed_size: 0
    .sgpr_count:     17
    .sgpr_spill_count: 0
    .symbol:         _ZN9rocsparseL18bsrxmvn_3x3_kernelILj256ELj32EiliaaiEEvT3_20rocsparse_direction_NS_24const_host_device_scalarIT1_EES1_PKS1_PKT2_SA_S7_PKT4_PKT5_S5_PT6_21rocsparse_index_base_b.kd
    .uniform_work_group_size: 1
    .uses_dynamic_stack: false
    .vgpr_count:     26
    .vgpr_spill_count: 0
    .wavefront_size: 32
    .workgroup_processor_mode: 1
  - .args:
      - .offset:         0
        .size:           4
        .value_kind:     by_value
      - .offset:         4
        .size:           4
        .value_kind:     by_value
      - .offset:         8
        .size:           8
        .value_kind:     by_value
      - .offset:         16
        .size:           4
        .value_kind:     by_value
      - .actual_access:  read_only
        .address_space:  global
        .offset:         24
        .size:           8
        .value_kind:     global_buffer
      - .actual_access:  read_only
        .address_space:  global
        .offset:         32
        .size:           8
        .value_kind:     global_buffer
      - .actual_access:  read_only
        .address_space:  global
        .offset:         40
        .size:           8
        .value_kind:     global_buffer
      - .actual_access:  read_only
        .address_space:  global
        .offset:         48
        .size:           8
        .value_kind:     global_buffer
      - .actual_access:  read_only
        .address_space:  global
        .offset:         56
        .size:           8
        .value_kind:     global_buffer
      - .actual_access:  read_only
        .address_space:  global
        .offset:         64
        .size:           8
        .value_kind:     global_buffer
      - .offset:         72
        .size:           8
        .value_kind:     by_value
      - .address_space:  global
        .offset:         80
        .size:           8
        .value_kind:     global_buffer
      - .offset:         88
        .size:           4
        .value_kind:     by_value
      - .offset:         92
        .size:           1
        .value_kind:     by_value
    .group_segment_fixed_size: 0
    .kernarg_segment_align: 8
    .kernarg_segment_size: 96
    .language:       OpenCL C
    .language_version:
      - 2
      - 0
    .max_flat_workgroup_size: 256
    .name:           _ZN9rocsparseL18bsrxmvn_3x3_kernelILj256ELj64EiliaaiEEvT3_20rocsparse_direction_NS_24const_host_device_scalarIT1_EES1_PKS1_PKT2_SA_S7_PKT4_PKT5_S5_PT6_21rocsparse_index_base_b
    .private_segment_fixed_size: 0
    .sgpr_count:     17
    .sgpr_spill_count: 0
    .symbol:         _ZN9rocsparseL18bsrxmvn_3x3_kernelILj256ELj64EiliaaiEEvT3_20rocsparse_direction_NS_24const_host_device_scalarIT1_EES1_PKS1_PKT2_SA_S7_PKT4_PKT5_S5_PT6_21rocsparse_index_base_b.kd
    .uniform_work_group_size: 1
    .uses_dynamic_stack: false
    .vgpr_count:     26
    .vgpr_spill_count: 0
    .wavefront_size: 32
    .workgroup_processor_mode: 1
  - .args:
      - .offset:         0
        .size:           8
        .value_kind:     by_value
      - .offset:         8
        .size:           4
        .value_kind:     by_value
      - .offset:         16
        .size:           8
        .value_kind:     by_value
      - .offset:         24
        .size:           8
        .value_kind:     by_value
      - .actual_access:  read_only
        .address_space:  global
        .offset:         32
        .size:           8
        .value_kind:     global_buffer
      - .actual_access:  read_only
        .address_space:  global
        .offset:         40
        .size:           8
        .value_kind:     global_buffer
      - .actual_access:  read_only
        .address_space:  global
        .offset:         48
        .size:           8
        .value_kind:     global_buffer
      - .actual_access:  read_only
        .address_space:  global
        .offset:         56
        .size:           8
        .value_kind:     global_buffer
      - .actual_access:  read_only
        .address_space:  global
        .offset:         64
        .size:           8
        .value_kind:     global_buffer
      - .actual_access:  read_only
        .address_space:  global
        .offset:         72
        .size:           8
        .value_kind:     global_buffer
      - .offset:         80
        .size:           8
        .value_kind:     by_value
      - .address_space:  global
        .offset:         88
        .size:           8
        .value_kind:     global_buffer
      - .offset:         96
        .size:           4
        .value_kind:     by_value
      - .offset:         100
        .size:           1
        .value_kind:     by_value
    .group_segment_fixed_size: 0
    .kernarg_segment_align: 8
    .kernarg_segment_size: 104
    .language:       OpenCL C
    .language_version:
      - 2
      - 0
    .max_flat_workgroup_size: 256
    .name:           _ZN9rocsparseL18bsrxmvn_3x3_kernelILj256ELj4EillaaiEEvT3_20rocsparse_direction_NS_24const_host_device_scalarIT1_EES1_PKS1_PKT2_SA_S7_PKT4_PKT5_S5_PT6_21rocsparse_index_base_b
    .private_segment_fixed_size: 0
    .sgpr_count:     16
    .sgpr_spill_count: 0
    .symbol:         _ZN9rocsparseL18bsrxmvn_3x3_kernelILj256ELj4EillaaiEEvT3_20rocsparse_direction_NS_24const_host_device_scalarIT1_EES1_PKS1_PKT2_SA_S7_PKT4_PKT5_S5_PT6_21rocsparse_index_base_b.kd
    .uniform_work_group_size: 1
    .uses_dynamic_stack: false
    .vgpr_count:     29
    .vgpr_spill_count: 0
    .wavefront_size: 32
    .workgroup_processor_mode: 1
  - .args:
      - .offset:         0
        .size:           8
        .value_kind:     by_value
      - .offset:         8
        .size:           4
        .value_kind:     by_value
      - .offset:         16
        .size:           8
        .value_kind:     by_value
      - .offset:         24
        .size:           8
        .value_kind:     by_value
      - .actual_access:  read_only
        .address_space:  global
        .offset:         32
        .size:           8
        .value_kind:     global_buffer
      - .actual_access:  read_only
        .address_space:  global
        .offset:         40
        .size:           8
        .value_kind:     global_buffer
      - .actual_access:  read_only
        .address_space:  global
        .offset:         48
        .size:           8
        .value_kind:     global_buffer
      - .actual_access:  read_only
        .address_space:  global
        .offset:         56
        .size:           8
        .value_kind:     global_buffer
      - .actual_access:  read_only
        .address_space:  global
        .offset:         64
        .size:           8
        .value_kind:     global_buffer
      - .actual_access:  read_only
        .address_space:  global
        .offset:         72
        .size:           8
        .value_kind:     global_buffer
      - .offset:         80
        .size:           8
        .value_kind:     by_value
      - .address_space:  global
        .offset:         88
        .size:           8
        .value_kind:     global_buffer
      - .offset:         96
        .size:           4
        .value_kind:     by_value
      - .offset:         100
        .size:           1
        .value_kind:     by_value
    .group_segment_fixed_size: 0
    .kernarg_segment_align: 8
    .kernarg_segment_size: 104
    .language:       OpenCL C
    .language_version:
      - 2
      - 0
    .max_flat_workgroup_size: 256
    .name:           _ZN9rocsparseL18bsrxmvn_3x3_kernelILj256ELj8EillaaiEEvT3_20rocsparse_direction_NS_24const_host_device_scalarIT1_EES1_PKS1_PKT2_SA_S7_PKT4_PKT5_S5_PT6_21rocsparse_index_base_b
    .private_segment_fixed_size: 0
    .sgpr_count:     16
    .sgpr_spill_count: 0
    .symbol:         _ZN9rocsparseL18bsrxmvn_3x3_kernelILj256ELj8EillaaiEEvT3_20rocsparse_direction_NS_24const_host_device_scalarIT1_EES1_PKS1_PKT2_SA_S7_PKT4_PKT5_S5_PT6_21rocsparse_index_base_b.kd
    .uniform_work_group_size: 1
    .uses_dynamic_stack: false
    .vgpr_count:     29
    .vgpr_spill_count: 0
    .wavefront_size: 32
    .workgroup_processor_mode: 1
  - .args:
      - .offset:         0
        .size:           8
        .value_kind:     by_value
      - .offset:         8
        .size:           4
        .value_kind:     by_value
      - .offset:         16
        .size:           8
        .value_kind:     by_value
      - .offset:         24
        .size:           8
        .value_kind:     by_value
      - .actual_access:  read_only
        .address_space:  global
        .offset:         32
        .size:           8
        .value_kind:     global_buffer
      - .actual_access:  read_only
        .address_space:  global
        .offset:         40
        .size:           8
        .value_kind:     global_buffer
      - .actual_access:  read_only
        .address_space:  global
        .offset:         48
        .size:           8
        .value_kind:     global_buffer
      - .actual_access:  read_only
        .address_space:  global
        .offset:         56
        .size:           8
        .value_kind:     global_buffer
      - .actual_access:  read_only
        .address_space:  global
        .offset:         64
        .size:           8
        .value_kind:     global_buffer
      - .actual_access:  read_only
        .address_space:  global
        .offset:         72
        .size:           8
        .value_kind:     global_buffer
      - .offset:         80
        .size:           8
        .value_kind:     by_value
      - .address_space:  global
        .offset:         88
        .size:           8
        .value_kind:     global_buffer
      - .offset:         96
        .size:           4
        .value_kind:     by_value
      - .offset:         100
        .size:           1
        .value_kind:     by_value
    .group_segment_fixed_size: 0
    .kernarg_segment_align: 8
    .kernarg_segment_size: 104
    .language:       OpenCL C
    .language_version:
      - 2
      - 0
    .max_flat_workgroup_size: 256
    .name:           _ZN9rocsparseL18bsrxmvn_3x3_kernelILj256ELj16EillaaiEEvT3_20rocsparse_direction_NS_24const_host_device_scalarIT1_EES1_PKS1_PKT2_SA_S7_PKT4_PKT5_S5_PT6_21rocsparse_index_base_b
    .private_segment_fixed_size: 0
    .sgpr_count:     16
    .sgpr_spill_count: 0
    .symbol:         _ZN9rocsparseL18bsrxmvn_3x3_kernelILj256ELj16EillaaiEEvT3_20rocsparse_direction_NS_24const_host_device_scalarIT1_EES1_PKS1_PKT2_SA_S7_PKT4_PKT5_S5_PT6_21rocsparse_index_base_b.kd
    .uniform_work_group_size: 1
    .uses_dynamic_stack: false
    .vgpr_count:     29
    .vgpr_spill_count: 0
    .wavefront_size: 32
    .workgroup_processor_mode: 1
  - .args:
      - .offset:         0
        .size:           8
        .value_kind:     by_value
      - .offset:         8
        .size:           4
        .value_kind:     by_value
      - .offset:         16
        .size:           8
        .value_kind:     by_value
      - .offset:         24
        .size:           8
        .value_kind:     by_value
      - .actual_access:  read_only
        .address_space:  global
        .offset:         32
        .size:           8
        .value_kind:     global_buffer
      - .actual_access:  read_only
        .address_space:  global
        .offset:         40
        .size:           8
        .value_kind:     global_buffer
      - .actual_access:  read_only
        .address_space:  global
        .offset:         48
        .size:           8
        .value_kind:     global_buffer
      - .actual_access:  read_only
        .address_space:  global
        .offset:         56
        .size:           8
        .value_kind:     global_buffer
      - .actual_access:  read_only
        .address_space:  global
        .offset:         64
        .size:           8
        .value_kind:     global_buffer
      - .actual_access:  read_only
        .address_space:  global
        .offset:         72
        .size:           8
        .value_kind:     global_buffer
      - .offset:         80
        .size:           8
        .value_kind:     by_value
      - .address_space:  global
        .offset:         88
        .size:           8
        .value_kind:     global_buffer
      - .offset:         96
        .size:           4
        .value_kind:     by_value
      - .offset:         100
        .size:           1
        .value_kind:     by_value
    .group_segment_fixed_size: 0
    .kernarg_segment_align: 8
    .kernarg_segment_size: 104
    .language:       OpenCL C
    .language_version:
      - 2
      - 0
    .max_flat_workgroup_size: 256
    .name:           _ZN9rocsparseL18bsrxmvn_3x3_kernelILj256ELj32EillaaiEEvT3_20rocsparse_direction_NS_24const_host_device_scalarIT1_EES1_PKS1_PKT2_SA_S7_PKT4_PKT5_S5_PT6_21rocsparse_index_base_b
    .private_segment_fixed_size: 0
    .sgpr_count:     16
    .sgpr_spill_count: 0
    .symbol:         _ZN9rocsparseL18bsrxmvn_3x3_kernelILj256ELj32EillaaiEEvT3_20rocsparse_direction_NS_24const_host_device_scalarIT1_EES1_PKS1_PKT2_SA_S7_PKT4_PKT5_S5_PT6_21rocsparse_index_base_b.kd
    .uniform_work_group_size: 1
    .uses_dynamic_stack: false
    .vgpr_count:     29
    .vgpr_spill_count: 0
    .wavefront_size: 32
    .workgroup_processor_mode: 1
  - .args:
      - .offset:         0
        .size:           8
        .value_kind:     by_value
      - .offset:         8
        .size:           4
        .value_kind:     by_value
      - .offset:         16
        .size:           8
        .value_kind:     by_value
      - .offset:         24
        .size:           8
        .value_kind:     by_value
      - .actual_access:  read_only
        .address_space:  global
        .offset:         32
        .size:           8
        .value_kind:     global_buffer
      - .actual_access:  read_only
        .address_space:  global
        .offset:         40
        .size:           8
        .value_kind:     global_buffer
      - .actual_access:  read_only
        .address_space:  global
        .offset:         48
        .size:           8
        .value_kind:     global_buffer
      - .actual_access:  read_only
        .address_space:  global
        .offset:         56
        .size:           8
        .value_kind:     global_buffer
      - .actual_access:  read_only
        .address_space:  global
        .offset:         64
        .size:           8
        .value_kind:     global_buffer
      - .actual_access:  read_only
        .address_space:  global
        .offset:         72
        .size:           8
        .value_kind:     global_buffer
      - .offset:         80
        .size:           8
        .value_kind:     by_value
      - .address_space:  global
        .offset:         88
        .size:           8
        .value_kind:     global_buffer
      - .offset:         96
        .size:           4
        .value_kind:     by_value
      - .offset:         100
        .size:           1
        .value_kind:     by_value
    .group_segment_fixed_size: 0
    .kernarg_segment_align: 8
    .kernarg_segment_size: 104
    .language:       OpenCL C
    .language_version:
      - 2
      - 0
    .max_flat_workgroup_size: 256
    .name:           _ZN9rocsparseL18bsrxmvn_3x3_kernelILj256ELj64EillaaiEEvT3_20rocsparse_direction_NS_24const_host_device_scalarIT1_EES1_PKS1_PKT2_SA_S7_PKT4_PKT5_S5_PT6_21rocsparse_index_base_b
    .private_segment_fixed_size: 0
    .sgpr_count:     16
    .sgpr_spill_count: 0
    .symbol:         _ZN9rocsparseL18bsrxmvn_3x3_kernelILj256ELj64EillaaiEEvT3_20rocsparse_direction_NS_24const_host_device_scalarIT1_EES1_PKS1_PKT2_SA_S7_PKT4_PKT5_S5_PT6_21rocsparse_index_base_b.kd
    .uniform_work_group_size: 1
    .uses_dynamic_stack: false
    .vgpr_count:     29
    .vgpr_spill_count: 0
    .wavefront_size: 32
    .workgroup_processor_mode: 1
  - .args:
      - .offset:         0
        .size:           4
        .value_kind:     by_value
      - .offset:         4
        .size:           4
        .value_kind:     by_value
      - .offset:         8
        .size:           8
        .value_kind:     by_value
      - .offset:         16
        .size:           4
        .value_kind:     by_value
      - .actual_access:  read_only
        .address_space:  global
        .offset:         24
        .size:           8
        .value_kind:     global_buffer
      - .actual_access:  read_only
        .address_space:  global
        .offset:         32
        .size:           8
        .value_kind:     global_buffer
      - .actual_access:  read_only
        .address_space:  global
        .offset:         40
        .size:           8
        .value_kind:     global_buffer
      - .actual_access:  read_only
        .address_space:  global
        .offset:         48
        .size:           8
        .value_kind:     global_buffer
      - .actual_access:  read_only
        .address_space:  global
        .offset:         56
        .size:           8
        .value_kind:     global_buffer
      - .actual_access:  read_only
        .address_space:  global
        .offset:         64
        .size:           8
        .value_kind:     global_buffer
      - .offset:         72
        .size:           8
        .value_kind:     by_value
      - .address_space:  global
        .offset:         80
        .size:           8
        .value_kind:     global_buffer
      - .offset:         88
        .size:           4
        .value_kind:     by_value
      - .offset:         92
        .size:           1
        .value_kind:     by_value
    .group_segment_fixed_size: 0
    .kernarg_segment_align: 8
    .kernarg_segment_size: 96
    .language:       OpenCL C
    .language_version:
      - 2
      - 0
    .max_flat_workgroup_size: 256
    .name:           _ZN9rocsparseL18bsrxmvn_3x3_kernelILj256ELj4EfiiaafEEvT3_20rocsparse_direction_NS_24const_host_device_scalarIT1_EES1_PKS1_PKT2_SA_S7_PKT4_PKT5_S5_PT6_21rocsparse_index_base_b
    .private_segment_fixed_size: 0
    .sgpr_count:     20
    .sgpr_spill_count: 0
    .symbol:         _ZN9rocsparseL18bsrxmvn_3x3_kernelILj256ELj4EfiiaafEEvT3_20rocsparse_direction_NS_24const_host_device_scalarIT1_EES1_PKS1_PKT2_SA_S7_PKT4_PKT5_S5_PT6_21rocsparse_index_base_b.kd
    .uniform_work_group_size: 1
    .uses_dynamic_stack: false
    .vgpr_count:     24
    .vgpr_spill_count: 0
    .wavefront_size: 32
    .workgroup_processor_mode: 1
  - .args:
      - .offset:         0
        .size:           4
        .value_kind:     by_value
      - .offset:         4
        .size:           4
        .value_kind:     by_value
      - .offset:         8
        .size:           8
        .value_kind:     by_value
      - .offset:         16
        .size:           4
        .value_kind:     by_value
      - .actual_access:  read_only
        .address_space:  global
        .offset:         24
        .size:           8
        .value_kind:     global_buffer
      - .actual_access:  read_only
        .address_space:  global
        .offset:         32
        .size:           8
        .value_kind:     global_buffer
      - .actual_access:  read_only
        .address_space:  global
        .offset:         40
        .size:           8
        .value_kind:     global_buffer
      - .actual_access:  read_only
        .address_space:  global
        .offset:         48
        .size:           8
        .value_kind:     global_buffer
      - .actual_access:  read_only
        .address_space:  global
        .offset:         56
        .size:           8
        .value_kind:     global_buffer
      - .actual_access:  read_only
        .address_space:  global
        .offset:         64
        .size:           8
        .value_kind:     global_buffer
      - .offset:         72
        .size:           8
        .value_kind:     by_value
      - .address_space:  global
        .offset:         80
        .size:           8
        .value_kind:     global_buffer
      - .offset:         88
        .size:           4
        .value_kind:     by_value
      - .offset:         92
        .size:           1
        .value_kind:     by_value
    .group_segment_fixed_size: 0
    .kernarg_segment_align: 8
    .kernarg_segment_size: 96
    .language:       OpenCL C
    .language_version:
      - 2
      - 0
    .max_flat_workgroup_size: 256
    .name:           _ZN9rocsparseL18bsrxmvn_3x3_kernelILj256ELj8EfiiaafEEvT3_20rocsparse_direction_NS_24const_host_device_scalarIT1_EES1_PKS1_PKT2_SA_S7_PKT4_PKT5_S5_PT6_21rocsparse_index_base_b
    .private_segment_fixed_size: 0
    .sgpr_count:     20
    .sgpr_spill_count: 0
    .symbol:         _ZN9rocsparseL18bsrxmvn_3x3_kernelILj256ELj8EfiiaafEEvT3_20rocsparse_direction_NS_24const_host_device_scalarIT1_EES1_PKS1_PKT2_SA_S7_PKT4_PKT5_S5_PT6_21rocsparse_index_base_b.kd
    .uniform_work_group_size: 1
    .uses_dynamic_stack: false
    .vgpr_count:     24
    .vgpr_spill_count: 0
    .wavefront_size: 32
    .workgroup_processor_mode: 1
  - .args:
      - .offset:         0
        .size:           4
        .value_kind:     by_value
      - .offset:         4
        .size:           4
        .value_kind:     by_value
      - .offset:         8
        .size:           8
        .value_kind:     by_value
      - .offset:         16
        .size:           4
        .value_kind:     by_value
      - .actual_access:  read_only
        .address_space:  global
        .offset:         24
        .size:           8
        .value_kind:     global_buffer
      - .actual_access:  read_only
        .address_space:  global
        .offset:         32
        .size:           8
        .value_kind:     global_buffer
      - .actual_access:  read_only
        .address_space:  global
        .offset:         40
        .size:           8
        .value_kind:     global_buffer
      - .actual_access:  read_only
        .address_space:  global
        .offset:         48
        .size:           8
        .value_kind:     global_buffer
      - .actual_access:  read_only
        .address_space:  global
        .offset:         56
        .size:           8
        .value_kind:     global_buffer
      - .actual_access:  read_only
        .address_space:  global
        .offset:         64
        .size:           8
        .value_kind:     global_buffer
      - .offset:         72
        .size:           8
        .value_kind:     by_value
      - .address_space:  global
        .offset:         80
        .size:           8
        .value_kind:     global_buffer
      - .offset:         88
        .size:           4
        .value_kind:     by_value
      - .offset:         92
        .size:           1
        .value_kind:     by_value
    .group_segment_fixed_size: 0
    .kernarg_segment_align: 8
    .kernarg_segment_size: 96
    .language:       OpenCL C
    .language_version:
      - 2
      - 0
    .max_flat_workgroup_size: 256
    .name:           _ZN9rocsparseL18bsrxmvn_3x3_kernelILj256ELj16EfiiaafEEvT3_20rocsparse_direction_NS_24const_host_device_scalarIT1_EES1_PKS1_PKT2_SA_S7_PKT4_PKT5_S5_PT6_21rocsparse_index_base_b
    .private_segment_fixed_size: 0
    .sgpr_count:     20
    .sgpr_spill_count: 0
    .symbol:         _ZN9rocsparseL18bsrxmvn_3x3_kernelILj256ELj16EfiiaafEEvT3_20rocsparse_direction_NS_24const_host_device_scalarIT1_EES1_PKS1_PKT2_SA_S7_PKT4_PKT5_S5_PT6_21rocsparse_index_base_b.kd
    .uniform_work_group_size: 1
    .uses_dynamic_stack: false
    .vgpr_count:     24
    .vgpr_spill_count: 0
    .wavefront_size: 32
    .workgroup_processor_mode: 1
  - .args:
      - .offset:         0
        .size:           4
        .value_kind:     by_value
      - .offset:         4
        .size:           4
        .value_kind:     by_value
      - .offset:         8
        .size:           8
        .value_kind:     by_value
      - .offset:         16
        .size:           4
        .value_kind:     by_value
      - .actual_access:  read_only
        .address_space:  global
        .offset:         24
        .size:           8
        .value_kind:     global_buffer
      - .actual_access:  read_only
        .address_space:  global
        .offset:         32
        .size:           8
        .value_kind:     global_buffer
      - .actual_access:  read_only
        .address_space:  global
        .offset:         40
        .size:           8
        .value_kind:     global_buffer
      - .actual_access:  read_only
        .address_space:  global
        .offset:         48
        .size:           8
        .value_kind:     global_buffer
      - .actual_access:  read_only
        .address_space:  global
        .offset:         56
        .size:           8
        .value_kind:     global_buffer
      - .actual_access:  read_only
        .address_space:  global
        .offset:         64
        .size:           8
        .value_kind:     global_buffer
      - .offset:         72
        .size:           8
        .value_kind:     by_value
      - .address_space:  global
        .offset:         80
        .size:           8
        .value_kind:     global_buffer
      - .offset:         88
        .size:           4
        .value_kind:     by_value
      - .offset:         92
        .size:           1
        .value_kind:     by_value
    .group_segment_fixed_size: 0
    .kernarg_segment_align: 8
    .kernarg_segment_size: 96
    .language:       OpenCL C
    .language_version:
      - 2
      - 0
    .max_flat_workgroup_size: 256
    .name:           _ZN9rocsparseL18bsrxmvn_3x3_kernelILj256ELj32EfiiaafEEvT3_20rocsparse_direction_NS_24const_host_device_scalarIT1_EES1_PKS1_PKT2_SA_S7_PKT4_PKT5_S5_PT6_21rocsparse_index_base_b
    .private_segment_fixed_size: 0
    .sgpr_count:     20
    .sgpr_spill_count: 0
    .symbol:         _ZN9rocsparseL18bsrxmvn_3x3_kernelILj256ELj32EfiiaafEEvT3_20rocsparse_direction_NS_24const_host_device_scalarIT1_EES1_PKS1_PKT2_SA_S7_PKT4_PKT5_S5_PT6_21rocsparse_index_base_b.kd
    .uniform_work_group_size: 1
    .uses_dynamic_stack: false
    .vgpr_count:     24
    .vgpr_spill_count: 0
    .wavefront_size: 32
    .workgroup_processor_mode: 1
  - .args:
      - .offset:         0
        .size:           4
        .value_kind:     by_value
      - .offset:         4
        .size:           4
        .value_kind:     by_value
      - .offset:         8
        .size:           8
        .value_kind:     by_value
      - .offset:         16
        .size:           4
        .value_kind:     by_value
      - .actual_access:  read_only
        .address_space:  global
        .offset:         24
        .size:           8
        .value_kind:     global_buffer
      - .actual_access:  read_only
        .address_space:  global
        .offset:         32
        .size:           8
        .value_kind:     global_buffer
      - .actual_access:  read_only
        .address_space:  global
        .offset:         40
        .size:           8
        .value_kind:     global_buffer
      - .actual_access:  read_only
        .address_space:  global
        .offset:         48
        .size:           8
        .value_kind:     global_buffer
      - .actual_access:  read_only
        .address_space:  global
        .offset:         56
        .size:           8
        .value_kind:     global_buffer
      - .actual_access:  read_only
        .address_space:  global
        .offset:         64
        .size:           8
        .value_kind:     global_buffer
      - .offset:         72
        .size:           8
        .value_kind:     by_value
      - .address_space:  global
        .offset:         80
        .size:           8
        .value_kind:     global_buffer
      - .offset:         88
        .size:           4
        .value_kind:     by_value
      - .offset:         92
        .size:           1
        .value_kind:     by_value
    .group_segment_fixed_size: 0
    .kernarg_segment_align: 8
    .kernarg_segment_size: 96
    .language:       OpenCL C
    .language_version:
      - 2
      - 0
    .max_flat_workgroup_size: 256
    .name:           _ZN9rocsparseL18bsrxmvn_3x3_kernelILj256ELj64EfiiaafEEvT3_20rocsparse_direction_NS_24const_host_device_scalarIT1_EES1_PKS1_PKT2_SA_S7_PKT4_PKT5_S5_PT6_21rocsparse_index_base_b
    .private_segment_fixed_size: 0
    .sgpr_count:     20
    .sgpr_spill_count: 0
    .symbol:         _ZN9rocsparseL18bsrxmvn_3x3_kernelILj256ELj64EfiiaafEEvT3_20rocsparse_direction_NS_24const_host_device_scalarIT1_EES1_PKS1_PKT2_SA_S7_PKT4_PKT5_S5_PT6_21rocsparse_index_base_b.kd
    .uniform_work_group_size: 1
    .uses_dynamic_stack: false
    .vgpr_count:     24
    .vgpr_spill_count: 0
    .wavefront_size: 32
    .workgroup_processor_mode: 1
  - .args:
      - .offset:         0
        .size:           4
        .value_kind:     by_value
      - .offset:         4
        .size:           4
        .value_kind:     by_value
      - .offset:         8
        .size:           8
        .value_kind:     by_value
      - .offset:         16
        .size:           4
        .value_kind:     by_value
      - .actual_access:  read_only
        .address_space:  global
        .offset:         24
        .size:           8
        .value_kind:     global_buffer
      - .actual_access:  read_only
        .address_space:  global
        .offset:         32
        .size:           8
        .value_kind:     global_buffer
      - .actual_access:  read_only
        .address_space:  global
        .offset:         40
        .size:           8
        .value_kind:     global_buffer
      - .actual_access:  read_only
        .address_space:  global
        .offset:         48
        .size:           8
        .value_kind:     global_buffer
      - .actual_access:  read_only
        .address_space:  global
        .offset:         56
        .size:           8
        .value_kind:     global_buffer
      - .actual_access:  read_only
        .address_space:  global
        .offset:         64
        .size:           8
        .value_kind:     global_buffer
      - .offset:         72
        .size:           8
        .value_kind:     by_value
      - .address_space:  global
        .offset:         80
        .size:           8
        .value_kind:     global_buffer
      - .offset:         88
        .size:           4
        .value_kind:     by_value
      - .offset:         92
        .size:           1
        .value_kind:     by_value
    .group_segment_fixed_size: 0
    .kernarg_segment_align: 8
    .kernarg_segment_size: 96
    .language:       OpenCL C
    .language_version:
      - 2
      - 0
    .max_flat_workgroup_size: 256
    .name:           _ZN9rocsparseL18bsrxmvn_3x3_kernelILj256ELj4EfliaafEEvT3_20rocsparse_direction_NS_24const_host_device_scalarIT1_EES1_PKS1_PKT2_SA_S7_PKT4_PKT5_S5_PT6_21rocsparse_index_base_b
    .private_segment_fixed_size: 0
    .sgpr_count:     20
    .sgpr_spill_count: 0
    .symbol:         _ZN9rocsparseL18bsrxmvn_3x3_kernelILj256ELj4EfliaafEEvT3_20rocsparse_direction_NS_24const_host_device_scalarIT1_EES1_PKS1_PKT2_SA_S7_PKT4_PKT5_S5_PT6_21rocsparse_index_base_b.kd
    .uniform_work_group_size: 1
    .uses_dynamic_stack: false
    .vgpr_count:     29
    .vgpr_spill_count: 0
    .wavefront_size: 32
    .workgroup_processor_mode: 1
  - .args:
      - .offset:         0
        .size:           4
        .value_kind:     by_value
      - .offset:         4
        .size:           4
        .value_kind:     by_value
      - .offset:         8
        .size:           8
        .value_kind:     by_value
      - .offset:         16
        .size:           4
        .value_kind:     by_value
      - .actual_access:  read_only
        .address_space:  global
        .offset:         24
        .size:           8
        .value_kind:     global_buffer
      - .actual_access:  read_only
        .address_space:  global
        .offset:         32
        .size:           8
        .value_kind:     global_buffer
      - .actual_access:  read_only
        .address_space:  global
        .offset:         40
        .size:           8
        .value_kind:     global_buffer
      - .actual_access:  read_only
        .address_space:  global
        .offset:         48
        .size:           8
        .value_kind:     global_buffer
      - .actual_access:  read_only
        .address_space:  global
        .offset:         56
        .size:           8
        .value_kind:     global_buffer
      - .actual_access:  read_only
        .address_space:  global
        .offset:         64
        .size:           8
        .value_kind:     global_buffer
      - .offset:         72
        .size:           8
        .value_kind:     by_value
      - .address_space:  global
        .offset:         80
        .size:           8
        .value_kind:     global_buffer
      - .offset:         88
        .size:           4
        .value_kind:     by_value
      - .offset:         92
        .size:           1
        .value_kind:     by_value
    .group_segment_fixed_size: 0
    .kernarg_segment_align: 8
    .kernarg_segment_size: 96
    .language:       OpenCL C
    .language_version:
      - 2
      - 0
    .max_flat_workgroup_size: 256
    .name:           _ZN9rocsparseL18bsrxmvn_3x3_kernelILj256ELj8EfliaafEEvT3_20rocsparse_direction_NS_24const_host_device_scalarIT1_EES1_PKS1_PKT2_SA_S7_PKT4_PKT5_S5_PT6_21rocsparse_index_base_b
    .private_segment_fixed_size: 0
    .sgpr_count:     20
    .sgpr_spill_count: 0
    .symbol:         _ZN9rocsparseL18bsrxmvn_3x3_kernelILj256ELj8EfliaafEEvT3_20rocsparse_direction_NS_24const_host_device_scalarIT1_EES1_PKS1_PKT2_SA_S7_PKT4_PKT5_S5_PT6_21rocsparse_index_base_b.kd
    .uniform_work_group_size: 1
    .uses_dynamic_stack: false
    .vgpr_count:     29
    .vgpr_spill_count: 0
    .wavefront_size: 32
    .workgroup_processor_mode: 1
  - .args:
      - .offset:         0
        .size:           4
        .value_kind:     by_value
      - .offset:         4
        .size:           4
        .value_kind:     by_value
      - .offset:         8
        .size:           8
        .value_kind:     by_value
      - .offset:         16
        .size:           4
        .value_kind:     by_value
      - .actual_access:  read_only
        .address_space:  global
        .offset:         24
        .size:           8
        .value_kind:     global_buffer
      - .actual_access:  read_only
        .address_space:  global
        .offset:         32
        .size:           8
        .value_kind:     global_buffer
      - .actual_access:  read_only
        .address_space:  global
        .offset:         40
        .size:           8
        .value_kind:     global_buffer
      - .actual_access:  read_only
        .address_space:  global
        .offset:         48
        .size:           8
        .value_kind:     global_buffer
      - .actual_access:  read_only
        .address_space:  global
        .offset:         56
        .size:           8
        .value_kind:     global_buffer
      - .actual_access:  read_only
        .address_space:  global
        .offset:         64
        .size:           8
        .value_kind:     global_buffer
      - .offset:         72
        .size:           8
        .value_kind:     by_value
      - .address_space:  global
        .offset:         80
        .size:           8
        .value_kind:     global_buffer
      - .offset:         88
        .size:           4
        .value_kind:     by_value
      - .offset:         92
        .size:           1
        .value_kind:     by_value
    .group_segment_fixed_size: 0
    .kernarg_segment_align: 8
    .kernarg_segment_size: 96
    .language:       OpenCL C
    .language_version:
      - 2
      - 0
    .max_flat_workgroup_size: 256
    .name:           _ZN9rocsparseL18bsrxmvn_3x3_kernelILj256ELj16EfliaafEEvT3_20rocsparse_direction_NS_24const_host_device_scalarIT1_EES1_PKS1_PKT2_SA_S7_PKT4_PKT5_S5_PT6_21rocsparse_index_base_b
    .private_segment_fixed_size: 0
    .sgpr_count:     20
    .sgpr_spill_count: 0
    .symbol:         _ZN9rocsparseL18bsrxmvn_3x3_kernelILj256ELj16EfliaafEEvT3_20rocsparse_direction_NS_24const_host_device_scalarIT1_EES1_PKS1_PKT2_SA_S7_PKT4_PKT5_S5_PT6_21rocsparse_index_base_b.kd
    .uniform_work_group_size: 1
    .uses_dynamic_stack: false
    .vgpr_count:     29
    .vgpr_spill_count: 0
    .wavefront_size: 32
    .workgroup_processor_mode: 1
  - .args:
      - .offset:         0
        .size:           4
        .value_kind:     by_value
      - .offset:         4
        .size:           4
        .value_kind:     by_value
      - .offset:         8
        .size:           8
        .value_kind:     by_value
      - .offset:         16
        .size:           4
        .value_kind:     by_value
      - .actual_access:  read_only
        .address_space:  global
        .offset:         24
        .size:           8
        .value_kind:     global_buffer
      - .actual_access:  read_only
        .address_space:  global
        .offset:         32
        .size:           8
        .value_kind:     global_buffer
      - .actual_access:  read_only
        .address_space:  global
        .offset:         40
        .size:           8
        .value_kind:     global_buffer
      - .actual_access:  read_only
        .address_space:  global
        .offset:         48
        .size:           8
        .value_kind:     global_buffer
      - .actual_access:  read_only
        .address_space:  global
        .offset:         56
        .size:           8
        .value_kind:     global_buffer
      - .actual_access:  read_only
        .address_space:  global
        .offset:         64
        .size:           8
        .value_kind:     global_buffer
      - .offset:         72
        .size:           8
        .value_kind:     by_value
      - .address_space:  global
        .offset:         80
        .size:           8
        .value_kind:     global_buffer
      - .offset:         88
        .size:           4
        .value_kind:     by_value
      - .offset:         92
        .size:           1
        .value_kind:     by_value
    .group_segment_fixed_size: 0
    .kernarg_segment_align: 8
    .kernarg_segment_size: 96
    .language:       OpenCL C
    .language_version:
      - 2
      - 0
    .max_flat_workgroup_size: 256
    .name:           _ZN9rocsparseL18bsrxmvn_3x3_kernelILj256ELj32EfliaafEEvT3_20rocsparse_direction_NS_24const_host_device_scalarIT1_EES1_PKS1_PKT2_SA_S7_PKT4_PKT5_S5_PT6_21rocsparse_index_base_b
    .private_segment_fixed_size: 0
    .sgpr_count:     20
    .sgpr_spill_count: 0
    .symbol:         _ZN9rocsparseL18bsrxmvn_3x3_kernelILj256ELj32EfliaafEEvT3_20rocsparse_direction_NS_24const_host_device_scalarIT1_EES1_PKS1_PKT2_SA_S7_PKT4_PKT5_S5_PT6_21rocsparse_index_base_b.kd
    .uniform_work_group_size: 1
    .uses_dynamic_stack: false
    .vgpr_count:     29
    .vgpr_spill_count: 0
    .wavefront_size: 32
    .workgroup_processor_mode: 1
  - .args:
      - .offset:         0
        .size:           4
        .value_kind:     by_value
      - .offset:         4
        .size:           4
        .value_kind:     by_value
      - .offset:         8
        .size:           8
        .value_kind:     by_value
      - .offset:         16
        .size:           4
        .value_kind:     by_value
      - .actual_access:  read_only
        .address_space:  global
        .offset:         24
        .size:           8
        .value_kind:     global_buffer
      - .actual_access:  read_only
        .address_space:  global
        .offset:         32
        .size:           8
        .value_kind:     global_buffer
      - .actual_access:  read_only
        .address_space:  global
        .offset:         40
        .size:           8
        .value_kind:     global_buffer
      - .actual_access:  read_only
        .address_space:  global
        .offset:         48
        .size:           8
        .value_kind:     global_buffer
      - .actual_access:  read_only
        .address_space:  global
        .offset:         56
        .size:           8
        .value_kind:     global_buffer
      - .actual_access:  read_only
        .address_space:  global
        .offset:         64
        .size:           8
        .value_kind:     global_buffer
      - .offset:         72
        .size:           8
        .value_kind:     by_value
      - .address_space:  global
        .offset:         80
        .size:           8
        .value_kind:     global_buffer
      - .offset:         88
        .size:           4
        .value_kind:     by_value
      - .offset:         92
        .size:           1
        .value_kind:     by_value
    .group_segment_fixed_size: 0
    .kernarg_segment_align: 8
    .kernarg_segment_size: 96
    .language:       OpenCL C
    .language_version:
      - 2
      - 0
    .max_flat_workgroup_size: 256
    .name:           _ZN9rocsparseL18bsrxmvn_3x3_kernelILj256ELj64EfliaafEEvT3_20rocsparse_direction_NS_24const_host_device_scalarIT1_EES1_PKS1_PKT2_SA_S7_PKT4_PKT5_S5_PT6_21rocsparse_index_base_b
    .private_segment_fixed_size: 0
    .sgpr_count:     20
    .sgpr_spill_count: 0
    .symbol:         _ZN9rocsparseL18bsrxmvn_3x3_kernelILj256ELj64EfliaafEEvT3_20rocsparse_direction_NS_24const_host_device_scalarIT1_EES1_PKS1_PKT2_SA_S7_PKT4_PKT5_S5_PT6_21rocsparse_index_base_b.kd
    .uniform_work_group_size: 1
    .uses_dynamic_stack: false
    .vgpr_count:     29
    .vgpr_spill_count: 0
    .wavefront_size: 32
    .workgroup_processor_mode: 1
  - .args:
      - .offset:         0
        .size:           8
        .value_kind:     by_value
      - .offset:         8
        .size:           4
        .value_kind:     by_value
      - .offset:         16
        .size:           8
        .value_kind:     by_value
      - .offset:         24
        .size:           8
        .value_kind:     by_value
      - .actual_access:  read_only
        .address_space:  global
        .offset:         32
        .size:           8
        .value_kind:     global_buffer
      - .actual_access:  read_only
        .address_space:  global
        .offset:         40
        .size:           8
        .value_kind:     global_buffer
      - .actual_access:  read_only
        .address_space:  global
        .offset:         48
        .size:           8
        .value_kind:     global_buffer
      - .actual_access:  read_only
        .address_space:  global
        .offset:         56
        .size:           8
        .value_kind:     global_buffer
      - .actual_access:  read_only
        .address_space:  global
        .offset:         64
        .size:           8
        .value_kind:     global_buffer
      - .actual_access:  read_only
        .address_space:  global
        .offset:         72
        .size:           8
        .value_kind:     global_buffer
      - .offset:         80
        .size:           8
        .value_kind:     by_value
      - .address_space:  global
        .offset:         88
        .size:           8
        .value_kind:     global_buffer
      - .offset:         96
        .size:           4
        .value_kind:     by_value
      - .offset:         100
        .size:           1
        .value_kind:     by_value
    .group_segment_fixed_size: 0
    .kernarg_segment_align: 8
    .kernarg_segment_size: 104
    .language:       OpenCL C
    .language_version:
      - 2
      - 0
    .max_flat_workgroup_size: 256
    .name:           _ZN9rocsparseL18bsrxmvn_3x3_kernelILj256ELj4EfllaafEEvT3_20rocsparse_direction_NS_24const_host_device_scalarIT1_EES1_PKS1_PKT2_SA_S7_PKT4_PKT5_S5_PT6_21rocsparse_index_base_b
    .private_segment_fixed_size: 0
    .sgpr_count:     20
    .sgpr_spill_count: 0
    .symbol:         _ZN9rocsparseL18bsrxmvn_3x3_kernelILj256ELj4EfllaafEEvT3_20rocsparse_direction_NS_24const_host_device_scalarIT1_EES1_PKS1_PKT2_SA_S7_PKT4_PKT5_S5_PT6_21rocsparse_index_base_b.kd
    .uniform_work_group_size: 1
    .uses_dynamic_stack: false
    .vgpr_count:     32
    .vgpr_spill_count: 0
    .wavefront_size: 32
    .workgroup_processor_mode: 1
  - .args:
      - .offset:         0
        .size:           8
        .value_kind:     by_value
      - .offset:         8
        .size:           4
        .value_kind:     by_value
      - .offset:         16
        .size:           8
        .value_kind:     by_value
      - .offset:         24
        .size:           8
        .value_kind:     by_value
      - .actual_access:  read_only
        .address_space:  global
        .offset:         32
        .size:           8
        .value_kind:     global_buffer
      - .actual_access:  read_only
        .address_space:  global
        .offset:         40
        .size:           8
        .value_kind:     global_buffer
      - .actual_access:  read_only
        .address_space:  global
        .offset:         48
        .size:           8
        .value_kind:     global_buffer
      - .actual_access:  read_only
        .address_space:  global
        .offset:         56
        .size:           8
        .value_kind:     global_buffer
      - .actual_access:  read_only
        .address_space:  global
        .offset:         64
        .size:           8
        .value_kind:     global_buffer
      - .actual_access:  read_only
        .address_space:  global
        .offset:         72
        .size:           8
        .value_kind:     global_buffer
      - .offset:         80
        .size:           8
        .value_kind:     by_value
      - .address_space:  global
        .offset:         88
        .size:           8
        .value_kind:     global_buffer
      - .offset:         96
        .size:           4
        .value_kind:     by_value
      - .offset:         100
        .size:           1
        .value_kind:     by_value
    .group_segment_fixed_size: 0
    .kernarg_segment_align: 8
    .kernarg_segment_size: 104
    .language:       OpenCL C
    .language_version:
      - 2
      - 0
    .max_flat_workgroup_size: 256
    .name:           _ZN9rocsparseL18bsrxmvn_3x3_kernelILj256ELj8EfllaafEEvT3_20rocsparse_direction_NS_24const_host_device_scalarIT1_EES1_PKS1_PKT2_SA_S7_PKT4_PKT5_S5_PT6_21rocsparse_index_base_b
    .private_segment_fixed_size: 0
    .sgpr_count:     20
    .sgpr_spill_count: 0
    .symbol:         _ZN9rocsparseL18bsrxmvn_3x3_kernelILj256ELj8EfllaafEEvT3_20rocsparse_direction_NS_24const_host_device_scalarIT1_EES1_PKS1_PKT2_SA_S7_PKT4_PKT5_S5_PT6_21rocsparse_index_base_b.kd
    .uniform_work_group_size: 1
    .uses_dynamic_stack: false
    .vgpr_count:     32
    .vgpr_spill_count: 0
    .wavefront_size: 32
    .workgroup_processor_mode: 1
  - .args:
      - .offset:         0
        .size:           8
        .value_kind:     by_value
      - .offset:         8
        .size:           4
        .value_kind:     by_value
      - .offset:         16
        .size:           8
        .value_kind:     by_value
      - .offset:         24
        .size:           8
        .value_kind:     by_value
      - .actual_access:  read_only
        .address_space:  global
        .offset:         32
        .size:           8
        .value_kind:     global_buffer
      - .actual_access:  read_only
        .address_space:  global
        .offset:         40
        .size:           8
        .value_kind:     global_buffer
      - .actual_access:  read_only
        .address_space:  global
        .offset:         48
        .size:           8
        .value_kind:     global_buffer
      - .actual_access:  read_only
        .address_space:  global
        .offset:         56
        .size:           8
        .value_kind:     global_buffer
      - .actual_access:  read_only
        .address_space:  global
        .offset:         64
        .size:           8
        .value_kind:     global_buffer
      - .actual_access:  read_only
        .address_space:  global
        .offset:         72
        .size:           8
        .value_kind:     global_buffer
      - .offset:         80
        .size:           8
        .value_kind:     by_value
      - .address_space:  global
        .offset:         88
        .size:           8
        .value_kind:     global_buffer
      - .offset:         96
        .size:           4
        .value_kind:     by_value
      - .offset:         100
        .size:           1
        .value_kind:     by_value
    .group_segment_fixed_size: 0
    .kernarg_segment_align: 8
    .kernarg_segment_size: 104
    .language:       OpenCL C
    .language_version:
      - 2
      - 0
    .max_flat_workgroup_size: 256
    .name:           _ZN9rocsparseL18bsrxmvn_3x3_kernelILj256ELj16EfllaafEEvT3_20rocsparse_direction_NS_24const_host_device_scalarIT1_EES1_PKS1_PKT2_SA_S7_PKT4_PKT5_S5_PT6_21rocsparse_index_base_b
    .private_segment_fixed_size: 0
    .sgpr_count:     20
    .sgpr_spill_count: 0
    .symbol:         _ZN9rocsparseL18bsrxmvn_3x3_kernelILj256ELj16EfllaafEEvT3_20rocsparse_direction_NS_24const_host_device_scalarIT1_EES1_PKS1_PKT2_SA_S7_PKT4_PKT5_S5_PT6_21rocsparse_index_base_b.kd
    .uniform_work_group_size: 1
    .uses_dynamic_stack: false
    .vgpr_count:     32
    .vgpr_spill_count: 0
    .wavefront_size: 32
    .workgroup_processor_mode: 1
  - .args:
      - .offset:         0
        .size:           8
        .value_kind:     by_value
      - .offset:         8
        .size:           4
        .value_kind:     by_value
      - .offset:         16
        .size:           8
        .value_kind:     by_value
      - .offset:         24
        .size:           8
        .value_kind:     by_value
      - .actual_access:  read_only
        .address_space:  global
        .offset:         32
        .size:           8
        .value_kind:     global_buffer
      - .actual_access:  read_only
        .address_space:  global
        .offset:         40
        .size:           8
        .value_kind:     global_buffer
      - .actual_access:  read_only
        .address_space:  global
        .offset:         48
        .size:           8
        .value_kind:     global_buffer
      - .actual_access:  read_only
        .address_space:  global
        .offset:         56
        .size:           8
        .value_kind:     global_buffer
      - .actual_access:  read_only
        .address_space:  global
        .offset:         64
        .size:           8
        .value_kind:     global_buffer
      - .actual_access:  read_only
        .address_space:  global
        .offset:         72
        .size:           8
        .value_kind:     global_buffer
      - .offset:         80
        .size:           8
        .value_kind:     by_value
      - .address_space:  global
        .offset:         88
        .size:           8
        .value_kind:     global_buffer
      - .offset:         96
        .size:           4
        .value_kind:     by_value
      - .offset:         100
        .size:           1
        .value_kind:     by_value
    .group_segment_fixed_size: 0
    .kernarg_segment_align: 8
    .kernarg_segment_size: 104
    .language:       OpenCL C
    .language_version:
      - 2
      - 0
    .max_flat_workgroup_size: 256
    .name:           _ZN9rocsparseL18bsrxmvn_3x3_kernelILj256ELj32EfllaafEEvT3_20rocsparse_direction_NS_24const_host_device_scalarIT1_EES1_PKS1_PKT2_SA_S7_PKT4_PKT5_S5_PT6_21rocsparse_index_base_b
    .private_segment_fixed_size: 0
    .sgpr_count:     20
    .sgpr_spill_count: 0
    .symbol:         _ZN9rocsparseL18bsrxmvn_3x3_kernelILj256ELj32EfllaafEEvT3_20rocsparse_direction_NS_24const_host_device_scalarIT1_EES1_PKS1_PKT2_SA_S7_PKT4_PKT5_S5_PT6_21rocsparse_index_base_b.kd
    .uniform_work_group_size: 1
    .uses_dynamic_stack: false
    .vgpr_count:     32
    .vgpr_spill_count: 0
    .wavefront_size: 32
    .workgroup_processor_mode: 1
  - .args:
      - .offset:         0
        .size:           8
        .value_kind:     by_value
      - .offset:         8
        .size:           4
        .value_kind:     by_value
      - .offset:         16
        .size:           8
        .value_kind:     by_value
      - .offset:         24
        .size:           8
        .value_kind:     by_value
      - .actual_access:  read_only
        .address_space:  global
        .offset:         32
        .size:           8
        .value_kind:     global_buffer
      - .actual_access:  read_only
        .address_space:  global
        .offset:         40
        .size:           8
        .value_kind:     global_buffer
      - .actual_access:  read_only
        .address_space:  global
        .offset:         48
        .size:           8
        .value_kind:     global_buffer
      - .actual_access:  read_only
        .address_space:  global
        .offset:         56
        .size:           8
        .value_kind:     global_buffer
      - .actual_access:  read_only
        .address_space:  global
        .offset:         64
        .size:           8
        .value_kind:     global_buffer
      - .actual_access:  read_only
        .address_space:  global
        .offset:         72
        .size:           8
        .value_kind:     global_buffer
      - .offset:         80
        .size:           8
        .value_kind:     by_value
      - .address_space:  global
        .offset:         88
        .size:           8
        .value_kind:     global_buffer
      - .offset:         96
        .size:           4
        .value_kind:     by_value
      - .offset:         100
        .size:           1
        .value_kind:     by_value
    .group_segment_fixed_size: 0
    .kernarg_segment_align: 8
    .kernarg_segment_size: 104
    .language:       OpenCL C
    .language_version:
      - 2
      - 0
    .max_flat_workgroup_size: 256
    .name:           _ZN9rocsparseL18bsrxmvn_3x3_kernelILj256ELj64EfllaafEEvT3_20rocsparse_direction_NS_24const_host_device_scalarIT1_EES1_PKS1_PKT2_SA_S7_PKT4_PKT5_S5_PT6_21rocsparse_index_base_b
    .private_segment_fixed_size: 0
    .sgpr_count:     20
    .sgpr_spill_count: 0
    .symbol:         _ZN9rocsparseL18bsrxmvn_3x3_kernelILj256ELj64EfllaafEEvT3_20rocsparse_direction_NS_24const_host_device_scalarIT1_EES1_PKS1_PKT2_SA_S7_PKT4_PKT5_S5_PT6_21rocsparse_index_base_b.kd
    .uniform_work_group_size: 1
    .uses_dynamic_stack: false
    .vgpr_count:     32
    .vgpr_spill_count: 0
    .wavefront_size: 32
    .workgroup_processor_mode: 1
  - .args:
      - .offset:         0
        .size:           4
        .value_kind:     by_value
      - .offset:         4
        .size:           4
        .value_kind:     by_value
      - .offset:         8
        .size:           8
        .value_kind:     by_value
      - .offset:         16
        .size:           4
        .value_kind:     by_value
      - .actual_access:  read_only
        .address_space:  global
        .offset:         24
        .size:           8
        .value_kind:     global_buffer
      - .actual_access:  read_only
        .address_space:  global
        .offset:         32
        .size:           8
        .value_kind:     global_buffer
      - .actual_access:  read_only
        .address_space:  global
        .offset:         40
        .size:           8
        .value_kind:     global_buffer
      - .actual_access:  read_only
        .address_space:  global
        .offset:         48
        .size:           8
        .value_kind:     global_buffer
      - .actual_access:  read_only
        .address_space:  global
        .offset:         56
        .size:           8
        .value_kind:     global_buffer
      - .actual_access:  read_only
        .address_space:  global
        .offset:         64
        .size:           8
        .value_kind:     global_buffer
      - .offset:         72
        .size:           8
        .value_kind:     by_value
      - .address_space:  global
        .offset:         80
        .size:           8
        .value_kind:     global_buffer
      - .offset:         88
        .size:           4
        .value_kind:     by_value
      - .offset:         92
        .size:           1
        .value_kind:     by_value
    .group_segment_fixed_size: 0
    .kernarg_segment_align: 8
    .kernarg_segment_size: 96
    .language:       OpenCL C
    .language_version:
      - 2
      - 0
    .max_flat_workgroup_size: 256
    .name:           _ZN9rocsparseL18bsrxmvn_3x3_kernelILj256ELj4EfiiDF16_DF16_fEEvT3_20rocsparse_direction_NS_24const_host_device_scalarIT1_EES1_PKS1_PKT2_SA_S7_PKT4_PKT5_S5_PT6_21rocsparse_index_base_b
    .private_segment_fixed_size: 0
    .sgpr_count:     20
    .sgpr_spill_count: 0
    .symbol:         _ZN9rocsparseL18bsrxmvn_3x3_kernelILj256ELj4EfiiDF16_DF16_fEEvT3_20rocsparse_direction_NS_24const_host_device_scalarIT1_EES1_PKS1_PKT2_SA_S7_PKT4_PKT5_S5_PT6_21rocsparse_index_base_b.kd
    .uniform_work_group_size: 1
    .uses_dynamic_stack: false
    .vgpr_count:     20
    .vgpr_spill_count: 0
    .wavefront_size: 32
    .workgroup_processor_mode: 1
  - .args:
      - .offset:         0
        .size:           4
        .value_kind:     by_value
      - .offset:         4
        .size:           4
        .value_kind:     by_value
      - .offset:         8
        .size:           8
        .value_kind:     by_value
      - .offset:         16
        .size:           4
        .value_kind:     by_value
      - .actual_access:  read_only
        .address_space:  global
        .offset:         24
        .size:           8
        .value_kind:     global_buffer
      - .actual_access:  read_only
        .address_space:  global
        .offset:         32
        .size:           8
        .value_kind:     global_buffer
      - .actual_access:  read_only
        .address_space:  global
        .offset:         40
        .size:           8
        .value_kind:     global_buffer
      - .actual_access:  read_only
        .address_space:  global
        .offset:         48
        .size:           8
        .value_kind:     global_buffer
      - .actual_access:  read_only
        .address_space:  global
        .offset:         56
        .size:           8
        .value_kind:     global_buffer
      - .actual_access:  read_only
        .address_space:  global
        .offset:         64
        .size:           8
        .value_kind:     global_buffer
      - .offset:         72
        .size:           8
        .value_kind:     by_value
      - .address_space:  global
        .offset:         80
        .size:           8
        .value_kind:     global_buffer
      - .offset:         88
        .size:           4
        .value_kind:     by_value
      - .offset:         92
        .size:           1
        .value_kind:     by_value
    .group_segment_fixed_size: 0
    .kernarg_segment_align: 8
    .kernarg_segment_size: 96
    .language:       OpenCL C
    .language_version:
      - 2
      - 0
    .max_flat_workgroup_size: 256
    .name:           _ZN9rocsparseL18bsrxmvn_3x3_kernelILj256ELj8EfiiDF16_DF16_fEEvT3_20rocsparse_direction_NS_24const_host_device_scalarIT1_EES1_PKS1_PKT2_SA_S7_PKT4_PKT5_S5_PT6_21rocsparse_index_base_b
    .private_segment_fixed_size: 0
    .sgpr_count:     20
    .sgpr_spill_count: 0
    .symbol:         _ZN9rocsparseL18bsrxmvn_3x3_kernelILj256ELj8EfiiDF16_DF16_fEEvT3_20rocsparse_direction_NS_24const_host_device_scalarIT1_EES1_PKS1_PKT2_SA_S7_PKT4_PKT5_S5_PT6_21rocsparse_index_base_b.kd
    .uniform_work_group_size: 1
    .uses_dynamic_stack: false
    .vgpr_count:     20
    .vgpr_spill_count: 0
    .wavefront_size: 32
    .workgroup_processor_mode: 1
  - .args:
      - .offset:         0
        .size:           4
        .value_kind:     by_value
      - .offset:         4
        .size:           4
        .value_kind:     by_value
      - .offset:         8
        .size:           8
        .value_kind:     by_value
      - .offset:         16
        .size:           4
        .value_kind:     by_value
      - .actual_access:  read_only
        .address_space:  global
        .offset:         24
        .size:           8
        .value_kind:     global_buffer
      - .actual_access:  read_only
        .address_space:  global
        .offset:         32
        .size:           8
        .value_kind:     global_buffer
      - .actual_access:  read_only
        .address_space:  global
        .offset:         40
        .size:           8
        .value_kind:     global_buffer
      - .actual_access:  read_only
        .address_space:  global
        .offset:         48
        .size:           8
        .value_kind:     global_buffer
      - .actual_access:  read_only
        .address_space:  global
        .offset:         56
        .size:           8
        .value_kind:     global_buffer
      - .actual_access:  read_only
        .address_space:  global
        .offset:         64
        .size:           8
        .value_kind:     global_buffer
      - .offset:         72
        .size:           8
        .value_kind:     by_value
      - .address_space:  global
        .offset:         80
        .size:           8
        .value_kind:     global_buffer
      - .offset:         88
        .size:           4
        .value_kind:     by_value
      - .offset:         92
        .size:           1
        .value_kind:     by_value
    .group_segment_fixed_size: 0
    .kernarg_segment_align: 8
    .kernarg_segment_size: 96
    .language:       OpenCL C
    .language_version:
      - 2
      - 0
    .max_flat_workgroup_size: 256
    .name:           _ZN9rocsparseL18bsrxmvn_3x3_kernelILj256ELj16EfiiDF16_DF16_fEEvT3_20rocsparse_direction_NS_24const_host_device_scalarIT1_EES1_PKS1_PKT2_SA_S7_PKT4_PKT5_S5_PT6_21rocsparse_index_base_b
    .private_segment_fixed_size: 0
    .sgpr_count:     20
    .sgpr_spill_count: 0
    .symbol:         _ZN9rocsparseL18bsrxmvn_3x3_kernelILj256ELj16EfiiDF16_DF16_fEEvT3_20rocsparse_direction_NS_24const_host_device_scalarIT1_EES1_PKS1_PKT2_SA_S7_PKT4_PKT5_S5_PT6_21rocsparse_index_base_b.kd
    .uniform_work_group_size: 1
    .uses_dynamic_stack: false
    .vgpr_count:     20
    .vgpr_spill_count: 0
    .wavefront_size: 32
    .workgroup_processor_mode: 1
  - .args:
      - .offset:         0
        .size:           4
        .value_kind:     by_value
      - .offset:         4
        .size:           4
        .value_kind:     by_value
      - .offset:         8
        .size:           8
        .value_kind:     by_value
      - .offset:         16
        .size:           4
        .value_kind:     by_value
      - .actual_access:  read_only
        .address_space:  global
        .offset:         24
        .size:           8
        .value_kind:     global_buffer
      - .actual_access:  read_only
        .address_space:  global
        .offset:         32
        .size:           8
        .value_kind:     global_buffer
      - .actual_access:  read_only
        .address_space:  global
        .offset:         40
        .size:           8
        .value_kind:     global_buffer
      - .actual_access:  read_only
        .address_space:  global
        .offset:         48
        .size:           8
        .value_kind:     global_buffer
      - .actual_access:  read_only
        .address_space:  global
        .offset:         56
        .size:           8
        .value_kind:     global_buffer
      - .actual_access:  read_only
        .address_space:  global
        .offset:         64
        .size:           8
        .value_kind:     global_buffer
      - .offset:         72
        .size:           8
        .value_kind:     by_value
      - .address_space:  global
        .offset:         80
        .size:           8
        .value_kind:     global_buffer
      - .offset:         88
        .size:           4
        .value_kind:     by_value
      - .offset:         92
        .size:           1
        .value_kind:     by_value
    .group_segment_fixed_size: 0
    .kernarg_segment_align: 8
    .kernarg_segment_size: 96
    .language:       OpenCL C
    .language_version:
      - 2
      - 0
    .max_flat_workgroup_size: 256
    .name:           _ZN9rocsparseL18bsrxmvn_3x3_kernelILj256ELj32EfiiDF16_DF16_fEEvT3_20rocsparse_direction_NS_24const_host_device_scalarIT1_EES1_PKS1_PKT2_SA_S7_PKT4_PKT5_S5_PT6_21rocsparse_index_base_b
    .private_segment_fixed_size: 0
    .sgpr_count:     20
    .sgpr_spill_count: 0
    .symbol:         _ZN9rocsparseL18bsrxmvn_3x3_kernelILj256ELj32EfiiDF16_DF16_fEEvT3_20rocsparse_direction_NS_24const_host_device_scalarIT1_EES1_PKS1_PKT2_SA_S7_PKT4_PKT5_S5_PT6_21rocsparse_index_base_b.kd
    .uniform_work_group_size: 1
    .uses_dynamic_stack: false
    .vgpr_count:     20
    .vgpr_spill_count: 0
    .wavefront_size: 32
    .workgroup_processor_mode: 1
  - .args:
      - .offset:         0
        .size:           4
        .value_kind:     by_value
      - .offset:         4
        .size:           4
        .value_kind:     by_value
      - .offset:         8
        .size:           8
        .value_kind:     by_value
      - .offset:         16
        .size:           4
        .value_kind:     by_value
      - .actual_access:  read_only
        .address_space:  global
        .offset:         24
        .size:           8
        .value_kind:     global_buffer
      - .actual_access:  read_only
        .address_space:  global
        .offset:         32
        .size:           8
        .value_kind:     global_buffer
      - .actual_access:  read_only
        .address_space:  global
        .offset:         40
        .size:           8
        .value_kind:     global_buffer
      - .actual_access:  read_only
        .address_space:  global
        .offset:         48
        .size:           8
        .value_kind:     global_buffer
      - .actual_access:  read_only
        .address_space:  global
        .offset:         56
        .size:           8
        .value_kind:     global_buffer
      - .actual_access:  read_only
        .address_space:  global
        .offset:         64
        .size:           8
        .value_kind:     global_buffer
      - .offset:         72
        .size:           8
        .value_kind:     by_value
      - .address_space:  global
        .offset:         80
        .size:           8
        .value_kind:     global_buffer
      - .offset:         88
        .size:           4
        .value_kind:     by_value
      - .offset:         92
        .size:           1
        .value_kind:     by_value
    .group_segment_fixed_size: 0
    .kernarg_segment_align: 8
    .kernarg_segment_size: 96
    .language:       OpenCL C
    .language_version:
      - 2
      - 0
    .max_flat_workgroup_size: 256
    .name:           _ZN9rocsparseL18bsrxmvn_3x3_kernelILj256ELj64EfiiDF16_DF16_fEEvT3_20rocsparse_direction_NS_24const_host_device_scalarIT1_EES1_PKS1_PKT2_SA_S7_PKT4_PKT5_S5_PT6_21rocsparse_index_base_b
    .private_segment_fixed_size: 0
    .sgpr_count:     20
    .sgpr_spill_count: 0
    .symbol:         _ZN9rocsparseL18bsrxmvn_3x3_kernelILj256ELj64EfiiDF16_DF16_fEEvT3_20rocsparse_direction_NS_24const_host_device_scalarIT1_EES1_PKS1_PKT2_SA_S7_PKT4_PKT5_S5_PT6_21rocsparse_index_base_b.kd
    .uniform_work_group_size: 1
    .uses_dynamic_stack: false
    .vgpr_count:     20
    .vgpr_spill_count: 0
    .wavefront_size: 32
    .workgroup_processor_mode: 1
  - .args:
      - .offset:         0
        .size:           4
        .value_kind:     by_value
      - .offset:         4
        .size:           4
        .value_kind:     by_value
      - .offset:         8
        .size:           8
        .value_kind:     by_value
      - .offset:         16
        .size:           4
        .value_kind:     by_value
      - .actual_access:  read_only
        .address_space:  global
        .offset:         24
        .size:           8
        .value_kind:     global_buffer
      - .actual_access:  read_only
        .address_space:  global
        .offset:         32
        .size:           8
        .value_kind:     global_buffer
      - .actual_access:  read_only
        .address_space:  global
        .offset:         40
        .size:           8
        .value_kind:     global_buffer
      - .actual_access:  read_only
        .address_space:  global
        .offset:         48
        .size:           8
        .value_kind:     global_buffer
      - .actual_access:  read_only
        .address_space:  global
        .offset:         56
        .size:           8
        .value_kind:     global_buffer
      - .actual_access:  read_only
        .address_space:  global
        .offset:         64
        .size:           8
        .value_kind:     global_buffer
      - .offset:         72
        .size:           8
        .value_kind:     by_value
      - .address_space:  global
        .offset:         80
        .size:           8
        .value_kind:     global_buffer
      - .offset:         88
        .size:           4
        .value_kind:     by_value
      - .offset:         92
        .size:           1
        .value_kind:     by_value
    .group_segment_fixed_size: 0
    .kernarg_segment_align: 8
    .kernarg_segment_size: 96
    .language:       OpenCL C
    .language_version:
      - 2
      - 0
    .max_flat_workgroup_size: 256
    .name:           _ZN9rocsparseL18bsrxmvn_3x3_kernelILj256ELj4EfliDF16_DF16_fEEvT3_20rocsparse_direction_NS_24const_host_device_scalarIT1_EES1_PKS1_PKT2_SA_S7_PKT4_PKT5_S5_PT6_21rocsparse_index_base_b
    .private_segment_fixed_size: 0
    .sgpr_count:     20
    .sgpr_spill_count: 0
    .symbol:         _ZN9rocsparseL18bsrxmvn_3x3_kernelILj256ELj4EfliDF16_DF16_fEEvT3_20rocsparse_direction_NS_24const_host_device_scalarIT1_EES1_PKS1_PKT2_SA_S7_PKT4_PKT5_S5_PT6_21rocsparse_index_base_b.kd
    .uniform_work_group_size: 1
    .uses_dynamic_stack: false
    .vgpr_count:     24
    .vgpr_spill_count: 0
    .wavefront_size: 32
    .workgroup_processor_mode: 1
  - .args:
      - .offset:         0
        .size:           4
        .value_kind:     by_value
      - .offset:         4
        .size:           4
        .value_kind:     by_value
      - .offset:         8
        .size:           8
        .value_kind:     by_value
      - .offset:         16
        .size:           4
        .value_kind:     by_value
      - .actual_access:  read_only
        .address_space:  global
        .offset:         24
        .size:           8
        .value_kind:     global_buffer
      - .actual_access:  read_only
        .address_space:  global
        .offset:         32
        .size:           8
        .value_kind:     global_buffer
      - .actual_access:  read_only
        .address_space:  global
        .offset:         40
        .size:           8
        .value_kind:     global_buffer
      - .actual_access:  read_only
        .address_space:  global
        .offset:         48
        .size:           8
        .value_kind:     global_buffer
      - .actual_access:  read_only
        .address_space:  global
        .offset:         56
        .size:           8
        .value_kind:     global_buffer
      - .actual_access:  read_only
        .address_space:  global
        .offset:         64
        .size:           8
        .value_kind:     global_buffer
      - .offset:         72
        .size:           8
        .value_kind:     by_value
      - .address_space:  global
        .offset:         80
        .size:           8
        .value_kind:     global_buffer
      - .offset:         88
        .size:           4
        .value_kind:     by_value
      - .offset:         92
        .size:           1
        .value_kind:     by_value
    .group_segment_fixed_size: 0
    .kernarg_segment_align: 8
    .kernarg_segment_size: 96
    .language:       OpenCL C
    .language_version:
      - 2
      - 0
    .max_flat_workgroup_size: 256
    .name:           _ZN9rocsparseL18bsrxmvn_3x3_kernelILj256ELj8EfliDF16_DF16_fEEvT3_20rocsparse_direction_NS_24const_host_device_scalarIT1_EES1_PKS1_PKT2_SA_S7_PKT4_PKT5_S5_PT6_21rocsparse_index_base_b
    .private_segment_fixed_size: 0
    .sgpr_count:     20
    .sgpr_spill_count: 0
    .symbol:         _ZN9rocsparseL18bsrxmvn_3x3_kernelILj256ELj8EfliDF16_DF16_fEEvT3_20rocsparse_direction_NS_24const_host_device_scalarIT1_EES1_PKS1_PKT2_SA_S7_PKT4_PKT5_S5_PT6_21rocsparse_index_base_b.kd
    .uniform_work_group_size: 1
    .uses_dynamic_stack: false
    .vgpr_count:     24
    .vgpr_spill_count: 0
    .wavefront_size: 32
    .workgroup_processor_mode: 1
  - .args:
      - .offset:         0
        .size:           4
        .value_kind:     by_value
      - .offset:         4
        .size:           4
        .value_kind:     by_value
      - .offset:         8
        .size:           8
        .value_kind:     by_value
      - .offset:         16
        .size:           4
        .value_kind:     by_value
      - .actual_access:  read_only
        .address_space:  global
        .offset:         24
        .size:           8
        .value_kind:     global_buffer
      - .actual_access:  read_only
        .address_space:  global
        .offset:         32
        .size:           8
        .value_kind:     global_buffer
      - .actual_access:  read_only
        .address_space:  global
        .offset:         40
        .size:           8
        .value_kind:     global_buffer
      - .actual_access:  read_only
        .address_space:  global
        .offset:         48
        .size:           8
        .value_kind:     global_buffer
      - .actual_access:  read_only
        .address_space:  global
        .offset:         56
        .size:           8
        .value_kind:     global_buffer
      - .actual_access:  read_only
        .address_space:  global
        .offset:         64
        .size:           8
        .value_kind:     global_buffer
      - .offset:         72
        .size:           8
        .value_kind:     by_value
      - .address_space:  global
        .offset:         80
        .size:           8
        .value_kind:     global_buffer
      - .offset:         88
        .size:           4
        .value_kind:     by_value
      - .offset:         92
        .size:           1
        .value_kind:     by_value
    .group_segment_fixed_size: 0
    .kernarg_segment_align: 8
    .kernarg_segment_size: 96
    .language:       OpenCL C
    .language_version:
      - 2
      - 0
    .max_flat_workgroup_size: 256
    .name:           _ZN9rocsparseL18bsrxmvn_3x3_kernelILj256ELj16EfliDF16_DF16_fEEvT3_20rocsparse_direction_NS_24const_host_device_scalarIT1_EES1_PKS1_PKT2_SA_S7_PKT4_PKT5_S5_PT6_21rocsparse_index_base_b
    .private_segment_fixed_size: 0
    .sgpr_count:     20
    .sgpr_spill_count: 0
    .symbol:         _ZN9rocsparseL18bsrxmvn_3x3_kernelILj256ELj16EfliDF16_DF16_fEEvT3_20rocsparse_direction_NS_24const_host_device_scalarIT1_EES1_PKS1_PKT2_SA_S7_PKT4_PKT5_S5_PT6_21rocsparse_index_base_b.kd
    .uniform_work_group_size: 1
    .uses_dynamic_stack: false
    .vgpr_count:     24
    .vgpr_spill_count: 0
    .wavefront_size: 32
    .workgroup_processor_mode: 1
  - .args:
      - .offset:         0
        .size:           4
        .value_kind:     by_value
      - .offset:         4
        .size:           4
        .value_kind:     by_value
      - .offset:         8
        .size:           8
        .value_kind:     by_value
      - .offset:         16
        .size:           4
        .value_kind:     by_value
      - .actual_access:  read_only
        .address_space:  global
        .offset:         24
        .size:           8
        .value_kind:     global_buffer
      - .actual_access:  read_only
        .address_space:  global
        .offset:         32
        .size:           8
        .value_kind:     global_buffer
      - .actual_access:  read_only
        .address_space:  global
        .offset:         40
        .size:           8
        .value_kind:     global_buffer
      - .actual_access:  read_only
        .address_space:  global
        .offset:         48
        .size:           8
        .value_kind:     global_buffer
      - .actual_access:  read_only
        .address_space:  global
        .offset:         56
        .size:           8
        .value_kind:     global_buffer
      - .actual_access:  read_only
        .address_space:  global
        .offset:         64
        .size:           8
        .value_kind:     global_buffer
      - .offset:         72
        .size:           8
        .value_kind:     by_value
      - .address_space:  global
        .offset:         80
        .size:           8
        .value_kind:     global_buffer
      - .offset:         88
        .size:           4
        .value_kind:     by_value
      - .offset:         92
        .size:           1
        .value_kind:     by_value
    .group_segment_fixed_size: 0
    .kernarg_segment_align: 8
    .kernarg_segment_size: 96
    .language:       OpenCL C
    .language_version:
      - 2
      - 0
    .max_flat_workgroup_size: 256
    .name:           _ZN9rocsparseL18bsrxmvn_3x3_kernelILj256ELj32EfliDF16_DF16_fEEvT3_20rocsparse_direction_NS_24const_host_device_scalarIT1_EES1_PKS1_PKT2_SA_S7_PKT4_PKT5_S5_PT6_21rocsparse_index_base_b
    .private_segment_fixed_size: 0
    .sgpr_count:     20
    .sgpr_spill_count: 0
    .symbol:         _ZN9rocsparseL18bsrxmvn_3x3_kernelILj256ELj32EfliDF16_DF16_fEEvT3_20rocsparse_direction_NS_24const_host_device_scalarIT1_EES1_PKS1_PKT2_SA_S7_PKT4_PKT5_S5_PT6_21rocsparse_index_base_b.kd
    .uniform_work_group_size: 1
    .uses_dynamic_stack: false
    .vgpr_count:     24
    .vgpr_spill_count: 0
    .wavefront_size: 32
    .workgroup_processor_mode: 1
  - .args:
      - .offset:         0
        .size:           4
        .value_kind:     by_value
      - .offset:         4
        .size:           4
        .value_kind:     by_value
      - .offset:         8
        .size:           8
        .value_kind:     by_value
      - .offset:         16
        .size:           4
        .value_kind:     by_value
      - .actual_access:  read_only
        .address_space:  global
        .offset:         24
        .size:           8
        .value_kind:     global_buffer
      - .actual_access:  read_only
        .address_space:  global
        .offset:         32
        .size:           8
        .value_kind:     global_buffer
      - .actual_access:  read_only
        .address_space:  global
        .offset:         40
        .size:           8
        .value_kind:     global_buffer
      - .actual_access:  read_only
        .address_space:  global
        .offset:         48
        .size:           8
        .value_kind:     global_buffer
      - .actual_access:  read_only
        .address_space:  global
        .offset:         56
        .size:           8
        .value_kind:     global_buffer
      - .actual_access:  read_only
        .address_space:  global
        .offset:         64
        .size:           8
        .value_kind:     global_buffer
      - .offset:         72
        .size:           8
        .value_kind:     by_value
      - .address_space:  global
        .offset:         80
        .size:           8
        .value_kind:     global_buffer
      - .offset:         88
        .size:           4
        .value_kind:     by_value
      - .offset:         92
        .size:           1
        .value_kind:     by_value
    .group_segment_fixed_size: 0
    .kernarg_segment_align: 8
    .kernarg_segment_size: 96
    .language:       OpenCL C
    .language_version:
      - 2
      - 0
    .max_flat_workgroup_size: 256
    .name:           _ZN9rocsparseL18bsrxmvn_3x3_kernelILj256ELj64EfliDF16_DF16_fEEvT3_20rocsparse_direction_NS_24const_host_device_scalarIT1_EES1_PKS1_PKT2_SA_S7_PKT4_PKT5_S5_PT6_21rocsparse_index_base_b
    .private_segment_fixed_size: 0
    .sgpr_count:     20
    .sgpr_spill_count: 0
    .symbol:         _ZN9rocsparseL18bsrxmvn_3x3_kernelILj256ELj64EfliDF16_DF16_fEEvT3_20rocsparse_direction_NS_24const_host_device_scalarIT1_EES1_PKS1_PKT2_SA_S7_PKT4_PKT5_S5_PT6_21rocsparse_index_base_b.kd
    .uniform_work_group_size: 1
    .uses_dynamic_stack: false
    .vgpr_count:     24
    .vgpr_spill_count: 0
    .wavefront_size: 32
    .workgroup_processor_mode: 1
  - .args:
      - .offset:         0
        .size:           8
        .value_kind:     by_value
      - .offset:         8
        .size:           4
        .value_kind:     by_value
      - .offset:         16
        .size:           8
        .value_kind:     by_value
      - .offset:         24
        .size:           8
        .value_kind:     by_value
      - .actual_access:  read_only
        .address_space:  global
        .offset:         32
        .size:           8
        .value_kind:     global_buffer
      - .actual_access:  read_only
        .address_space:  global
        .offset:         40
        .size:           8
        .value_kind:     global_buffer
      - .actual_access:  read_only
        .address_space:  global
        .offset:         48
        .size:           8
        .value_kind:     global_buffer
      - .actual_access:  read_only
        .address_space:  global
        .offset:         56
        .size:           8
        .value_kind:     global_buffer
      - .actual_access:  read_only
        .address_space:  global
        .offset:         64
        .size:           8
        .value_kind:     global_buffer
      - .actual_access:  read_only
        .address_space:  global
        .offset:         72
        .size:           8
        .value_kind:     global_buffer
      - .offset:         80
        .size:           8
        .value_kind:     by_value
      - .address_space:  global
        .offset:         88
        .size:           8
        .value_kind:     global_buffer
      - .offset:         96
        .size:           4
        .value_kind:     by_value
      - .offset:         100
        .size:           1
        .value_kind:     by_value
    .group_segment_fixed_size: 0
    .kernarg_segment_align: 8
    .kernarg_segment_size: 104
    .language:       OpenCL C
    .language_version:
      - 2
      - 0
    .max_flat_workgroup_size: 256
    .name:           _ZN9rocsparseL18bsrxmvn_3x3_kernelILj256ELj4EfllDF16_DF16_fEEvT3_20rocsparse_direction_NS_24const_host_device_scalarIT1_EES1_PKS1_PKT2_SA_S7_PKT4_PKT5_S5_PT6_21rocsparse_index_base_b
    .private_segment_fixed_size: 0
    .sgpr_count:     20
    .sgpr_spill_count: 0
    .symbol:         _ZN9rocsparseL18bsrxmvn_3x3_kernelILj256ELj4EfllDF16_DF16_fEEvT3_20rocsparse_direction_NS_24const_host_device_scalarIT1_EES1_PKS1_PKT2_SA_S7_PKT4_PKT5_S5_PT6_21rocsparse_index_base_b.kd
    .uniform_work_group_size: 1
    .uses_dynamic_stack: false
    .vgpr_count:     27
    .vgpr_spill_count: 0
    .wavefront_size: 32
    .workgroup_processor_mode: 1
  - .args:
      - .offset:         0
        .size:           8
        .value_kind:     by_value
      - .offset:         8
        .size:           4
        .value_kind:     by_value
      - .offset:         16
        .size:           8
        .value_kind:     by_value
      - .offset:         24
        .size:           8
        .value_kind:     by_value
      - .actual_access:  read_only
        .address_space:  global
        .offset:         32
        .size:           8
        .value_kind:     global_buffer
      - .actual_access:  read_only
        .address_space:  global
        .offset:         40
        .size:           8
        .value_kind:     global_buffer
      - .actual_access:  read_only
        .address_space:  global
        .offset:         48
        .size:           8
        .value_kind:     global_buffer
      - .actual_access:  read_only
        .address_space:  global
        .offset:         56
        .size:           8
        .value_kind:     global_buffer
      - .actual_access:  read_only
        .address_space:  global
        .offset:         64
        .size:           8
        .value_kind:     global_buffer
      - .actual_access:  read_only
        .address_space:  global
        .offset:         72
        .size:           8
        .value_kind:     global_buffer
      - .offset:         80
        .size:           8
        .value_kind:     by_value
      - .address_space:  global
        .offset:         88
        .size:           8
        .value_kind:     global_buffer
      - .offset:         96
        .size:           4
        .value_kind:     by_value
      - .offset:         100
        .size:           1
        .value_kind:     by_value
    .group_segment_fixed_size: 0
    .kernarg_segment_align: 8
    .kernarg_segment_size: 104
    .language:       OpenCL C
    .language_version:
      - 2
      - 0
    .max_flat_workgroup_size: 256
    .name:           _ZN9rocsparseL18bsrxmvn_3x3_kernelILj256ELj8EfllDF16_DF16_fEEvT3_20rocsparse_direction_NS_24const_host_device_scalarIT1_EES1_PKS1_PKT2_SA_S7_PKT4_PKT5_S5_PT6_21rocsparse_index_base_b
    .private_segment_fixed_size: 0
    .sgpr_count:     20
    .sgpr_spill_count: 0
    .symbol:         _ZN9rocsparseL18bsrxmvn_3x3_kernelILj256ELj8EfllDF16_DF16_fEEvT3_20rocsparse_direction_NS_24const_host_device_scalarIT1_EES1_PKS1_PKT2_SA_S7_PKT4_PKT5_S5_PT6_21rocsparse_index_base_b.kd
    .uniform_work_group_size: 1
    .uses_dynamic_stack: false
    .vgpr_count:     27
    .vgpr_spill_count: 0
    .wavefront_size: 32
    .workgroup_processor_mode: 1
  - .args:
      - .offset:         0
        .size:           8
        .value_kind:     by_value
      - .offset:         8
        .size:           4
        .value_kind:     by_value
      - .offset:         16
        .size:           8
        .value_kind:     by_value
      - .offset:         24
        .size:           8
        .value_kind:     by_value
      - .actual_access:  read_only
        .address_space:  global
        .offset:         32
        .size:           8
        .value_kind:     global_buffer
      - .actual_access:  read_only
        .address_space:  global
        .offset:         40
        .size:           8
        .value_kind:     global_buffer
      - .actual_access:  read_only
        .address_space:  global
        .offset:         48
        .size:           8
        .value_kind:     global_buffer
      - .actual_access:  read_only
        .address_space:  global
        .offset:         56
        .size:           8
        .value_kind:     global_buffer
      - .actual_access:  read_only
        .address_space:  global
        .offset:         64
        .size:           8
        .value_kind:     global_buffer
      - .actual_access:  read_only
        .address_space:  global
        .offset:         72
        .size:           8
        .value_kind:     global_buffer
      - .offset:         80
        .size:           8
        .value_kind:     by_value
      - .address_space:  global
        .offset:         88
        .size:           8
        .value_kind:     global_buffer
      - .offset:         96
        .size:           4
        .value_kind:     by_value
      - .offset:         100
        .size:           1
        .value_kind:     by_value
    .group_segment_fixed_size: 0
    .kernarg_segment_align: 8
    .kernarg_segment_size: 104
    .language:       OpenCL C
    .language_version:
      - 2
      - 0
    .max_flat_workgroup_size: 256
    .name:           _ZN9rocsparseL18bsrxmvn_3x3_kernelILj256ELj16EfllDF16_DF16_fEEvT3_20rocsparse_direction_NS_24const_host_device_scalarIT1_EES1_PKS1_PKT2_SA_S7_PKT4_PKT5_S5_PT6_21rocsparse_index_base_b
    .private_segment_fixed_size: 0
    .sgpr_count:     20
    .sgpr_spill_count: 0
    .symbol:         _ZN9rocsparseL18bsrxmvn_3x3_kernelILj256ELj16EfllDF16_DF16_fEEvT3_20rocsparse_direction_NS_24const_host_device_scalarIT1_EES1_PKS1_PKT2_SA_S7_PKT4_PKT5_S5_PT6_21rocsparse_index_base_b.kd
    .uniform_work_group_size: 1
    .uses_dynamic_stack: false
    .vgpr_count:     27
    .vgpr_spill_count: 0
    .wavefront_size: 32
    .workgroup_processor_mode: 1
  - .args:
      - .offset:         0
        .size:           8
        .value_kind:     by_value
      - .offset:         8
        .size:           4
        .value_kind:     by_value
      - .offset:         16
        .size:           8
        .value_kind:     by_value
      - .offset:         24
        .size:           8
        .value_kind:     by_value
      - .actual_access:  read_only
        .address_space:  global
        .offset:         32
        .size:           8
        .value_kind:     global_buffer
      - .actual_access:  read_only
        .address_space:  global
        .offset:         40
        .size:           8
        .value_kind:     global_buffer
      - .actual_access:  read_only
        .address_space:  global
        .offset:         48
        .size:           8
        .value_kind:     global_buffer
      - .actual_access:  read_only
        .address_space:  global
        .offset:         56
        .size:           8
        .value_kind:     global_buffer
      - .actual_access:  read_only
        .address_space:  global
        .offset:         64
        .size:           8
        .value_kind:     global_buffer
      - .actual_access:  read_only
        .address_space:  global
        .offset:         72
        .size:           8
        .value_kind:     global_buffer
      - .offset:         80
        .size:           8
        .value_kind:     by_value
      - .address_space:  global
        .offset:         88
        .size:           8
        .value_kind:     global_buffer
      - .offset:         96
        .size:           4
        .value_kind:     by_value
      - .offset:         100
        .size:           1
        .value_kind:     by_value
    .group_segment_fixed_size: 0
    .kernarg_segment_align: 8
    .kernarg_segment_size: 104
    .language:       OpenCL C
    .language_version:
      - 2
      - 0
    .max_flat_workgroup_size: 256
    .name:           _ZN9rocsparseL18bsrxmvn_3x3_kernelILj256ELj32EfllDF16_DF16_fEEvT3_20rocsparse_direction_NS_24const_host_device_scalarIT1_EES1_PKS1_PKT2_SA_S7_PKT4_PKT5_S5_PT6_21rocsparse_index_base_b
    .private_segment_fixed_size: 0
    .sgpr_count:     20
    .sgpr_spill_count: 0
    .symbol:         _ZN9rocsparseL18bsrxmvn_3x3_kernelILj256ELj32EfllDF16_DF16_fEEvT3_20rocsparse_direction_NS_24const_host_device_scalarIT1_EES1_PKS1_PKT2_SA_S7_PKT4_PKT5_S5_PT6_21rocsparse_index_base_b.kd
    .uniform_work_group_size: 1
    .uses_dynamic_stack: false
    .vgpr_count:     27
    .vgpr_spill_count: 0
    .wavefront_size: 32
    .workgroup_processor_mode: 1
  - .args:
      - .offset:         0
        .size:           8
        .value_kind:     by_value
      - .offset:         8
        .size:           4
        .value_kind:     by_value
      - .offset:         16
        .size:           8
        .value_kind:     by_value
      - .offset:         24
        .size:           8
        .value_kind:     by_value
      - .actual_access:  read_only
        .address_space:  global
        .offset:         32
        .size:           8
        .value_kind:     global_buffer
      - .actual_access:  read_only
        .address_space:  global
        .offset:         40
        .size:           8
        .value_kind:     global_buffer
      - .actual_access:  read_only
        .address_space:  global
        .offset:         48
        .size:           8
        .value_kind:     global_buffer
      - .actual_access:  read_only
        .address_space:  global
        .offset:         56
        .size:           8
        .value_kind:     global_buffer
      - .actual_access:  read_only
        .address_space:  global
        .offset:         64
        .size:           8
        .value_kind:     global_buffer
      - .actual_access:  read_only
        .address_space:  global
        .offset:         72
        .size:           8
        .value_kind:     global_buffer
      - .offset:         80
        .size:           8
        .value_kind:     by_value
      - .address_space:  global
        .offset:         88
        .size:           8
        .value_kind:     global_buffer
      - .offset:         96
        .size:           4
        .value_kind:     by_value
      - .offset:         100
        .size:           1
        .value_kind:     by_value
    .group_segment_fixed_size: 0
    .kernarg_segment_align: 8
    .kernarg_segment_size: 104
    .language:       OpenCL C
    .language_version:
      - 2
      - 0
    .max_flat_workgroup_size: 256
    .name:           _ZN9rocsparseL18bsrxmvn_3x3_kernelILj256ELj64EfllDF16_DF16_fEEvT3_20rocsparse_direction_NS_24const_host_device_scalarIT1_EES1_PKS1_PKT2_SA_S7_PKT4_PKT5_S5_PT6_21rocsparse_index_base_b
    .private_segment_fixed_size: 0
    .sgpr_count:     20
    .sgpr_spill_count: 0
    .symbol:         _ZN9rocsparseL18bsrxmvn_3x3_kernelILj256ELj64EfllDF16_DF16_fEEvT3_20rocsparse_direction_NS_24const_host_device_scalarIT1_EES1_PKS1_PKT2_SA_S7_PKT4_PKT5_S5_PT6_21rocsparse_index_base_b.kd
    .uniform_work_group_size: 1
    .uses_dynamic_stack: false
    .vgpr_count:     27
    .vgpr_spill_count: 0
    .wavefront_size: 32
    .workgroup_processor_mode: 1
  - .args:
      - .offset:         0
        .size:           4
        .value_kind:     by_value
      - .offset:         4
        .size:           4
        .value_kind:     by_value
      - .offset:         8
        .size:           8
        .value_kind:     by_value
      - .offset:         16
        .size:           4
        .value_kind:     by_value
      - .actual_access:  read_only
        .address_space:  global
        .offset:         24
        .size:           8
        .value_kind:     global_buffer
      - .actual_access:  read_only
        .address_space:  global
        .offset:         32
        .size:           8
        .value_kind:     global_buffer
      - .actual_access:  read_only
        .address_space:  global
        .offset:         40
        .size:           8
        .value_kind:     global_buffer
      - .actual_access:  read_only
        .address_space:  global
        .offset:         48
        .size:           8
        .value_kind:     global_buffer
      - .actual_access:  read_only
        .address_space:  global
        .offset:         56
        .size:           8
        .value_kind:     global_buffer
      - .actual_access:  read_only
        .address_space:  global
        .offset:         64
        .size:           8
        .value_kind:     global_buffer
      - .offset:         72
        .size:           8
        .value_kind:     by_value
      - .address_space:  global
        .offset:         80
        .size:           8
        .value_kind:     global_buffer
      - .offset:         88
        .size:           4
        .value_kind:     by_value
      - .offset:         92
        .size:           1
        .value_kind:     by_value
    .group_segment_fixed_size: 0
    .kernarg_segment_align: 8
    .kernarg_segment_size: 96
    .language:       OpenCL C
    .language_version:
      - 2
      - 0
    .max_flat_workgroup_size: 256
    .name:           _ZN9rocsparseL18bsrxmvn_3x3_kernelILj256ELj4Efii18rocsparse_bfloat16S1_fEEvT3_20rocsparse_direction_NS_24const_host_device_scalarIT1_EES2_PKS2_PKT2_SB_S8_PKT4_PKT5_S6_PT6_21rocsparse_index_base_b
    .private_segment_fixed_size: 0
    .sgpr_count:     20
    .sgpr_spill_count: 0
    .symbol:         _ZN9rocsparseL18bsrxmvn_3x3_kernelILj256ELj4Efii18rocsparse_bfloat16S1_fEEvT3_20rocsparse_direction_NS_24const_host_device_scalarIT1_EES2_PKS2_PKT2_SB_S8_PKT4_PKT5_S6_PT6_21rocsparse_index_base_b.kd
    .uniform_work_group_size: 1
    .uses_dynamic_stack: false
    .vgpr_count:     24
    .vgpr_spill_count: 0
    .wavefront_size: 32
    .workgroup_processor_mode: 1
  - .args:
      - .offset:         0
        .size:           4
        .value_kind:     by_value
      - .offset:         4
        .size:           4
        .value_kind:     by_value
      - .offset:         8
        .size:           8
        .value_kind:     by_value
      - .offset:         16
        .size:           4
        .value_kind:     by_value
      - .actual_access:  read_only
        .address_space:  global
        .offset:         24
        .size:           8
        .value_kind:     global_buffer
      - .actual_access:  read_only
        .address_space:  global
        .offset:         32
        .size:           8
        .value_kind:     global_buffer
      - .actual_access:  read_only
        .address_space:  global
        .offset:         40
        .size:           8
        .value_kind:     global_buffer
      - .actual_access:  read_only
        .address_space:  global
        .offset:         48
        .size:           8
        .value_kind:     global_buffer
      - .actual_access:  read_only
        .address_space:  global
        .offset:         56
        .size:           8
        .value_kind:     global_buffer
      - .actual_access:  read_only
        .address_space:  global
        .offset:         64
        .size:           8
        .value_kind:     global_buffer
      - .offset:         72
        .size:           8
        .value_kind:     by_value
      - .address_space:  global
        .offset:         80
        .size:           8
        .value_kind:     global_buffer
      - .offset:         88
        .size:           4
        .value_kind:     by_value
      - .offset:         92
        .size:           1
        .value_kind:     by_value
    .group_segment_fixed_size: 0
    .kernarg_segment_align: 8
    .kernarg_segment_size: 96
    .language:       OpenCL C
    .language_version:
      - 2
      - 0
    .max_flat_workgroup_size: 256
    .name:           _ZN9rocsparseL18bsrxmvn_3x3_kernelILj256ELj8Efii18rocsparse_bfloat16S1_fEEvT3_20rocsparse_direction_NS_24const_host_device_scalarIT1_EES2_PKS2_PKT2_SB_S8_PKT4_PKT5_S6_PT6_21rocsparse_index_base_b
    .private_segment_fixed_size: 0
    .sgpr_count:     20
    .sgpr_spill_count: 0
    .symbol:         _ZN9rocsparseL18bsrxmvn_3x3_kernelILj256ELj8Efii18rocsparse_bfloat16S1_fEEvT3_20rocsparse_direction_NS_24const_host_device_scalarIT1_EES2_PKS2_PKT2_SB_S8_PKT4_PKT5_S6_PT6_21rocsparse_index_base_b.kd
    .uniform_work_group_size: 1
    .uses_dynamic_stack: false
    .vgpr_count:     24
    .vgpr_spill_count: 0
    .wavefront_size: 32
    .workgroup_processor_mode: 1
  - .args:
      - .offset:         0
        .size:           4
        .value_kind:     by_value
      - .offset:         4
        .size:           4
        .value_kind:     by_value
      - .offset:         8
        .size:           8
        .value_kind:     by_value
      - .offset:         16
        .size:           4
        .value_kind:     by_value
      - .actual_access:  read_only
        .address_space:  global
        .offset:         24
        .size:           8
        .value_kind:     global_buffer
      - .actual_access:  read_only
        .address_space:  global
        .offset:         32
        .size:           8
        .value_kind:     global_buffer
      - .actual_access:  read_only
        .address_space:  global
        .offset:         40
        .size:           8
        .value_kind:     global_buffer
      - .actual_access:  read_only
        .address_space:  global
        .offset:         48
        .size:           8
        .value_kind:     global_buffer
      - .actual_access:  read_only
        .address_space:  global
        .offset:         56
        .size:           8
        .value_kind:     global_buffer
      - .actual_access:  read_only
        .address_space:  global
        .offset:         64
        .size:           8
        .value_kind:     global_buffer
      - .offset:         72
        .size:           8
        .value_kind:     by_value
      - .address_space:  global
        .offset:         80
        .size:           8
        .value_kind:     global_buffer
      - .offset:         88
        .size:           4
        .value_kind:     by_value
      - .offset:         92
        .size:           1
        .value_kind:     by_value
    .group_segment_fixed_size: 0
    .kernarg_segment_align: 8
    .kernarg_segment_size: 96
    .language:       OpenCL C
    .language_version:
      - 2
      - 0
    .max_flat_workgroup_size: 256
    .name:           _ZN9rocsparseL18bsrxmvn_3x3_kernelILj256ELj16Efii18rocsparse_bfloat16S1_fEEvT3_20rocsparse_direction_NS_24const_host_device_scalarIT1_EES2_PKS2_PKT2_SB_S8_PKT4_PKT5_S6_PT6_21rocsparse_index_base_b
    .private_segment_fixed_size: 0
    .sgpr_count:     20
    .sgpr_spill_count: 0
    .symbol:         _ZN9rocsparseL18bsrxmvn_3x3_kernelILj256ELj16Efii18rocsparse_bfloat16S1_fEEvT3_20rocsparse_direction_NS_24const_host_device_scalarIT1_EES2_PKS2_PKT2_SB_S8_PKT4_PKT5_S6_PT6_21rocsparse_index_base_b.kd
    .uniform_work_group_size: 1
    .uses_dynamic_stack: false
    .vgpr_count:     24
    .vgpr_spill_count: 0
    .wavefront_size: 32
    .workgroup_processor_mode: 1
  - .args:
      - .offset:         0
        .size:           4
        .value_kind:     by_value
      - .offset:         4
        .size:           4
        .value_kind:     by_value
      - .offset:         8
        .size:           8
        .value_kind:     by_value
      - .offset:         16
        .size:           4
        .value_kind:     by_value
      - .actual_access:  read_only
        .address_space:  global
        .offset:         24
        .size:           8
        .value_kind:     global_buffer
      - .actual_access:  read_only
        .address_space:  global
        .offset:         32
        .size:           8
        .value_kind:     global_buffer
      - .actual_access:  read_only
        .address_space:  global
        .offset:         40
        .size:           8
        .value_kind:     global_buffer
      - .actual_access:  read_only
        .address_space:  global
        .offset:         48
        .size:           8
        .value_kind:     global_buffer
      - .actual_access:  read_only
        .address_space:  global
        .offset:         56
        .size:           8
        .value_kind:     global_buffer
      - .actual_access:  read_only
        .address_space:  global
        .offset:         64
        .size:           8
        .value_kind:     global_buffer
      - .offset:         72
        .size:           8
        .value_kind:     by_value
      - .address_space:  global
        .offset:         80
        .size:           8
        .value_kind:     global_buffer
      - .offset:         88
        .size:           4
        .value_kind:     by_value
      - .offset:         92
        .size:           1
        .value_kind:     by_value
    .group_segment_fixed_size: 0
    .kernarg_segment_align: 8
    .kernarg_segment_size: 96
    .language:       OpenCL C
    .language_version:
      - 2
      - 0
    .max_flat_workgroup_size: 256
    .name:           _ZN9rocsparseL18bsrxmvn_3x3_kernelILj256ELj32Efii18rocsparse_bfloat16S1_fEEvT3_20rocsparse_direction_NS_24const_host_device_scalarIT1_EES2_PKS2_PKT2_SB_S8_PKT4_PKT5_S6_PT6_21rocsparse_index_base_b
    .private_segment_fixed_size: 0
    .sgpr_count:     20
    .sgpr_spill_count: 0
    .symbol:         _ZN9rocsparseL18bsrxmvn_3x3_kernelILj256ELj32Efii18rocsparse_bfloat16S1_fEEvT3_20rocsparse_direction_NS_24const_host_device_scalarIT1_EES2_PKS2_PKT2_SB_S8_PKT4_PKT5_S6_PT6_21rocsparse_index_base_b.kd
    .uniform_work_group_size: 1
    .uses_dynamic_stack: false
    .vgpr_count:     24
    .vgpr_spill_count: 0
    .wavefront_size: 32
    .workgroup_processor_mode: 1
  - .args:
      - .offset:         0
        .size:           4
        .value_kind:     by_value
      - .offset:         4
        .size:           4
        .value_kind:     by_value
      - .offset:         8
        .size:           8
        .value_kind:     by_value
      - .offset:         16
        .size:           4
        .value_kind:     by_value
      - .actual_access:  read_only
        .address_space:  global
        .offset:         24
        .size:           8
        .value_kind:     global_buffer
      - .actual_access:  read_only
        .address_space:  global
        .offset:         32
        .size:           8
        .value_kind:     global_buffer
      - .actual_access:  read_only
        .address_space:  global
        .offset:         40
        .size:           8
        .value_kind:     global_buffer
      - .actual_access:  read_only
        .address_space:  global
        .offset:         48
        .size:           8
        .value_kind:     global_buffer
      - .actual_access:  read_only
        .address_space:  global
        .offset:         56
        .size:           8
        .value_kind:     global_buffer
      - .actual_access:  read_only
        .address_space:  global
        .offset:         64
        .size:           8
        .value_kind:     global_buffer
      - .offset:         72
        .size:           8
        .value_kind:     by_value
      - .address_space:  global
        .offset:         80
        .size:           8
        .value_kind:     global_buffer
      - .offset:         88
        .size:           4
        .value_kind:     by_value
      - .offset:         92
        .size:           1
        .value_kind:     by_value
    .group_segment_fixed_size: 0
    .kernarg_segment_align: 8
    .kernarg_segment_size: 96
    .language:       OpenCL C
    .language_version:
      - 2
      - 0
    .max_flat_workgroup_size: 256
    .name:           _ZN9rocsparseL18bsrxmvn_3x3_kernelILj256ELj64Efii18rocsparse_bfloat16S1_fEEvT3_20rocsparse_direction_NS_24const_host_device_scalarIT1_EES2_PKS2_PKT2_SB_S8_PKT4_PKT5_S6_PT6_21rocsparse_index_base_b
    .private_segment_fixed_size: 0
    .sgpr_count:     20
    .sgpr_spill_count: 0
    .symbol:         _ZN9rocsparseL18bsrxmvn_3x3_kernelILj256ELj64Efii18rocsparse_bfloat16S1_fEEvT3_20rocsparse_direction_NS_24const_host_device_scalarIT1_EES2_PKS2_PKT2_SB_S8_PKT4_PKT5_S6_PT6_21rocsparse_index_base_b.kd
    .uniform_work_group_size: 1
    .uses_dynamic_stack: false
    .vgpr_count:     24
    .vgpr_spill_count: 0
    .wavefront_size: 32
    .workgroup_processor_mode: 1
  - .args:
      - .offset:         0
        .size:           4
        .value_kind:     by_value
      - .offset:         4
        .size:           4
        .value_kind:     by_value
      - .offset:         8
        .size:           8
        .value_kind:     by_value
      - .offset:         16
        .size:           4
        .value_kind:     by_value
      - .actual_access:  read_only
        .address_space:  global
        .offset:         24
        .size:           8
        .value_kind:     global_buffer
      - .actual_access:  read_only
        .address_space:  global
        .offset:         32
        .size:           8
        .value_kind:     global_buffer
      - .actual_access:  read_only
        .address_space:  global
        .offset:         40
        .size:           8
        .value_kind:     global_buffer
      - .actual_access:  read_only
        .address_space:  global
        .offset:         48
        .size:           8
        .value_kind:     global_buffer
      - .actual_access:  read_only
        .address_space:  global
        .offset:         56
        .size:           8
        .value_kind:     global_buffer
      - .actual_access:  read_only
        .address_space:  global
        .offset:         64
        .size:           8
        .value_kind:     global_buffer
      - .offset:         72
        .size:           8
        .value_kind:     by_value
      - .address_space:  global
        .offset:         80
        .size:           8
        .value_kind:     global_buffer
      - .offset:         88
        .size:           4
        .value_kind:     by_value
      - .offset:         92
        .size:           1
        .value_kind:     by_value
    .group_segment_fixed_size: 0
    .kernarg_segment_align: 8
    .kernarg_segment_size: 96
    .language:       OpenCL C
    .language_version:
      - 2
      - 0
    .max_flat_workgroup_size: 256
    .name:           _ZN9rocsparseL18bsrxmvn_3x3_kernelILj256ELj4Efli18rocsparse_bfloat16S1_fEEvT3_20rocsparse_direction_NS_24const_host_device_scalarIT1_EES2_PKS2_PKT2_SB_S8_PKT4_PKT5_S6_PT6_21rocsparse_index_base_b
    .private_segment_fixed_size: 0
    .sgpr_count:     20
    .sgpr_spill_count: 0
    .symbol:         _ZN9rocsparseL18bsrxmvn_3x3_kernelILj256ELj4Efli18rocsparse_bfloat16S1_fEEvT3_20rocsparse_direction_NS_24const_host_device_scalarIT1_EES2_PKS2_PKT2_SB_S8_PKT4_PKT5_S6_PT6_21rocsparse_index_base_b.kd
    .uniform_work_group_size: 1
    .uses_dynamic_stack: false
    .vgpr_count:     29
    .vgpr_spill_count: 0
    .wavefront_size: 32
    .workgroup_processor_mode: 1
  - .args:
      - .offset:         0
        .size:           4
        .value_kind:     by_value
      - .offset:         4
        .size:           4
        .value_kind:     by_value
      - .offset:         8
        .size:           8
        .value_kind:     by_value
      - .offset:         16
        .size:           4
        .value_kind:     by_value
      - .actual_access:  read_only
        .address_space:  global
        .offset:         24
        .size:           8
        .value_kind:     global_buffer
      - .actual_access:  read_only
        .address_space:  global
        .offset:         32
        .size:           8
        .value_kind:     global_buffer
      - .actual_access:  read_only
        .address_space:  global
        .offset:         40
        .size:           8
        .value_kind:     global_buffer
      - .actual_access:  read_only
        .address_space:  global
        .offset:         48
        .size:           8
        .value_kind:     global_buffer
      - .actual_access:  read_only
        .address_space:  global
        .offset:         56
        .size:           8
        .value_kind:     global_buffer
      - .actual_access:  read_only
        .address_space:  global
        .offset:         64
        .size:           8
        .value_kind:     global_buffer
      - .offset:         72
        .size:           8
        .value_kind:     by_value
      - .address_space:  global
        .offset:         80
        .size:           8
        .value_kind:     global_buffer
      - .offset:         88
        .size:           4
        .value_kind:     by_value
      - .offset:         92
        .size:           1
        .value_kind:     by_value
    .group_segment_fixed_size: 0
    .kernarg_segment_align: 8
    .kernarg_segment_size: 96
    .language:       OpenCL C
    .language_version:
      - 2
      - 0
    .max_flat_workgroup_size: 256
    .name:           _ZN9rocsparseL18bsrxmvn_3x3_kernelILj256ELj8Efli18rocsparse_bfloat16S1_fEEvT3_20rocsparse_direction_NS_24const_host_device_scalarIT1_EES2_PKS2_PKT2_SB_S8_PKT4_PKT5_S6_PT6_21rocsparse_index_base_b
    .private_segment_fixed_size: 0
    .sgpr_count:     20
    .sgpr_spill_count: 0
    .symbol:         _ZN9rocsparseL18bsrxmvn_3x3_kernelILj256ELj8Efli18rocsparse_bfloat16S1_fEEvT3_20rocsparse_direction_NS_24const_host_device_scalarIT1_EES2_PKS2_PKT2_SB_S8_PKT4_PKT5_S6_PT6_21rocsparse_index_base_b.kd
    .uniform_work_group_size: 1
    .uses_dynamic_stack: false
    .vgpr_count:     29
    .vgpr_spill_count: 0
    .wavefront_size: 32
    .workgroup_processor_mode: 1
  - .args:
      - .offset:         0
        .size:           4
        .value_kind:     by_value
      - .offset:         4
        .size:           4
        .value_kind:     by_value
      - .offset:         8
        .size:           8
        .value_kind:     by_value
      - .offset:         16
        .size:           4
        .value_kind:     by_value
      - .actual_access:  read_only
        .address_space:  global
        .offset:         24
        .size:           8
        .value_kind:     global_buffer
      - .actual_access:  read_only
        .address_space:  global
        .offset:         32
        .size:           8
        .value_kind:     global_buffer
      - .actual_access:  read_only
        .address_space:  global
        .offset:         40
        .size:           8
        .value_kind:     global_buffer
      - .actual_access:  read_only
        .address_space:  global
        .offset:         48
        .size:           8
        .value_kind:     global_buffer
      - .actual_access:  read_only
        .address_space:  global
        .offset:         56
        .size:           8
        .value_kind:     global_buffer
      - .actual_access:  read_only
        .address_space:  global
        .offset:         64
        .size:           8
        .value_kind:     global_buffer
      - .offset:         72
        .size:           8
        .value_kind:     by_value
      - .address_space:  global
        .offset:         80
        .size:           8
        .value_kind:     global_buffer
      - .offset:         88
        .size:           4
        .value_kind:     by_value
      - .offset:         92
        .size:           1
        .value_kind:     by_value
    .group_segment_fixed_size: 0
    .kernarg_segment_align: 8
    .kernarg_segment_size: 96
    .language:       OpenCL C
    .language_version:
      - 2
      - 0
    .max_flat_workgroup_size: 256
    .name:           _ZN9rocsparseL18bsrxmvn_3x3_kernelILj256ELj16Efli18rocsparse_bfloat16S1_fEEvT3_20rocsparse_direction_NS_24const_host_device_scalarIT1_EES2_PKS2_PKT2_SB_S8_PKT4_PKT5_S6_PT6_21rocsparse_index_base_b
    .private_segment_fixed_size: 0
    .sgpr_count:     20
    .sgpr_spill_count: 0
    .symbol:         _ZN9rocsparseL18bsrxmvn_3x3_kernelILj256ELj16Efli18rocsparse_bfloat16S1_fEEvT3_20rocsparse_direction_NS_24const_host_device_scalarIT1_EES2_PKS2_PKT2_SB_S8_PKT4_PKT5_S6_PT6_21rocsparse_index_base_b.kd
    .uniform_work_group_size: 1
    .uses_dynamic_stack: false
    .vgpr_count:     29
    .vgpr_spill_count: 0
    .wavefront_size: 32
    .workgroup_processor_mode: 1
  - .args:
      - .offset:         0
        .size:           4
        .value_kind:     by_value
      - .offset:         4
        .size:           4
        .value_kind:     by_value
      - .offset:         8
        .size:           8
        .value_kind:     by_value
      - .offset:         16
        .size:           4
        .value_kind:     by_value
      - .actual_access:  read_only
        .address_space:  global
        .offset:         24
        .size:           8
        .value_kind:     global_buffer
      - .actual_access:  read_only
        .address_space:  global
        .offset:         32
        .size:           8
        .value_kind:     global_buffer
      - .actual_access:  read_only
        .address_space:  global
        .offset:         40
        .size:           8
        .value_kind:     global_buffer
      - .actual_access:  read_only
        .address_space:  global
        .offset:         48
        .size:           8
        .value_kind:     global_buffer
      - .actual_access:  read_only
        .address_space:  global
        .offset:         56
        .size:           8
        .value_kind:     global_buffer
      - .actual_access:  read_only
        .address_space:  global
        .offset:         64
        .size:           8
        .value_kind:     global_buffer
      - .offset:         72
        .size:           8
        .value_kind:     by_value
      - .address_space:  global
        .offset:         80
        .size:           8
        .value_kind:     global_buffer
      - .offset:         88
        .size:           4
        .value_kind:     by_value
      - .offset:         92
        .size:           1
        .value_kind:     by_value
    .group_segment_fixed_size: 0
    .kernarg_segment_align: 8
    .kernarg_segment_size: 96
    .language:       OpenCL C
    .language_version:
      - 2
      - 0
    .max_flat_workgroup_size: 256
    .name:           _ZN9rocsparseL18bsrxmvn_3x3_kernelILj256ELj32Efli18rocsparse_bfloat16S1_fEEvT3_20rocsparse_direction_NS_24const_host_device_scalarIT1_EES2_PKS2_PKT2_SB_S8_PKT4_PKT5_S6_PT6_21rocsparse_index_base_b
    .private_segment_fixed_size: 0
    .sgpr_count:     20
    .sgpr_spill_count: 0
    .symbol:         _ZN9rocsparseL18bsrxmvn_3x3_kernelILj256ELj32Efli18rocsparse_bfloat16S1_fEEvT3_20rocsparse_direction_NS_24const_host_device_scalarIT1_EES2_PKS2_PKT2_SB_S8_PKT4_PKT5_S6_PT6_21rocsparse_index_base_b.kd
    .uniform_work_group_size: 1
    .uses_dynamic_stack: false
    .vgpr_count:     29
    .vgpr_spill_count: 0
    .wavefront_size: 32
    .workgroup_processor_mode: 1
  - .args:
      - .offset:         0
        .size:           4
        .value_kind:     by_value
      - .offset:         4
        .size:           4
        .value_kind:     by_value
      - .offset:         8
        .size:           8
        .value_kind:     by_value
      - .offset:         16
        .size:           4
        .value_kind:     by_value
      - .actual_access:  read_only
        .address_space:  global
        .offset:         24
        .size:           8
        .value_kind:     global_buffer
      - .actual_access:  read_only
        .address_space:  global
        .offset:         32
        .size:           8
        .value_kind:     global_buffer
      - .actual_access:  read_only
        .address_space:  global
        .offset:         40
        .size:           8
        .value_kind:     global_buffer
      - .actual_access:  read_only
        .address_space:  global
        .offset:         48
        .size:           8
        .value_kind:     global_buffer
      - .actual_access:  read_only
        .address_space:  global
        .offset:         56
        .size:           8
        .value_kind:     global_buffer
      - .actual_access:  read_only
        .address_space:  global
        .offset:         64
        .size:           8
        .value_kind:     global_buffer
      - .offset:         72
        .size:           8
        .value_kind:     by_value
      - .address_space:  global
        .offset:         80
        .size:           8
        .value_kind:     global_buffer
      - .offset:         88
        .size:           4
        .value_kind:     by_value
      - .offset:         92
        .size:           1
        .value_kind:     by_value
    .group_segment_fixed_size: 0
    .kernarg_segment_align: 8
    .kernarg_segment_size: 96
    .language:       OpenCL C
    .language_version:
      - 2
      - 0
    .max_flat_workgroup_size: 256
    .name:           _ZN9rocsparseL18bsrxmvn_3x3_kernelILj256ELj64Efli18rocsparse_bfloat16S1_fEEvT3_20rocsparse_direction_NS_24const_host_device_scalarIT1_EES2_PKS2_PKT2_SB_S8_PKT4_PKT5_S6_PT6_21rocsparse_index_base_b
    .private_segment_fixed_size: 0
    .sgpr_count:     20
    .sgpr_spill_count: 0
    .symbol:         _ZN9rocsparseL18bsrxmvn_3x3_kernelILj256ELj64Efli18rocsparse_bfloat16S1_fEEvT3_20rocsparse_direction_NS_24const_host_device_scalarIT1_EES2_PKS2_PKT2_SB_S8_PKT4_PKT5_S6_PT6_21rocsparse_index_base_b.kd
    .uniform_work_group_size: 1
    .uses_dynamic_stack: false
    .vgpr_count:     29
    .vgpr_spill_count: 0
    .wavefront_size: 32
    .workgroup_processor_mode: 1
  - .args:
      - .offset:         0
        .size:           8
        .value_kind:     by_value
      - .offset:         8
        .size:           4
        .value_kind:     by_value
      - .offset:         16
        .size:           8
        .value_kind:     by_value
      - .offset:         24
        .size:           8
        .value_kind:     by_value
      - .actual_access:  read_only
        .address_space:  global
        .offset:         32
        .size:           8
        .value_kind:     global_buffer
      - .actual_access:  read_only
        .address_space:  global
        .offset:         40
        .size:           8
        .value_kind:     global_buffer
      - .actual_access:  read_only
        .address_space:  global
        .offset:         48
        .size:           8
        .value_kind:     global_buffer
      - .actual_access:  read_only
        .address_space:  global
        .offset:         56
        .size:           8
        .value_kind:     global_buffer
      - .actual_access:  read_only
        .address_space:  global
        .offset:         64
        .size:           8
        .value_kind:     global_buffer
      - .actual_access:  read_only
        .address_space:  global
        .offset:         72
        .size:           8
        .value_kind:     global_buffer
      - .offset:         80
        .size:           8
        .value_kind:     by_value
      - .address_space:  global
        .offset:         88
        .size:           8
        .value_kind:     global_buffer
      - .offset:         96
        .size:           4
        .value_kind:     by_value
      - .offset:         100
        .size:           1
        .value_kind:     by_value
    .group_segment_fixed_size: 0
    .kernarg_segment_align: 8
    .kernarg_segment_size: 104
    .language:       OpenCL C
    .language_version:
      - 2
      - 0
    .max_flat_workgroup_size: 256
    .name:           _ZN9rocsparseL18bsrxmvn_3x3_kernelILj256ELj4Efll18rocsparse_bfloat16S1_fEEvT3_20rocsparse_direction_NS_24const_host_device_scalarIT1_EES2_PKS2_PKT2_SB_S8_PKT4_PKT5_S6_PT6_21rocsparse_index_base_b
    .private_segment_fixed_size: 0
    .sgpr_count:     20
    .sgpr_spill_count: 0
    .symbol:         _ZN9rocsparseL18bsrxmvn_3x3_kernelILj256ELj4Efll18rocsparse_bfloat16S1_fEEvT3_20rocsparse_direction_NS_24const_host_device_scalarIT1_EES2_PKS2_PKT2_SB_S8_PKT4_PKT5_S6_PT6_21rocsparse_index_base_b.kd
    .uniform_work_group_size: 1
    .uses_dynamic_stack: false
    .vgpr_count:     32
    .vgpr_spill_count: 0
    .wavefront_size: 32
    .workgroup_processor_mode: 1
  - .args:
      - .offset:         0
        .size:           8
        .value_kind:     by_value
      - .offset:         8
        .size:           4
        .value_kind:     by_value
      - .offset:         16
        .size:           8
        .value_kind:     by_value
      - .offset:         24
        .size:           8
        .value_kind:     by_value
      - .actual_access:  read_only
        .address_space:  global
        .offset:         32
        .size:           8
        .value_kind:     global_buffer
      - .actual_access:  read_only
        .address_space:  global
        .offset:         40
        .size:           8
        .value_kind:     global_buffer
      - .actual_access:  read_only
        .address_space:  global
        .offset:         48
        .size:           8
        .value_kind:     global_buffer
      - .actual_access:  read_only
        .address_space:  global
        .offset:         56
        .size:           8
        .value_kind:     global_buffer
      - .actual_access:  read_only
        .address_space:  global
        .offset:         64
        .size:           8
        .value_kind:     global_buffer
      - .actual_access:  read_only
        .address_space:  global
        .offset:         72
        .size:           8
        .value_kind:     global_buffer
      - .offset:         80
        .size:           8
        .value_kind:     by_value
      - .address_space:  global
        .offset:         88
        .size:           8
        .value_kind:     global_buffer
      - .offset:         96
        .size:           4
        .value_kind:     by_value
      - .offset:         100
        .size:           1
        .value_kind:     by_value
    .group_segment_fixed_size: 0
    .kernarg_segment_align: 8
    .kernarg_segment_size: 104
    .language:       OpenCL C
    .language_version:
      - 2
      - 0
    .max_flat_workgroup_size: 256
    .name:           _ZN9rocsparseL18bsrxmvn_3x3_kernelILj256ELj8Efll18rocsparse_bfloat16S1_fEEvT3_20rocsparse_direction_NS_24const_host_device_scalarIT1_EES2_PKS2_PKT2_SB_S8_PKT4_PKT5_S6_PT6_21rocsparse_index_base_b
    .private_segment_fixed_size: 0
    .sgpr_count:     20
    .sgpr_spill_count: 0
    .symbol:         _ZN9rocsparseL18bsrxmvn_3x3_kernelILj256ELj8Efll18rocsparse_bfloat16S1_fEEvT3_20rocsparse_direction_NS_24const_host_device_scalarIT1_EES2_PKS2_PKT2_SB_S8_PKT4_PKT5_S6_PT6_21rocsparse_index_base_b.kd
    .uniform_work_group_size: 1
    .uses_dynamic_stack: false
    .vgpr_count:     32
    .vgpr_spill_count: 0
    .wavefront_size: 32
    .workgroup_processor_mode: 1
  - .args:
      - .offset:         0
        .size:           8
        .value_kind:     by_value
      - .offset:         8
        .size:           4
        .value_kind:     by_value
      - .offset:         16
        .size:           8
        .value_kind:     by_value
      - .offset:         24
        .size:           8
        .value_kind:     by_value
      - .actual_access:  read_only
        .address_space:  global
        .offset:         32
        .size:           8
        .value_kind:     global_buffer
      - .actual_access:  read_only
        .address_space:  global
        .offset:         40
        .size:           8
        .value_kind:     global_buffer
      - .actual_access:  read_only
        .address_space:  global
        .offset:         48
        .size:           8
        .value_kind:     global_buffer
      - .actual_access:  read_only
        .address_space:  global
        .offset:         56
        .size:           8
        .value_kind:     global_buffer
      - .actual_access:  read_only
        .address_space:  global
        .offset:         64
        .size:           8
        .value_kind:     global_buffer
      - .actual_access:  read_only
        .address_space:  global
        .offset:         72
        .size:           8
        .value_kind:     global_buffer
      - .offset:         80
        .size:           8
        .value_kind:     by_value
      - .address_space:  global
        .offset:         88
        .size:           8
        .value_kind:     global_buffer
      - .offset:         96
        .size:           4
        .value_kind:     by_value
      - .offset:         100
        .size:           1
        .value_kind:     by_value
    .group_segment_fixed_size: 0
    .kernarg_segment_align: 8
    .kernarg_segment_size: 104
    .language:       OpenCL C
    .language_version:
      - 2
      - 0
    .max_flat_workgroup_size: 256
    .name:           _ZN9rocsparseL18bsrxmvn_3x3_kernelILj256ELj16Efll18rocsparse_bfloat16S1_fEEvT3_20rocsparse_direction_NS_24const_host_device_scalarIT1_EES2_PKS2_PKT2_SB_S8_PKT4_PKT5_S6_PT6_21rocsparse_index_base_b
    .private_segment_fixed_size: 0
    .sgpr_count:     20
    .sgpr_spill_count: 0
    .symbol:         _ZN9rocsparseL18bsrxmvn_3x3_kernelILj256ELj16Efll18rocsparse_bfloat16S1_fEEvT3_20rocsparse_direction_NS_24const_host_device_scalarIT1_EES2_PKS2_PKT2_SB_S8_PKT4_PKT5_S6_PT6_21rocsparse_index_base_b.kd
    .uniform_work_group_size: 1
    .uses_dynamic_stack: false
    .vgpr_count:     32
    .vgpr_spill_count: 0
    .wavefront_size: 32
    .workgroup_processor_mode: 1
  - .args:
      - .offset:         0
        .size:           8
        .value_kind:     by_value
      - .offset:         8
        .size:           4
        .value_kind:     by_value
      - .offset:         16
        .size:           8
        .value_kind:     by_value
      - .offset:         24
        .size:           8
        .value_kind:     by_value
      - .actual_access:  read_only
        .address_space:  global
        .offset:         32
        .size:           8
        .value_kind:     global_buffer
      - .actual_access:  read_only
        .address_space:  global
        .offset:         40
        .size:           8
        .value_kind:     global_buffer
      - .actual_access:  read_only
        .address_space:  global
        .offset:         48
        .size:           8
        .value_kind:     global_buffer
      - .actual_access:  read_only
        .address_space:  global
        .offset:         56
        .size:           8
        .value_kind:     global_buffer
      - .actual_access:  read_only
        .address_space:  global
        .offset:         64
        .size:           8
        .value_kind:     global_buffer
      - .actual_access:  read_only
        .address_space:  global
        .offset:         72
        .size:           8
        .value_kind:     global_buffer
      - .offset:         80
        .size:           8
        .value_kind:     by_value
      - .address_space:  global
        .offset:         88
        .size:           8
        .value_kind:     global_buffer
      - .offset:         96
        .size:           4
        .value_kind:     by_value
      - .offset:         100
        .size:           1
        .value_kind:     by_value
    .group_segment_fixed_size: 0
    .kernarg_segment_align: 8
    .kernarg_segment_size: 104
    .language:       OpenCL C
    .language_version:
      - 2
      - 0
    .max_flat_workgroup_size: 256
    .name:           _ZN9rocsparseL18bsrxmvn_3x3_kernelILj256ELj32Efll18rocsparse_bfloat16S1_fEEvT3_20rocsparse_direction_NS_24const_host_device_scalarIT1_EES2_PKS2_PKT2_SB_S8_PKT4_PKT5_S6_PT6_21rocsparse_index_base_b
    .private_segment_fixed_size: 0
    .sgpr_count:     20
    .sgpr_spill_count: 0
    .symbol:         _ZN9rocsparseL18bsrxmvn_3x3_kernelILj256ELj32Efll18rocsparse_bfloat16S1_fEEvT3_20rocsparse_direction_NS_24const_host_device_scalarIT1_EES2_PKS2_PKT2_SB_S8_PKT4_PKT5_S6_PT6_21rocsparse_index_base_b.kd
    .uniform_work_group_size: 1
    .uses_dynamic_stack: false
    .vgpr_count:     32
    .vgpr_spill_count: 0
    .wavefront_size: 32
    .workgroup_processor_mode: 1
  - .args:
      - .offset:         0
        .size:           8
        .value_kind:     by_value
      - .offset:         8
        .size:           4
        .value_kind:     by_value
      - .offset:         16
        .size:           8
        .value_kind:     by_value
      - .offset:         24
        .size:           8
        .value_kind:     by_value
      - .actual_access:  read_only
        .address_space:  global
        .offset:         32
        .size:           8
        .value_kind:     global_buffer
      - .actual_access:  read_only
        .address_space:  global
        .offset:         40
        .size:           8
        .value_kind:     global_buffer
      - .actual_access:  read_only
        .address_space:  global
        .offset:         48
        .size:           8
        .value_kind:     global_buffer
      - .actual_access:  read_only
        .address_space:  global
        .offset:         56
        .size:           8
        .value_kind:     global_buffer
      - .actual_access:  read_only
        .address_space:  global
        .offset:         64
        .size:           8
        .value_kind:     global_buffer
      - .actual_access:  read_only
        .address_space:  global
        .offset:         72
        .size:           8
        .value_kind:     global_buffer
      - .offset:         80
        .size:           8
        .value_kind:     by_value
      - .address_space:  global
        .offset:         88
        .size:           8
        .value_kind:     global_buffer
      - .offset:         96
        .size:           4
        .value_kind:     by_value
      - .offset:         100
        .size:           1
        .value_kind:     by_value
    .group_segment_fixed_size: 0
    .kernarg_segment_align: 8
    .kernarg_segment_size: 104
    .language:       OpenCL C
    .language_version:
      - 2
      - 0
    .max_flat_workgroup_size: 256
    .name:           _ZN9rocsparseL18bsrxmvn_3x3_kernelILj256ELj64Efll18rocsparse_bfloat16S1_fEEvT3_20rocsparse_direction_NS_24const_host_device_scalarIT1_EES2_PKS2_PKT2_SB_S8_PKT4_PKT5_S6_PT6_21rocsparse_index_base_b
    .private_segment_fixed_size: 0
    .sgpr_count:     20
    .sgpr_spill_count: 0
    .symbol:         _ZN9rocsparseL18bsrxmvn_3x3_kernelILj256ELj64Efll18rocsparse_bfloat16S1_fEEvT3_20rocsparse_direction_NS_24const_host_device_scalarIT1_EES2_PKS2_PKT2_SB_S8_PKT4_PKT5_S6_PT6_21rocsparse_index_base_b.kd
    .uniform_work_group_size: 1
    .uses_dynamic_stack: false
    .vgpr_count:     32
    .vgpr_spill_count: 0
    .wavefront_size: 32
    .workgroup_processor_mode: 1
  - .args:
      - .offset:         0
        .size:           4
        .value_kind:     by_value
      - .offset:         4
        .size:           4
        .value_kind:     by_value
      - .offset:         8
        .size:           8
        .value_kind:     by_value
      - .offset:         16
        .size:           4
        .value_kind:     by_value
      - .actual_access:  read_only
        .address_space:  global
        .offset:         24
        .size:           8
        .value_kind:     global_buffer
      - .actual_access:  read_only
        .address_space:  global
        .offset:         32
        .size:           8
        .value_kind:     global_buffer
      - .actual_access:  read_only
        .address_space:  global
        .offset:         40
        .size:           8
        .value_kind:     global_buffer
      - .actual_access:  read_only
        .address_space:  global
        .offset:         48
        .size:           8
        .value_kind:     global_buffer
      - .actual_access:  read_only
        .address_space:  global
        .offset:         56
        .size:           8
        .value_kind:     global_buffer
      - .actual_access:  read_only
        .address_space:  global
        .offset:         64
        .size:           8
        .value_kind:     global_buffer
      - .offset:         72
        .size:           8
        .value_kind:     by_value
      - .address_space:  global
        .offset:         80
        .size:           8
        .value_kind:     global_buffer
      - .offset:         88
        .size:           4
        .value_kind:     by_value
      - .offset:         92
        .size:           1
        .value_kind:     by_value
    .group_segment_fixed_size: 0
    .kernarg_segment_align: 8
    .kernarg_segment_size: 96
    .language:       OpenCL C
    .language_version:
      - 2
      - 0
    .max_flat_workgroup_size: 256
    .name:           _ZN9rocsparseL18bsrxmvn_3x3_kernelILj256ELj4E21rocsparse_complex_numIfEiifS2_S2_EEvT3_20rocsparse_direction_NS_24const_host_device_scalarIT1_EES3_PKS3_PKT2_SC_S9_PKT4_PKT5_S7_PT6_21rocsparse_index_base_b
    .private_segment_fixed_size: 0
    .sgpr_count:     16
    .sgpr_spill_count: 0
    .symbol:         _ZN9rocsparseL18bsrxmvn_3x3_kernelILj256ELj4E21rocsparse_complex_numIfEiifS2_S2_EEvT3_20rocsparse_direction_NS_24const_host_device_scalarIT1_EES3_PKS3_PKT2_SC_S9_PKT4_PKT5_S7_PT6_21rocsparse_index_base_b.kd
    .uniform_work_group_size: 1
    .uses_dynamic_stack: false
    .vgpr_count:     35
    .vgpr_spill_count: 0
    .wavefront_size: 32
    .workgroup_processor_mode: 1
  - .args:
      - .offset:         0
        .size:           4
        .value_kind:     by_value
      - .offset:         4
        .size:           4
        .value_kind:     by_value
      - .offset:         8
        .size:           8
        .value_kind:     by_value
      - .offset:         16
        .size:           4
        .value_kind:     by_value
      - .actual_access:  read_only
        .address_space:  global
        .offset:         24
        .size:           8
        .value_kind:     global_buffer
      - .actual_access:  read_only
        .address_space:  global
        .offset:         32
        .size:           8
        .value_kind:     global_buffer
      - .actual_access:  read_only
        .address_space:  global
        .offset:         40
        .size:           8
        .value_kind:     global_buffer
      - .actual_access:  read_only
        .address_space:  global
        .offset:         48
        .size:           8
        .value_kind:     global_buffer
      - .actual_access:  read_only
        .address_space:  global
        .offset:         56
        .size:           8
        .value_kind:     global_buffer
      - .actual_access:  read_only
        .address_space:  global
        .offset:         64
        .size:           8
        .value_kind:     global_buffer
      - .offset:         72
        .size:           8
        .value_kind:     by_value
      - .address_space:  global
        .offset:         80
        .size:           8
        .value_kind:     global_buffer
      - .offset:         88
        .size:           4
        .value_kind:     by_value
      - .offset:         92
        .size:           1
        .value_kind:     by_value
    .group_segment_fixed_size: 0
    .kernarg_segment_align: 8
    .kernarg_segment_size: 96
    .language:       OpenCL C
    .language_version:
      - 2
      - 0
    .max_flat_workgroup_size: 256
    .name:           _ZN9rocsparseL18bsrxmvn_3x3_kernelILj256ELj8E21rocsparse_complex_numIfEiifS2_S2_EEvT3_20rocsparse_direction_NS_24const_host_device_scalarIT1_EES3_PKS3_PKT2_SC_S9_PKT4_PKT5_S7_PT6_21rocsparse_index_base_b
    .private_segment_fixed_size: 0
    .sgpr_count:     16
    .sgpr_spill_count: 0
    .symbol:         _ZN9rocsparseL18bsrxmvn_3x3_kernelILj256ELj8E21rocsparse_complex_numIfEiifS2_S2_EEvT3_20rocsparse_direction_NS_24const_host_device_scalarIT1_EES3_PKS3_PKT2_SC_S9_PKT4_PKT5_S7_PT6_21rocsparse_index_base_b.kd
    .uniform_work_group_size: 1
    .uses_dynamic_stack: false
    .vgpr_count:     35
    .vgpr_spill_count: 0
    .wavefront_size: 32
    .workgroup_processor_mode: 1
  - .args:
      - .offset:         0
        .size:           4
        .value_kind:     by_value
      - .offset:         4
        .size:           4
        .value_kind:     by_value
      - .offset:         8
        .size:           8
        .value_kind:     by_value
      - .offset:         16
        .size:           4
        .value_kind:     by_value
      - .actual_access:  read_only
        .address_space:  global
        .offset:         24
        .size:           8
        .value_kind:     global_buffer
      - .actual_access:  read_only
        .address_space:  global
        .offset:         32
        .size:           8
        .value_kind:     global_buffer
      - .actual_access:  read_only
        .address_space:  global
        .offset:         40
        .size:           8
        .value_kind:     global_buffer
      - .actual_access:  read_only
        .address_space:  global
        .offset:         48
        .size:           8
        .value_kind:     global_buffer
      - .actual_access:  read_only
        .address_space:  global
        .offset:         56
        .size:           8
        .value_kind:     global_buffer
      - .actual_access:  read_only
        .address_space:  global
        .offset:         64
        .size:           8
        .value_kind:     global_buffer
      - .offset:         72
        .size:           8
        .value_kind:     by_value
      - .address_space:  global
        .offset:         80
        .size:           8
        .value_kind:     global_buffer
      - .offset:         88
        .size:           4
        .value_kind:     by_value
      - .offset:         92
        .size:           1
        .value_kind:     by_value
    .group_segment_fixed_size: 0
    .kernarg_segment_align: 8
    .kernarg_segment_size: 96
    .language:       OpenCL C
    .language_version:
      - 2
      - 0
    .max_flat_workgroup_size: 256
    .name:           _ZN9rocsparseL18bsrxmvn_3x3_kernelILj256ELj16E21rocsparse_complex_numIfEiifS2_S2_EEvT3_20rocsparse_direction_NS_24const_host_device_scalarIT1_EES3_PKS3_PKT2_SC_S9_PKT4_PKT5_S7_PT6_21rocsparse_index_base_b
    .private_segment_fixed_size: 0
    .sgpr_count:     16
    .sgpr_spill_count: 0
    .symbol:         _ZN9rocsparseL18bsrxmvn_3x3_kernelILj256ELj16E21rocsparse_complex_numIfEiifS2_S2_EEvT3_20rocsparse_direction_NS_24const_host_device_scalarIT1_EES3_PKS3_PKT2_SC_S9_PKT4_PKT5_S7_PT6_21rocsparse_index_base_b.kd
    .uniform_work_group_size: 1
    .uses_dynamic_stack: false
    .vgpr_count:     35
    .vgpr_spill_count: 0
    .wavefront_size: 32
    .workgroup_processor_mode: 1
  - .args:
      - .offset:         0
        .size:           4
        .value_kind:     by_value
      - .offset:         4
        .size:           4
        .value_kind:     by_value
      - .offset:         8
        .size:           8
        .value_kind:     by_value
      - .offset:         16
        .size:           4
        .value_kind:     by_value
      - .actual_access:  read_only
        .address_space:  global
        .offset:         24
        .size:           8
        .value_kind:     global_buffer
      - .actual_access:  read_only
        .address_space:  global
        .offset:         32
        .size:           8
        .value_kind:     global_buffer
      - .actual_access:  read_only
        .address_space:  global
        .offset:         40
        .size:           8
        .value_kind:     global_buffer
      - .actual_access:  read_only
        .address_space:  global
        .offset:         48
        .size:           8
        .value_kind:     global_buffer
      - .actual_access:  read_only
        .address_space:  global
        .offset:         56
        .size:           8
        .value_kind:     global_buffer
      - .actual_access:  read_only
        .address_space:  global
        .offset:         64
        .size:           8
        .value_kind:     global_buffer
      - .offset:         72
        .size:           8
        .value_kind:     by_value
      - .address_space:  global
        .offset:         80
        .size:           8
        .value_kind:     global_buffer
      - .offset:         88
        .size:           4
        .value_kind:     by_value
      - .offset:         92
        .size:           1
        .value_kind:     by_value
    .group_segment_fixed_size: 0
    .kernarg_segment_align: 8
    .kernarg_segment_size: 96
    .language:       OpenCL C
    .language_version:
      - 2
      - 0
    .max_flat_workgroup_size: 256
    .name:           _ZN9rocsparseL18bsrxmvn_3x3_kernelILj256ELj32E21rocsparse_complex_numIfEiifS2_S2_EEvT3_20rocsparse_direction_NS_24const_host_device_scalarIT1_EES3_PKS3_PKT2_SC_S9_PKT4_PKT5_S7_PT6_21rocsparse_index_base_b
    .private_segment_fixed_size: 0
    .sgpr_count:     16
    .sgpr_spill_count: 0
    .symbol:         _ZN9rocsparseL18bsrxmvn_3x3_kernelILj256ELj32E21rocsparse_complex_numIfEiifS2_S2_EEvT3_20rocsparse_direction_NS_24const_host_device_scalarIT1_EES3_PKS3_PKT2_SC_S9_PKT4_PKT5_S7_PT6_21rocsparse_index_base_b.kd
    .uniform_work_group_size: 1
    .uses_dynamic_stack: false
    .vgpr_count:     35
    .vgpr_spill_count: 0
    .wavefront_size: 32
    .workgroup_processor_mode: 1
  - .args:
      - .offset:         0
        .size:           4
        .value_kind:     by_value
      - .offset:         4
        .size:           4
        .value_kind:     by_value
      - .offset:         8
        .size:           8
        .value_kind:     by_value
      - .offset:         16
        .size:           4
        .value_kind:     by_value
      - .actual_access:  read_only
        .address_space:  global
        .offset:         24
        .size:           8
        .value_kind:     global_buffer
      - .actual_access:  read_only
        .address_space:  global
        .offset:         32
        .size:           8
        .value_kind:     global_buffer
      - .actual_access:  read_only
        .address_space:  global
        .offset:         40
        .size:           8
        .value_kind:     global_buffer
      - .actual_access:  read_only
        .address_space:  global
        .offset:         48
        .size:           8
        .value_kind:     global_buffer
      - .actual_access:  read_only
        .address_space:  global
        .offset:         56
        .size:           8
        .value_kind:     global_buffer
      - .actual_access:  read_only
        .address_space:  global
        .offset:         64
        .size:           8
        .value_kind:     global_buffer
      - .offset:         72
        .size:           8
        .value_kind:     by_value
      - .address_space:  global
        .offset:         80
        .size:           8
        .value_kind:     global_buffer
      - .offset:         88
        .size:           4
        .value_kind:     by_value
      - .offset:         92
        .size:           1
        .value_kind:     by_value
    .group_segment_fixed_size: 0
    .kernarg_segment_align: 8
    .kernarg_segment_size: 96
    .language:       OpenCL C
    .language_version:
      - 2
      - 0
    .max_flat_workgroup_size: 256
    .name:           _ZN9rocsparseL18bsrxmvn_3x3_kernelILj256ELj64E21rocsparse_complex_numIfEiifS2_S2_EEvT3_20rocsparse_direction_NS_24const_host_device_scalarIT1_EES3_PKS3_PKT2_SC_S9_PKT4_PKT5_S7_PT6_21rocsparse_index_base_b
    .private_segment_fixed_size: 0
    .sgpr_count:     16
    .sgpr_spill_count: 0
    .symbol:         _ZN9rocsparseL18bsrxmvn_3x3_kernelILj256ELj64E21rocsparse_complex_numIfEiifS2_S2_EEvT3_20rocsparse_direction_NS_24const_host_device_scalarIT1_EES3_PKS3_PKT2_SC_S9_PKT4_PKT5_S7_PT6_21rocsparse_index_base_b.kd
    .uniform_work_group_size: 1
    .uses_dynamic_stack: false
    .vgpr_count:     35
    .vgpr_spill_count: 0
    .wavefront_size: 32
    .workgroup_processor_mode: 1
  - .args:
      - .offset:         0
        .size:           4
        .value_kind:     by_value
      - .offset:         4
        .size:           4
        .value_kind:     by_value
      - .offset:         8
        .size:           8
        .value_kind:     by_value
      - .offset:         16
        .size:           4
        .value_kind:     by_value
      - .actual_access:  read_only
        .address_space:  global
        .offset:         24
        .size:           8
        .value_kind:     global_buffer
      - .actual_access:  read_only
        .address_space:  global
        .offset:         32
        .size:           8
        .value_kind:     global_buffer
      - .actual_access:  read_only
        .address_space:  global
        .offset:         40
        .size:           8
        .value_kind:     global_buffer
      - .actual_access:  read_only
        .address_space:  global
        .offset:         48
        .size:           8
        .value_kind:     global_buffer
      - .actual_access:  read_only
        .address_space:  global
        .offset:         56
        .size:           8
        .value_kind:     global_buffer
      - .actual_access:  read_only
        .address_space:  global
        .offset:         64
        .size:           8
        .value_kind:     global_buffer
      - .offset:         72
        .size:           8
        .value_kind:     by_value
      - .address_space:  global
        .offset:         80
        .size:           8
        .value_kind:     global_buffer
      - .offset:         88
        .size:           4
        .value_kind:     by_value
      - .offset:         92
        .size:           1
        .value_kind:     by_value
    .group_segment_fixed_size: 0
    .kernarg_segment_align: 8
    .kernarg_segment_size: 96
    .language:       OpenCL C
    .language_version:
      - 2
      - 0
    .max_flat_workgroup_size: 256
    .name:           _ZN9rocsparseL18bsrxmvn_3x3_kernelILj256ELj4E21rocsparse_complex_numIfElifS2_S2_EEvT3_20rocsparse_direction_NS_24const_host_device_scalarIT1_EES3_PKS3_PKT2_SC_S9_PKT4_PKT5_S7_PT6_21rocsparse_index_base_b
    .private_segment_fixed_size: 0
    .sgpr_count:     16
    .sgpr_spill_count: 0
    .symbol:         _ZN9rocsparseL18bsrxmvn_3x3_kernelILj256ELj4E21rocsparse_complex_numIfElifS2_S2_EEvT3_20rocsparse_direction_NS_24const_host_device_scalarIT1_EES3_PKS3_PKT2_SC_S9_PKT4_PKT5_S7_PT6_21rocsparse_index_base_b.kd
    .uniform_work_group_size: 1
    .uses_dynamic_stack: false
    .vgpr_count:     39
    .vgpr_spill_count: 0
    .wavefront_size: 32
    .workgroup_processor_mode: 1
  - .args:
      - .offset:         0
        .size:           4
        .value_kind:     by_value
      - .offset:         4
        .size:           4
        .value_kind:     by_value
      - .offset:         8
        .size:           8
        .value_kind:     by_value
      - .offset:         16
        .size:           4
        .value_kind:     by_value
      - .actual_access:  read_only
        .address_space:  global
        .offset:         24
        .size:           8
        .value_kind:     global_buffer
      - .actual_access:  read_only
        .address_space:  global
        .offset:         32
        .size:           8
        .value_kind:     global_buffer
      - .actual_access:  read_only
        .address_space:  global
        .offset:         40
        .size:           8
        .value_kind:     global_buffer
      - .actual_access:  read_only
        .address_space:  global
        .offset:         48
        .size:           8
        .value_kind:     global_buffer
      - .actual_access:  read_only
        .address_space:  global
        .offset:         56
        .size:           8
        .value_kind:     global_buffer
      - .actual_access:  read_only
        .address_space:  global
        .offset:         64
        .size:           8
        .value_kind:     global_buffer
      - .offset:         72
        .size:           8
        .value_kind:     by_value
      - .address_space:  global
        .offset:         80
        .size:           8
        .value_kind:     global_buffer
      - .offset:         88
        .size:           4
        .value_kind:     by_value
      - .offset:         92
        .size:           1
        .value_kind:     by_value
    .group_segment_fixed_size: 0
    .kernarg_segment_align: 8
    .kernarg_segment_size: 96
    .language:       OpenCL C
    .language_version:
      - 2
      - 0
    .max_flat_workgroup_size: 256
    .name:           _ZN9rocsparseL18bsrxmvn_3x3_kernelILj256ELj8E21rocsparse_complex_numIfElifS2_S2_EEvT3_20rocsparse_direction_NS_24const_host_device_scalarIT1_EES3_PKS3_PKT2_SC_S9_PKT4_PKT5_S7_PT6_21rocsparse_index_base_b
    .private_segment_fixed_size: 0
    .sgpr_count:     16
    .sgpr_spill_count: 0
    .symbol:         _ZN9rocsparseL18bsrxmvn_3x3_kernelILj256ELj8E21rocsparse_complex_numIfElifS2_S2_EEvT3_20rocsparse_direction_NS_24const_host_device_scalarIT1_EES3_PKS3_PKT2_SC_S9_PKT4_PKT5_S7_PT6_21rocsparse_index_base_b.kd
    .uniform_work_group_size: 1
    .uses_dynamic_stack: false
    .vgpr_count:     39
    .vgpr_spill_count: 0
    .wavefront_size: 32
    .workgroup_processor_mode: 1
  - .args:
      - .offset:         0
        .size:           4
        .value_kind:     by_value
      - .offset:         4
        .size:           4
        .value_kind:     by_value
      - .offset:         8
        .size:           8
        .value_kind:     by_value
      - .offset:         16
        .size:           4
        .value_kind:     by_value
      - .actual_access:  read_only
        .address_space:  global
        .offset:         24
        .size:           8
        .value_kind:     global_buffer
      - .actual_access:  read_only
        .address_space:  global
        .offset:         32
        .size:           8
        .value_kind:     global_buffer
      - .actual_access:  read_only
        .address_space:  global
        .offset:         40
        .size:           8
        .value_kind:     global_buffer
      - .actual_access:  read_only
        .address_space:  global
        .offset:         48
        .size:           8
        .value_kind:     global_buffer
      - .actual_access:  read_only
        .address_space:  global
        .offset:         56
        .size:           8
        .value_kind:     global_buffer
      - .actual_access:  read_only
        .address_space:  global
        .offset:         64
        .size:           8
        .value_kind:     global_buffer
      - .offset:         72
        .size:           8
        .value_kind:     by_value
      - .address_space:  global
        .offset:         80
        .size:           8
        .value_kind:     global_buffer
      - .offset:         88
        .size:           4
        .value_kind:     by_value
      - .offset:         92
        .size:           1
        .value_kind:     by_value
    .group_segment_fixed_size: 0
    .kernarg_segment_align: 8
    .kernarg_segment_size: 96
    .language:       OpenCL C
    .language_version:
      - 2
      - 0
    .max_flat_workgroup_size: 256
    .name:           _ZN9rocsparseL18bsrxmvn_3x3_kernelILj256ELj16E21rocsparse_complex_numIfElifS2_S2_EEvT3_20rocsparse_direction_NS_24const_host_device_scalarIT1_EES3_PKS3_PKT2_SC_S9_PKT4_PKT5_S7_PT6_21rocsparse_index_base_b
    .private_segment_fixed_size: 0
    .sgpr_count:     16
    .sgpr_spill_count: 0
    .symbol:         _ZN9rocsparseL18bsrxmvn_3x3_kernelILj256ELj16E21rocsparse_complex_numIfElifS2_S2_EEvT3_20rocsparse_direction_NS_24const_host_device_scalarIT1_EES3_PKS3_PKT2_SC_S9_PKT4_PKT5_S7_PT6_21rocsparse_index_base_b.kd
    .uniform_work_group_size: 1
    .uses_dynamic_stack: false
    .vgpr_count:     39
    .vgpr_spill_count: 0
    .wavefront_size: 32
    .workgroup_processor_mode: 1
  - .args:
      - .offset:         0
        .size:           4
        .value_kind:     by_value
      - .offset:         4
        .size:           4
        .value_kind:     by_value
      - .offset:         8
        .size:           8
        .value_kind:     by_value
      - .offset:         16
        .size:           4
        .value_kind:     by_value
      - .actual_access:  read_only
        .address_space:  global
        .offset:         24
        .size:           8
        .value_kind:     global_buffer
      - .actual_access:  read_only
        .address_space:  global
        .offset:         32
        .size:           8
        .value_kind:     global_buffer
      - .actual_access:  read_only
        .address_space:  global
        .offset:         40
        .size:           8
        .value_kind:     global_buffer
      - .actual_access:  read_only
        .address_space:  global
        .offset:         48
        .size:           8
        .value_kind:     global_buffer
      - .actual_access:  read_only
        .address_space:  global
        .offset:         56
        .size:           8
        .value_kind:     global_buffer
      - .actual_access:  read_only
        .address_space:  global
        .offset:         64
        .size:           8
        .value_kind:     global_buffer
      - .offset:         72
        .size:           8
        .value_kind:     by_value
      - .address_space:  global
        .offset:         80
        .size:           8
        .value_kind:     global_buffer
      - .offset:         88
        .size:           4
        .value_kind:     by_value
      - .offset:         92
        .size:           1
        .value_kind:     by_value
    .group_segment_fixed_size: 0
    .kernarg_segment_align: 8
    .kernarg_segment_size: 96
    .language:       OpenCL C
    .language_version:
      - 2
      - 0
    .max_flat_workgroup_size: 256
    .name:           _ZN9rocsparseL18bsrxmvn_3x3_kernelILj256ELj32E21rocsparse_complex_numIfElifS2_S2_EEvT3_20rocsparse_direction_NS_24const_host_device_scalarIT1_EES3_PKS3_PKT2_SC_S9_PKT4_PKT5_S7_PT6_21rocsparse_index_base_b
    .private_segment_fixed_size: 0
    .sgpr_count:     16
    .sgpr_spill_count: 0
    .symbol:         _ZN9rocsparseL18bsrxmvn_3x3_kernelILj256ELj32E21rocsparse_complex_numIfElifS2_S2_EEvT3_20rocsparse_direction_NS_24const_host_device_scalarIT1_EES3_PKS3_PKT2_SC_S9_PKT4_PKT5_S7_PT6_21rocsparse_index_base_b.kd
    .uniform_work_group_size: 1
    .uses_dynamic_stack: false
    .vgpr_count:     39
    .vgpr_spill_count: 0
    .wavefront_size: 32
    .workgroup_processor_mode: 1
  - .args:
      - .offset:         0
        .size:           4
        .value_kind:     by_value
      - .offset:         4
        .size:           4
        .value_kind:     by_value
      - .offset:         8
        .size:           8
        .value_kind:     by_value
      - .offset:         16
        .size:           4
        .value_kind:     by_value
      - .actual_access:  read_only
        .address_space:  global
        .offset:         24
        .size:           8
        .value_kind:     global_buffer
      - .actual_access:  read_only
        .address_space:  global
        .offset:         32
        .size:           8
        .value_kind:     global_buffer
      - .actual_access:  read_only
        .address_space:  global
        .offset:         40
        .size:           8
        .value_kind:     global_buffer
      - .actual_access:  read_only
        .address_space:  global
        .offset:         48
        .size:           8
        .value_kind:     global_buffer
      - .actual_access:  read_only
        .address_space:  global
        .offset:         56
        .size:           8
        .value_kind:     global_buffer
      - .actual_access:  read_only
        .address_space:  global
        .offset:         64
        .size:           8
        .value_kind:     global_buffer
      - .offset:         72
        .size:           8
        .value_kind:     by_value
      - .address_space:  global
        .offset:         80
        .size:           8
        .value_kind:     global_buffer
      - .offset:         88
        .size:           4
        .value_kind:     by_value
      - .offset:         92
        .size:           1
        .value_kind:     by_value
    .group_segment_fixed_size: 0
    .kernarg_segment_align: 8
    .kernarg_segment_size: 96
    .language:       OpenCL C
    .language_version:
      - 2
      - 0
    .max_flat_workgroup_size: 256
    .name:           _ZN9rocsparseL18bsrxmvn_3x3_kernelILj256ELj64E21rocsparse_complex_numIfElifS2_S2_EEvT3_20rocsparse_direction_NS_24const_host_device_scalarIT1_EES3_PKS3_PKT2_SC_S9_PKT4_PKT5_S7_PT6_21rocsparse_index_base_b
    .private_segment_fixed_size: 0
    .sgpr_count:     16
    .sgpr_spill_count: 0
    .symbol:         _ZN9rocsparseL18bsrxmvn_3x3_kernelILj256ELj64E21rocsparse_complex_numIfElifS2_S2_EEvT3_20rocsparse_direction_NS_24const_host_device_scalarIT1_EES3_PKS3_PKT2_SC_S9_PKT4_PKT5_S7_PT6_21rocsparse_index_base_b.kd
    .uniform_work_group_size: 1
    .uses_dynamic_stack: false
    .vgpr_count:     39
    .vgpr_spill_count: 0
    .wavefront_size: 32
    .workgroup_processor_mode: 1
  - .args:
      - .offset:         0
        .size:           8
        .value_kind:     by_value
      - .offset:         8
        .size:           4
        .value_kind:     by_value
      - .offset:         16
        .size:           8
        .value_kind:     by_value
      - .offset:         24
        .size:           8
        .value_kind:     by_value
      - .actual_access:  read_only
        .address_space:  global
        .offset:         32
        .size:           8
        .value_kind:     global_buffer
      - .actual_access:  read_only
        .address_space:  global
        .offset:         40
        .size:           8
        .value_kind:     global_buffer
      - .actual_access:  read_only
        .address_space:  global
        .offset:         48
        .size:           8
        .value_kind:     global_buffer
      - .actual_access:  read_only
        .address_space:  global
        .offset:         56
        .size:           8
        .value_kind:     global_buffer
      - .actual_access:  read_only
        .address_space:  global
        .offset:         64
        .size:           8
        .value_kind:     global_buffer
      - .actual_access:  read_only
        .address_space:  global
        .offset:         72
        .size:           8
        .value_kind:     global_buffer
      - .offset:         80
        .size:           8
        .value_kind:     by_value
      - .address_space:  global
        .offset:         88
        .size:           8
        .value_kind:     global_buffer
      - .offset:         96
        .size:           4
        .value_kind:     by_value
      - .offset:         100
        .size:           1
        .value_kind:     by_value
    .group_segment_fixed_size: 0
    .kernarg_segment_align: 8
    .kernarg_segment_size: 104
    .language:       OpenCL C
    .language_version:
      - 2
      - 0
    .max_flat_workgroup_size: 256
    .name:           _ZN9rocsparseL18bsrxmvn_3x3_kernelILj256ELj4E21rocsparse_complex_numIfEllfS2_S2_EEvT3_20rocsparse_direction_NS_24const_host_device_scalarIT1_EES3_PKS3_PKT2_SC_S9_PKT4_PKT5_S7_PT6_21rocsparse_index_base_b
    .private_segment_fixed_size: 0
    .sgpr_count:     14
    .sgpr_spill_count: 0
    .symbol:         _ZN9rocsparseL18bsrxmvn_3x3_kernelILj256ELj4E21rocsparse_complex_numIfEllfS2_S2_EEvT3_20rocsparse_direction_NS_24const_host_device_scalarIT1_EES3_PKS3_PKT2_SC_S9_PKT4_PKT5_S7_PT6_21rocsparse_index_base_b.kd
    .uniform_work_group_size: 1
    .uses_dynamic_stack: false
    .vgpr_count:     42
    .vgpr_spill_count: 0
    .wavefront_size: 32
    .workgroup_processor_mode: 1
  - .args:
      - .offset:         0
        .size:           8
        .value_kind:     by_value
      - .offset:         8
        .size:           4
        .value_kind:     by_value
      - .offset:         16
        .size:           8
        .value_kind:     by_value
      - .offset:         24
        .size:           8
        .value_kind:     by_value
      - .actual_access:  read_only
        .address_space:  global
        .offset:         32
        .size:           8
        .value_kind:     global_buffer
      - .actual_access:  read_only
        .address_space:  global
        .offset:         40
        .size:           8
        .value_kind:     global_buffer
      - .actual_access:  read_only
        .address_space:  global
        .offset:         48
        .size:           8
        .value_kind:     global_buffer
      - .actual_access:  read_only
        .address_space:  global
        .offset:         56
        .size:           8
        .value_kind:     global_buffer
      - .actual_access:  read_only
        .address_space:  global
        .offset:         64
        .size:           8
        .value_kind:     global_buffer
      - .actual_access:  read_only
        .address_space:  global
        .offset:         72
        .size:           8
        .value_kind:     global_buffer
      - .offset:         80
        .size:           8
        .value_kind:     by_value
      - .address_space:  global
        .offset:         88
        .size:           8
        .value_kind:     global_buffer
      - .offset:         96
        .size:           4
        .value_kind:     by_value
      - .offset:         100
        .size:           1
        .value_kind:     by_value
    .group_segment_fixed_size: 0
    .kernarg_segment_align: 8
    .kernarg_segment_size: 104
    .language:       OpenCL C
    .language_version:
      - 2
      - 0
    .max_flat_workgroup_size: 256
    .name:           _ZN9rocsparseL18bsrxmvn_3x3_kernelILj256ELj8E21rocsparse_complex_numIfEllfS2_S2_EEvT3_20rocsparse_direction_NS_24const_host_device_scalarIT1_EES3_PKS3_PKT2_SC_S9_PKT4_PKT5_S7_PT6_21rocsparse_index_base_b
    .private_segment_fixed_size: 0
    .sgpr_count:     14
    .sgpr_spill_count: 0
    .symbol:         _ZN9rocsparseL18bsrxmvn_3x3_kernelILj256ELj8E21rocsparse_complex_numIfEllfS2_S2_EEvT3_20rocsparse_direction_NS_24const_host_device_scalarIT1_EES3_PKS3_PKT2_SC_S9_PKT4_PKT5_S7_PT6_21rocsparse_index_base_b.kd
    .uniform_work_group_size: 1
    .uses_dynamic_stack: false
    .vgpr_count:     42
    .vgpr_spill_count: 0
    .wavefront_size: 32
    .workgroup_processor_mode: 1
  - .args:
      - .offset:         0
        .size:           8
        .value_kind:     by_value
      - .offset:         8
        .size:           4
        .value_kind:     by_value
      - .offset:         16
        .size:           8
        .value_kind:     by_value
      - .offset:         24
        .size:           8
        .value_kind:     by_value
      - .actual_access:  read_only
        .address_space:  global
        .offset:         32
        .size:           8
        .value_kind:     global_buffer
      - .actual_access:  read_only
        .address_space:  global
        .offset:         40
        .size:           8
        .value_kind:     global_buffer
      - .actual_access:  read_only
        .address_space:  global
        .offset:         48
        .size:           8
        .value_kind:     global_buffer
      - .actual_access:  read_only
        .address_space:  global
        .offset:         56
        .size:           8
        .value_kind:     global_buffer
      - .actual_access:  read_only
        .address_space:  global
        .offset:         64
        .size:           8
        .value_kind:     global_buffer
      - .actual_access:  read_only
        .address_space:  global
        .offset:         72
        .size:           8
        .value_kind:     global_buffer
      - .offset:         80
        .size:           8
        .value_kind:     by_value
      - .address_space:  global
        .offset:         88
        .size:           8
        .value_kind:     global_buffer
      - .offset:         96
        .size:           4
        .value_kind:     by_value
      - .offset:         100
        .size:           1
        .value_kind:     by_value
    .group_segment_fixed_size: 0
    .kernarg_segment_align: 8
    .kernarg_segment_size: 104
    .language:       OpenCL C
    .language_version:
      - 2
      - 0
    .max_flat_workgroup_size: 256
    .name:           _ZN9rocsparseL18bsrxmvn_3x3_kernelILj256ELj16E21rocsparse_complex_numIfEllfS2_S2_EEvT3_20rocsparse_direction_NS_24const_host_device_scalarIT1_EES3_PKS3_PKT2_SC_S9_PKT4_PKT5_S7_PT6_21rocsparse_index_base_b
    .private_segment_fixed_size: 0
    .sgpr_count:     14
    .sgpr_spill_count: 0
    .symbol:         _ZN9rocsparseL18bsrxmvn_3x3_kernelILj256ELj16E21rocsparse_complex_numIfEllfS2_S2_EEvT3_20rocsparse_direction_NS_24const_host_device_scalarIT1_EES3_PKS3_PKT2_SC_S9_PKT4_PKT5_S7_PT6_21rocsparse_index_base_b.kd
    .uniform_work_group_size: 1
    .uses_dynamic_stack: false
    .vgpr_count:     42
    .vgpr_spill_count: 0
    .wavefront_size: 32
    .workgroup_processor_mode: 1
  - .args:
      - .offset:         0
        .size:           8
        .value_kind:     by_value
      - .offset:         8
        .size:           4
        .value_kind:     by_value
      - .offset:         16
        .size:           8
        .value_kind:     by_value
      - .offset:         24
        .size:           8
        .value_kind:     by_value
      - .actual_access:  read_only
        .address_space:  global
        .offset:         32
        .size:           8
        .value_kind:     global_buffer
      - .actual_access:  read_only
        .address_space:  global
        .offset:         40
        .size:           8
        .value_kind:     global_buffer
      - .actual_access:  read_only
        .address_space:  global
        .offset:         48
        .size:           8
        .value_kind:     global_buffer
      - .actual_access:  read_only
        .address_space:  global
        .offset:         56
        .size:           8
        .value_kind:     global_buffer
      - .actual_access:  read_only
        .address_space:  global
        .offset:         64
        .size:           8
        .value_kind:     global_buffer
      - .actual_access:  read_only
        .address_space:  global
        .offset:         72
        .size:           8
        .value_kind:     global_buffer
      - .offset:         80
        .size:           8
        .value_kind:     by_value
      - .address_space:  global
        .offset:         88
        .size:           8
        .value_kind:     global_buffer
      - .offset:         96
        .size:           4
        .value_kind:     by_value
      - .offset:         100
        .size:           1
        .value_kind:     by_value
    .group_segment_fixed_size: 0
    .kernarg_segment_align: 8
    .kernarg_segment_size: 104
    .language:       OpenCL C
    .language_version:
      - 2
      - 0
    .max_flat_workgroup_size: 256
    .name:           _ZN9rocsparseL18bsrxmvn_3x3_kernelILj256ELj32E21rocsparse_complex_numIfEllfS2_S2_EEvT3_20rocsparse_direction_NS_24const_host_device_scalarIT1_EES3_PKS3_PKT2_SC_S9_PKT4_PKT5_S7_PT6_21rocsparse_index_base_b
    .private_segment_fixed_size: 0
    .sgpr_count:     14
    .sgpr_spill_count: 0
    .symbol:         _ZN9rocsparseL18bsrxmvn_3x3_kernelILj256ELj32E21rocsparse_complex_numIfEllfS2_S2_EEvT3_20rocsparse_direction_NS_24const_host_device_scalarIT1_EES3_PKS3_PKT2_SC_S9_PKT4_PKT5_S7_PT6_21rocsparse_index_base_b.kd
    .uniform_work_group_size: 1
    .uses_dynamic_stack: false
    .vgpr_count:     42
    .vgpr_spill_count: 0
    .wavefront_size: 32
    .workgroup_processor_mode: 1
  - .args:
      - .offset:         0
        .size:           8
        .value_kind:     by_value
      - .offset:         8
        .size:           4
        .value_kind:     by_value
      - .offset:         16
        .size:           8
        .value_kind:     by_value
      - .offset:         24
        .size:           8
        .value_kind:     by_value
      - .actual_access:  read_only
        .address_space:  global
        .offset:         32
        .size:           8
        .value_kind:     global_buffer
      - .actual_access:  read_only
        .address_space:  global
        .offset:         40
        .size:           8
        .value_kind:     global_buffer
      - .actual_access:  read_only
        .address_space:  global
        .offset:         48
        .size:           8
        .value_kind:     global_buffer
      - .actual_access:  read_only
        .address_space:  global
        .offset:         56
        .size:           8
        .value_kind:     global_buffer
      - .actual_access:  read_only
        .address_space:  global
        .offset:         64
        .size:           8
        .value_kind:     global_buffer
      - .actual_access:  read_only
        .address_space:  global
        .offset:         72
        .size:           8
        .value_kind:     global_buffer
      - .offset:         80
        .size:           8
        .value_kind:     by_value
      - .address_space:  global
        .offset:         88
        .size:           8
        .value_kind:     global_buffer
      - .offset:         96
        .size:           4
        .value_kind:     by_value
      - .offset:         100
        .size:           1
        .value_kind:     by_value
    .group_segment_fixed_size: 0
    .kernarg_segment_align: 8
    .kernarg_segment_size: 104
    .language:       OpenCL C
    .language_version:
      - 2
      - 0
    .max_flat_workgroup_size: 256
    .name:           _ZN9rocsparseL18bsrxmvn_3x3_kernelILj256ELj64E21rocsparse_complex_numIfEllfS2_S2_EEvT3_20rocsparse_direction_NS_24const_host_device_scalarIT1_EES3_PKS3_PKT2_SC_S9_PKT4_PKT5_S7_PT6_21rocsparse_index_base_b
    .private_segment_fixed_size: 0
    .sgpr_count:     14
    .sgpr_spill_count: 0
    .symbol:         _ZN9rocsparseL18bsrxmvn_3x3_kernelILj256ELj64E21rocsparse_complex_numIfEllfS2_S2_EEvT3_20rocsparse_direction_NS_24const_host_device_scalarIT1_EES3_PKS3_PKT2_SC_S9_PKT4_PKT5_S7_PT6_21rocsparse_index_base_b.kd
    .uniform_work_group_size: 1
    .uses_dynamic_stack: false
    .vgpr_count:     42
    .vgpr_spill_count: 0
    .wavefront_size: 32
    .workgroup_processor_mode: 1
  - .args:
      - .offset:         0
        .size:           4
        .value_kind:     by_value
      - .offset:         4
        .size:           4
        .value_kind:     by_value
      - .offset:         8
        .size:           16
        .value_kind:     by_value
      - .offset:         24
        .size:           4
        .value_kind:     by_value
      - .actual_access:  read_only
        .address_space:  global
        .offset:         32
        .size:           8
        .value_kind:     global_buffer
      - .actual_access:  read_only
        .address_space:  global
        .offset:         40
        .size:           8
        .value_kind:     global_buffer
      - .actual_access:  read_only
        .address_space:  global
        .offset:         48
        .size:           8
        .value_kind:     global_buffer
      - .actual_access:  read_only
        .address_space:  global
        .offset:         56
        .size:           8
        .value_kind:     global_buffer
      - .actual_access:  read_only
        .address_space:  global
        .offset:         64
        .size:           8
        .value_kind:     global_buffer
      - .actual_access:  read_only
        .address_space:  global
        .offset:         72
        .size:           8
        .value_kind:     global_buffer
      - .offset:         80
        .size:           16
        .value_kind:     by_value
      - .address_space:  global
        .offset:         96
        .size:           8
        .value_kind:     global_buffer
      - .offset:         104
        .size:           4
        .value_kind:     by_value
      - .offset:         108
        .size:           1
        .value_kind:     by_value
    .group_segment_fixed_size: 0
    .kernarg_segment_align: 8
    .kernarg_segment_size: 112
    .language:       OpenCL C
    .language_version:
      - 2
      - 0
    .max_flat_workgroup_size: 256
    .name:           _ZN9rocsparseL18bsrxmvn_3x3_kernelILj256ELj4E21rocsparse_complex_numIdEiidS2_S2_EEvT3_20rocsparse_direction_NS_24const_host_device_scalarIT1_EES3_PKS3_PKT2_SC_S9_PKT4_PKT5_S7_PT6_21rocsparse_index_base_b
    .private_segment_fixed_size: 0
    .sgpr_count:     16
    .sgpr_spill_count: 0
    .symbol:         _ZN9rocsparseL18bsrxmvn_3x3_kernelILj256ELj4E21rocsparse_complex_numIdEiidS2_S2_EEvT3_20rocsparse_direction_NS_24const_host_device_scalarIT1_EES3_PKS3_PKT2_SC_S9_PKT4_PKT5_S7_PT6_21rocsparse_index_base_b.kd
    .uniform_work_group_size: 1
    .uses_dynamic_stack: false
    .vgpr_count:     61
    .vgpr_spill_count: 0
    .wavefront_size: 32
    .workgroup_processor_mode: 1
  - .args:
      - .offset:         0
        .size:           4
        .value_kind:     by_value
      - .offset:         4
        .size:           4
        .value_kind:     by_value
      - .offset:         8
        .size:           16
        .value_kind:     by_value
      - .offset:         24
        .size:           4
        .value_kind:     by_value
      - .actual_access:  read_only
        .address_space:  global
        .offset:         32
        .size:           8
        .value_kind:     global_buffer
      - .actual_access:  read_only
        .address_space:  global
        .offset:         40
        .size:           8
        .value_kind:     global_buffer
      - .actual_access:  read_only
        .address_space:  global
        .offset:         48
        .size:           8
        .value_kind:     global_buffer
      - .actual_access:  read_only
        .address_space:  global
        .offset:         56
        .size:           8
        .value_kind:     global_buffer
      - .actual_access:  read_only
        .address_space:  global
        .offset:         64
        .size:           8
        .value_kind:     global_buffer
      - .actual_access:  read_only
        .address_space:  global
        .offset:         72
        .size:           8
        .value_kind:     global_buffer
      - .offset:         80
        .size:           16
        .value_kind:     by_value
      - .address_space:  global
        .offset:         96
        .size:           8
        .value_kind:     global_buffer
      - .offset:         104
        .size:           4
        .value_kind:     by_value
      - .offset:         108
        .size:           1
        .value_kind:     by_value
    .group_segment_fixed_size: 0
    .kernarg_segment_align: 8
    .kernarg_segment_size: 112
    .language:       OpenCL C
    .language_version:
      - 2
      - 0
    .max_flat_workgroup_size: 256
    .name:           _ZN9rocsparseL18bsrxmvn_3x3_kernelILj256ELj8E21rocsparse_complex_numIdEiidS2_S2_EEvT3_20rocsparse_direction_NS_24const_host_device_scalarIT1_EES3_PKS3_PKT2_SC_S9_PKT4_PKT5_S7_PT6_21rocsparse_index_base_b
    .private_segment_fixed_size: 0
    .sgpr_count:     16
    .sgpr_spill_count: 0
    .symbol:         _ZN9rocsparseL18bsrxmvn_3x3_kernelILj256ELj8E21rocsparse_complex_numIdEiidS2_S2_EEvT3_20rocsparse_direction_NS_24const_host_device_scalarIT1_EES3_PKS3_PKT2_SC_S9_PKT4_PKT5_S7_PT6_21rocsparse_index_base_b.kd
    .uniform_work_group_size: 1
    .uses_dynamic_stack: false
    .vgpr_count:     61
    .vgpr_spill_count: 0
    .wavefront_size: 32
    .workgroup_processor_mode: 1
  - .args:
      - .offset:         0
        .size:           4
        .value_kind:     by_value
      - .offset:         4
        .size:           4
        .value_kind:     by_value
      - .offset:         8
        .size:           16
        .value_kind:     by_value
      - .offset:         24
        .size:           4
        .value_kind:     by_value
      - .actual_access:  read_only
        .address_space:  global
        .offset:         32
        .size:           8
        .value_kind:     global_buffer
      - .actual_access:  read_only
        .address_space:  global
        .offset:         40
        .size:           8
        .value_kind:     global_buffer
      - .actual_access:  read_only
        .address_space:  global
        .offset:         48
        .size:           8
        .value_kind:     global_buffer
      - .actual_access:  read_only
        .address_space:  global
        .offset:         56
        .size:           8
        .value_kind:     global_buffer
      - .actual_access:  read_only
        .address_space:  global
        .offset:         64
        .size:           8
        .value_kind:     global_buffer
      - .actual_access:  read_only
        .address_space:  global
        .offset:         72
        .size:           8
        .value_kind:     global_buffer
      - .offset:         80
        .size:           16
        .value_kind:     by_value
      - .address_space:  global
        .offset:         96
        .size:           8
        .value_kind:     global_buffer
      - .offset:         104
        .size:           4
        .value_kind:     by_value
      - .offset:         108
        .size:           1
        .value_kind:     by_value
    .group_segment_fixed_size: 0
    .kernarg_segment_align: 8
    .kernarg_segment_size: 112
    .language:       OpenCL C
    .language_version:
      - 2
      - 0
    .max_flat_workgroup_size: 256
    .name:           _ZN9rocsparseL18bsrxmvn_3x3_kernelILj256ELj16E21rocsparse_complex_numIdEiidS2_S2_EEvT3_20rocsparse_direction_NS_24const_host_device_scalarIT1_EES3_PKS3_PKT2_SC_S9_PKT4_PKT5_S7_PT6_21rocsparse_index_base_b
    .private_segment_fixed_size: 0
    .sgpr_count:     16
    .sgpr_spill_count: 0
    .symbol:         _ZN9rocsparseL18bsrxmvn_3x3_kernelILj256ELj16E21rocsparse_complex_numIdEiidS2_S2_EEvT3_20rocsparse_direction_NS_24const_host_device_scalarIT1_EES3_PKS3_PKT2_SC_S9_PKT4_PKT5_S7_PT6_21rocsparse_index_base_b.kd
    .uniform_work_group_size: 1
    .uses_dynamic_stack: false
    .vgpr_count:     61
    .vgpr_spill_count: 0
    .wavefront_size: 32
    .workgroup_processor_mode: 1
  - .args:
      - .offset:         0
        .size:           4
        .value_kind:     by_value
      - .offset:         4
        .size:           4
        .value_kind:     by_value
      - .offset:         8
        .size:           16
        .value_kind:     by_value
      - .offset:         24
        .size:           4
        .value_kind:     by_value
      - .actual_access:  read_only
        .address_space:  global
        .offset:         32
        .size:           8
        .value_kind:     global_buffer
      - .actual_access:  read_only
        .address_space:  global
        .offset:         40
        .size:           8
        .value_kind:     global_buffer
      - .actual_access:  read_only
        .address_space:  global
        .offset:         48
        .size:           8
        .value_kind:     global_buffer
      - .actual_access:  read_only
        .address_space:  global
        .offset:         56
        .size:           8
        .value_kind:     global_buffer
      - .actual_access:  read_only
        .address_space:  global
        .offset:         64
        .size:           8
        .value_kind:     global_buffer
      - .actual_access:  read_only
        .address_space:  global
        .offset:         72
        .size:           8
        .value_kind:     global_buffer
      - .offset:         80
        .size:           16
        .value_kind:     by_value
      - .address_space:  global
        .offset:         96
        .size:           8
        .value_kind:     global_buffer
      - .offset:         104
        .size:           4
        .value_kind:     by_value
      - .offset:         108
        .size:           1
        .value_kind:     by_value
    .group_segment_fixed_size: 0
    .kernarg_segment_align: 8
    .kernarg_segment_size: 112
    .language:       OpenCL C
    .language_version:
      - 2
      - 0
    .max_flat_workgroup_size: 256
    .name:           _ZN9rocsparseL18bsrxmvn_3x3_kernelILj256ELj32E21rocsparse_complex_numIdEiidS2_S2_EEvT3_20rocsparse_direction_NS_24const_host_device_scalarIT1_EES3_PKS3_PKT2_SC_S9_PKT4_PKT5_S7_PT6_21rocsparse_index_base_b
    .private_segment_fixed_size: 0
    .sgpr_count:     16
    .sgpr_spill_count: 0
    .symbol:         _ZN9rocsparseL18bsrxmvn_3x3_kernelILj256ELj32E21rocsparse_complex_numIdEiidS2_S2_EEvT3_20rocsparse_direction_NS_24const_host_device_scalarIT1_EES3_PKS3_PKT2_SC_S9_PKT4_PKT5_S7_PT6_21rocsparse_index_base_b.kd
    .uniform_work_group_size: 1
    .uses_dynamic_stack: false
    .vgpr_count:     61
    .vgpr_spill_count: 0
    .wavefront_size: 32
    .workgroup_processor_mode: 1
  - .args:
      - .offset:         0
        .size:           4
        .value_kind:     by_value
      - .offset:         4
        .size:           4
        .value_kind:     by_value
      - .offset:         8
        .size:           16
        .value_kind:     by_value
      - .offset:         24
        .size:           4
        .value_kind:     by_value
      - .actual_access:  read_only
        .address_space:  global
        .offset:         32
        .size:           8
        .value_kind:     global_buffer
      - .actual_access:  read_only
        .address_space:  global
        .offset:         40
        .size:           8
        .value_kind:     global_buffer
      - .actual_access:  read_only
        .address_space:  global
        .offset:         48
        .size:           8
        .value_kind:     global_buffer
      - .actual_access:  read_only
        .address_space:  global
        .offset:         56
        .size:           8
        .value_kind:     global_buffer
      - .actual_access:  read_only
        .address_space:  global
        .offset:         64
        .size:           8
        .value_kind:     global_buffer
      - .actual_access:  read_only
        .address_space:  global
        .offset:         72
        .size:           8
        .value_kind:     global_buffer
      - .offset:         80
        .size:           16
        .value_kind:     by_value
      - .address_space:  global
        .offset:         96
        .size:           8
        .value_kind:     global_buffer
      - .offset:         104
        .size:           4
        .value_kind:     by_value
      - .offset:         108
        .size:           1
        .value_kind:     by_value
    .group_segment_fixed_size: 0
    .kernarg_segment_align: 8
    .kernarg_segment_size: 112
    .language:       OpenCL C
    .language_version:
      - 2
      - 0
    .max_flat_workgroup_size: 256
    .name:           _ZN9rocsparseL18bsrxmvn_3x3_kernelILj256ELj64E21rocsparse_complex_numIdEiidS2_S2_EEvT3_20rocsparse_direction_NS_24const_host_device_scalarIT1_EES3_PKS3_PKT2_SC_S9_PKT4_PKT5_S7_PT6_21rocsparse_index_base_b
    .private_segment_fixed_size: 0
    .sgpr_count:     16
    .sgpr_spill_count: 0
    .symbol:         _ZN9rocsparseL18bsrxmvn_3x3_kernelILj256ELj64E21rocsparse_complex_numIdEiidS2_S2_EEvT3_20rocsparse_direction_NS_24const_host_device_scalarIT1_EES3_PKS3_PKT2_SC_S9_PKT4_PKT5_S7_PT6_21rocsparse_index_base_b.kd
    .uniform_work_group_size: 1
    .uses_dynamic_stack: false
    .vgpr_count:     61
    .vgpr_spill_count: 0
    .wavefront_size: 32
    .workgroup_processor_mode: 1
  - .args:
      - .offset:         0
        .size:           4
        .value_kind:     by_value
      - .offset:         4
        .size:           4
        .value_kind:     by_value
      - .offset:         8
        .size:           16
        .value_kind:     by_value
      - .offset:         24
        .size:           4
        .value_kind:     by_value
      - .actual_access:  read_only
        .address_space:  global
        .offset:         32
        .size:           8
        .value_kind:     global_buffer
      - .actual_access:  read_only
        .address_space:  global
        .offset:         40
        .size:           8
        .value_kind:     global_buffer
      - .actual_access:  read_only
        .address_space:  global
        .offset:         48
        .size:           8
        .value_kind:     global_buffer
      - .actual_access:  read_only
        .address_space:  global
        .offset:         56
        .size:           8
        .value_kind:     global_buffer
      - .actual_access:  read_only
        .address_space:  global
        .offset:         64
        .size:           8
        .value_kind:     global_buffer
      - .actual_access:  read_only
        .address_space:  global
        .offset:         72
        .size:           8
        .value_kind:     global_buffer
      - .offset:         80
        .size:           16
        .value_kind:     by_value
      - .address_space:  global
        .offset:         96
        .size:           8
        .value_kind:     global_buffer
      - .offset:         104
        .size:           4
        .value_kind:     by_value
      - .offset:         108
        .size:           1
        .value_kind:     by_value
    .group_segment_fixed_size: 0
    .kernarg_segment_align: 8
    .kernarg_segment_size: 112
    .language:       OpenCL C
    .language_version:
      - 2
      - 0
    .max_flat_workgroup_size: 256
    .name:           _ZN9rocsparseL18bsrxmvn_3x3_kernelILj256ELj4E21rocsparse_complex_numIdElidS2_S2_EEvT3_20rocsparse_direction_NS_24const_host_device_scalarIT1_EES3_PKS3_PKT2_SC_S9_PKT4_PKT5_S7_PT6_21rocsparse_index_base_b
    .private_segment_fixed_size: 0
    .sgpr_count:     16
    .sgpr_spill_count: 0
    .symbol:         _ZN9rocsparseL18bsrxmvn_3x3_kernelILj256ELj4E21rocsparse_complex_numIdElidS2_S2_EEvT3_20rocsparse_direction_NS_24const_host_device_scalarIT1_EES3_PKS3_PKT2_SC_S9_PKT4_PKT5_S7_PT6_21rocsparse_index_base_b.kd
    .uniform_work_group_size: 1
    .uses_dynamic_stack: false
    .vgpr_count:     64
    .vgpr_spill_count: 0
    .wavefront_size: 32
    .workgroup_processor_mode: 1
  - .args:
      - .offset:         0
        .size:           4
        .value_kind:     by_value
      - .offset:         4
        .size:           4
        .value_kind:     by_value
      - .offset:         8
        .size:           16
        .value_kind:     by_value
      - .offset:         24
        .size:           4
        .value_kind:     by_value
      - .actual_access:  read_only
        .address_space:  global
        .offset:         32
        .size:           8
        .value_kind:     global_buffer
      - .actual_access:  read_only
        .address_space:  global
        .offset:         40
        .size:           8
        .value_kind:     global_buffer
      - .actual_access:  read_only
        .address_space:  global
        .offset:         48
        .size:           8
        .value_kind:     global_buffer
      - .actual_access:  read_only
        .address_space:  global
        .offset:         56
        .size:           8
        .value_kind:     global_buffer
      - .actual_access:  read_only
        .address_space:  global
        .offset:         64
        .size:           8
        .value_kind:     global_buffer
      - .actual_access:  read_only
        .address_space:  global
        .offset:         72
        .size:           8
        .value_kind:     global_buffer
      - .offset:         80
        .size:           16
        .value_kind:     by_value
      - .address_space:  global
        .offset:         96
        .size:           8
        .value_kind:     global_buffer
      - .offset:         104
        .size:           4
        .value_kind:     by_value
      - .offset:         108
        .size:           1
        .value_kind:     by_value
    .group_segment_fixed_size: 0
    .kernarg_segment_align: 8
    .kernarg_segment_size: 112
    .language:       OpenCL C
    .language_version:
      - 2
      - 0
    .max_flat_workgroup_size: 256
    .name:           _ZN9rocsparseL18bsrxmvn_3x3_kernelILj256ELj8E21rocsparse_complex_numIdElidS2_S2_EEvT3_20rocsparse_direction_NS_24const_host_device_scalarIT1_EES3_PKS3_PKT2_SC_S9_PKT4_PKT5_S7_PT6_21rocsparse_index_base_b
    .private_segment_fixed_size: 0
    .sgpr_count:     16
    .sgpr_spill_count: 0
    .symbol:         _ZN9rocsparseL18bsrxmvn_3x3_kernelILj256ELj8E21rocsparse_complex_numIdElidS2_S2_EEvT3_20rocsparse_direction_NS_24const_host_device_scalarIT1_EES3_PKS3_PKT2_SC_S9_PKT4_PKT5_S7_PT6_21rocsparse_index_base_b.kd
    .uniform_work_group_size: 1
    .uses_dynamic_stack: false
    .vgpr_count:     64
    .vgpr_spill_count: 0
    .wavefront_size: 32
    .workgroup_processor_mode: 1
  - .args:
      - .offset:         0
        .size:           4
        .value_kind:     by_value
      - .offset:         4
        .size:           4
        .value_kind:     by_value
      - .offset:         8
        .size:           16
        .value_kind:     by_value
      - .offset:         24
        .size:           4
        .value_kind:     by_value
      - .actual_access:  read_only
        .address_space:  global
        .offset:         32
        .size:           8
        .value_kind:     global_buffer
      - .actual_access:  read_only
        .address_space:  global
        .offset:         40
        .size:           8
        .value_kind:     global_buffer
      - .actual_access:  read_only
        .address_space:  global
        .offset:         48
        .size:           8
        .value_kind:     global_buffer
      - .actual_access:  read_only
        .address_space:  global
        .offset:         56
        .size:           8
        .value_kind:     global_buffer
      - .actual_access:  read_only
        .address_space:  global
        .offset:         64
        .size:           8
        .value_kind:     global_buffer
      - .actual_access:  read_only
        .address_space:  global
        .offset:         72
        .size:           8
        .value_kind:     global_buffer
      - .offset:         80
        .size:           16
        .value_kind:     by_value
      - .address_space:  global
        .offset:         96
        .size:           8
        .value_kind:     global_buffer
      - .offset:         104
        .size:           4
        .value_kind:     by_value
      - .offset:         108
        .size:           1
        .value_kind:     by_value
    .group_segment_fixed_size: 0
    .kernarg_segment_align: 8
    .kernarg_segment_size: 112
    .language:       OpenCL C
    .language_version:
      - 2
      - 0
    .max_flat_workgroup_size: 256
    .name:           _ZN9rocsparseL18bsrxmvn_3x3_kernelILj256ELj16E21rocsparse_complex_numIdElidS2_S2_EEvT3_20rocsparse_direction_NS_24const_host_device_scalarIT1_EES3_PKS3_PKT2_SC_S9_PKT4_PKT5_S7_PT6_21rocsparse_index_base_b
    .private_segment_fixed_size: 0
    .sgpr_count:     16
    .sgpr_spill_count: 0
    .symbol:         _ZN9rocsparseL18bsrxmvn_3x3_kernelILj256ELj16E21rocsparse_complex_numIdElidS2_S2_EEvT3_20rocsparse_direction_NS_24const_host_device_scalarIT1_EES3_PKS3_PKT2_SC_S9_PKT4_PKT5_S7_PT6_21rocsparse_index_base_b.kd
    .uniform_work_group_size: 1
    .uses_dynamic_stack: false
    .vgpr_count:     64
    .vgpr_spill_count: 0
    .wavefront_size: 32
    .workgroup_processor_mode: 1
  - .args:
      - .offset:         0
        .size:           4
        .value_kind:     by_value
      - .offset:         4
        .size:           4
        .value_kind:     by_value
      - .offset:         8
        .size:           16
        .value_kind:     by_value
      - .offset:         24
        .size:           4
        .value_kind:     by_value
      - .actual_access:  read_only
        .address_space:  global
        .offset:         32
        .size:           8
        .value_kind:     global_buffer
      - .actual_access:  read_only
        .address_space:  global
        .offset:         40
        .size:           8
        .value_kind:     global_buffer
      - .actual_access:  read_only
        .address_space:  global
        .offset:         48
        .size:           8
        .value_kind:     global_buffer
      - .actual_access:  read_only
        .address_space:  global
        .offset:         56
        .size:           8
        .value_kind:     global_buffer
      - .actual_access:  read_only
        .address_space:  global
        .offset:         64
        .size:           8
        .value_kind:     global_buffer
      - .actual_access:  read_only
        .address_space:  global
        .offset:         72
        .size:           8
        .value_kind:     global_buffer
      - .offset:         80
        .size:           16
        .value_kind:     by_value
      - .address_space:  global
        .offset:         96
        .size:           8
        .value_kind:     global_buffer
      - .offset:         104
        .size:           4
        .value_kind:     by_value
      - .offset:         108
        .size:           1
        .value_kind:     by_value
    .group_segment_fixed_size: 0
    .kernarg_segment_align: 8
    .kernarg_segment_size: 112
    .language:       OpenCL C
    .language_version:
      - 2
      - 0
    .max_flat_workgroup_size: 256
    .name:           _ZN9rocsparseL18bsrxmvn_3x3_kernelILj256ELj32E21rocsparse_complex_numIdElidS2_S2_EEvT3_20rocsparse_direction_NS_24const_host_device_scalarIT1_EES3_PKS3_PKT2_SC_S9_PKT4_PKT5_S7_PT6_21rocsparse_index_base_b
    .private_segment_fixed_size: 0
    .sgpr_count:     16
    .sgpr_spill_count: 0
    .symbol:         _ZN9rocsparseL18bsrxmvn_3x3_kernelILj256ELj32E21rocsparse_complex_numIdElidS2_S2_EEvT3_20rocsparse_direction_NS_24const_host_device_scalarIT1_EES3_PKS3_PKT2_SC_S9_PKT4_PKT5_S7_PT6_21rocsparse_index_base_b.kd
    .uniform_work_group_size: 1
    .uses_dynamic_stack: false
    .vgpr_count:     64
    .vgpr_spill_count: 0
    .wavefront_size: 32
    .workgroup_processor_mode: 1
  - .args:
      - .offset:         0
        .size:           4
        .value_kind:     by_value
      - .offset:         4
        .size:           4
        .value_kind:     by_value
      - .offset:         8
        .size:           16
        .value_kind:     by_value
      - .offset:         24
        .size:           4
        .value_kind:     by_value
      - .actual_access:  read_only
        .address_space:  global
        .offset:         32
        .size:           8
        .value_kind:     global_buffer
      - .actual_access:  read_only
        .address_space:  global
        .offset:         40
        .size:           8
        .value_kind:     global_buffer
      - .actual_access:  read_only
        .address_space:  global
        .offset:         48
        .size:           8
        .value_kind:     global_buffer
      - .actual_access:  read_only
        .address_space:  global
        .offset:         56
        .size:           8
        .value_kind:     global_buffer
      - .actual_access:  read_only
        .address_space:  global
        .offset:         64
        .size:           8
        .value_kind:     global_buffer
      - .actual_access:  read_only
        .address_space:  global
        .offset:         72
        .size:           8
        .value_kind:     global_buffer
      - .offset:         80
        .size:           16
        .value_kind:     by_value
      - .address_space:  global
        .offset:         96
        .size:           8
        .value_kind:     global_buffer
      - .offset:         104
        .size:           4
        .value_kind:     by_value
      - .offset:         108
        .size:           1
        .value_kind:     by_value
    .group_segment_fixed_size: 0
    .kernarg_segment_align: 8
    .kernarg_segment_size: 112
    .language:       OpenCL C
    .language_version:
      - 2
      - 0
    .max_flat_workgroup_size: 256
    .name:           _ZN9rocsparseL18bsrxmvn_3x3_kernelILj256ELj64E21rocsparse_complex_numIdElidS2_S2_EEvT3_20rocsparse_direction_NS_24const_host_device_scalarIT1_EES3_PKS3_PKT2_SC_S9_PKT4_PKT5_S7_PT6_21rocsparse_index_base_b
    .private_segment_fixed_size: 0
    .sgpr_count:     16
    .sgpr_spill_count: 0
    .symbol:         _ZN9rocsparseL18bsrxmvn_3x3_kernelILj256ELj64E21rocsparse_complex_numIdElidS2_S2_EEvT3_20rocsparse_direction_NS_24const_host_device_scalarIT1_EES3_PKS3_PKT2_SC_S9_PKT4_PKT5_S7_PT6_21rocsparse_index_base_b.kd
    .uniform_work_group_size: 1
    .uses_dynamic_stack: false
    .vgpr_count:     64
    .vgpr_spill_count: 0
    .wavefront_size: 32
    .workgroup_processor_mode: 1
  - .args:
      - .offset:         0
        .size:           8
        .value_kind:     by_value
      - .offset:         8
        .size:           4
        .value_kind:     by_value
      - .offset:         16
        .size:           16
        .value_kind:     by_value
      - .offset:         32
        .size:           8
        .value_kind:     by_value
      - .actual_access:  read_only
        .address_space:  global
        .offset:         40
        .size:           8
        .value_kind:     global_buffer
      - .actual_access:  read_only
        .address_space:  global
        .offset:         48
        .size:           8
        .value_kind:     global_buffer
      - .actual_access:  read_only
        .address_space:  global
        .offset:         56
        .size:           8
        .value_kind:     global_buffer
      - .actual_access:  read_only
        .address_space:  global
        .offset:         64
        .size:           8
        .value_kind:     global_buffer
      - .actual_access:  read_only
        .address_space:  global
        .offset:         72
        .size:           8
        .value_kind:     global_buffer
      - .actual_access:  read_only
        .address_space:  global
        .offset:         80
        .size:           8
        .value_kind:     global_buffer
      - .offset:         88
        .size:           16
        .value_kind:     by_value
      - .address_space:  global
        .offset:         104
        .size:           8
        .value_kind:     global_buffer
      - .offset:         112
        .size:           4
        .value_kind:     by_value
      - .offset:         116
        .size:           1
        .value_kind:     by_value
    .group_segment_fixed_size: 0
    .kernarg_segment_align: 8
    .kernarg_segment_size: 120
    .language:       OpenCL C
    .language_version:
      - 2
      - 0
    .max_flat_workgroup_size: 256
    .name:           _ZN9rocsparseL18bsrxmvn_3x3_kernelILj256ELj4E21rocsparse_complex_numIdElldS2_S2_EEvT3_20rocsparse_direction_NS_24const_host_device_scalarIT1_EES3_PKS3_PKT2_SC_S9_PKT4_PKT5_S7_PT6_21rocsparse_index_base_b
    .private_segment_fixed_size: 0
    .sgpr_count:     14
    .sgpr_spill_count: 0
    .symbol:         _ZN9rocsparseL18bsrxmvn_3x3_kernelILj256ELj4E21rocsparse_complex_numIdElldS2_S2_EEvT3_20rocsparse_direction_NS_24const_host_device_scalarIT1_EES3_PKS3_PKT2_SC_S9_PKT4_PKT5_S7_PT6_21rocsparse_index_base_b.kd
    .uniform_work_group_size: 1
    .uses_dynamic_stack: false
    .vgpr_count:     67
    .vgpr_spill_count: 0
    .wavefront_size: 32
    .workgroup_processor_mode: 1
  - .args:
      - .offset:         0
        .size:           8
        .value_kind:     by_value
      - .offset:         8
        .size:           4
        .value_kind:     by_value
      - .offset:         16
        .size:           16
        .value_kind:     by_value
      - .offset:         32
        .size:           8
        .value_kind:     by_value
      - .actual_access:  read_only
        .address_space:  global
        .offset:         40
        .size:           8
        .value_kind:     global_buffer
      - .actual_access:  read_only
        .address_space:  global
        .offset:         48
        .size:           8
        .value_kind:     global_buffer
      - .actual_access:  read_only
        .address_space:  global
        .offset:         56
        .size:           8
        .value_kind:     global_buffer
      - .actual_access:  read_only
        .address_space:  global
        .offset:         64
        .size:           8
        .value_kind:     global_buffer
      - .actual_access:  read_only
        .address_space:  global
        .offset:         72
        .size:           8
        .value_kind:     global_buffer
      - .actual_access:  read_only
        .address_space:  global
        .offset:         80
        .size:           8
        .value_kind:     global_buffer
      - .offset:         88
        .size:           16
        .value_kind:     by_value
      - .address_space:  global
        .offset:         104
        .size:           8
        .value_kind:     global_buffer
      - .offset:         112
        .size:           4
        .value_kind:     by_value
      - .offset:         116
        .size:           1
        .value_kind:     by_value
    .group_segment_fixed_size: 0
    .kernarg_segment_align: 8
    .kernarg_segment_size: 120
    .language:       OpenCL C
    .language_version:
      - 2
      - 0
    .max_flat_workgroup_size: 256
    .name:           _ZN9rocsparseL18bsrxmvn_3x3_kernelILj256ELj8E21rocsparse_complex_numIdElldS2_S2_EEvT3_20rocsparse_direction_NS_24const_host_device_scalarIT1_EES3_PKS3_PKT2_SC_S9_PKT4_PKT5_S7_PT6_21rocsparse_index_base_b
    .private_segment_fixed_size: 0
    .sgpr_count:     14
    .sgpr_spill_count: 0
    .symbol:         _ZN9rocsparseL18bsrxmvn_3x3_kernelILj256ELj8E21rocsparse_complex_numIdElldS2_S2_EEvT3_20rocsparse_direction_NS_24const_host_device_scalarIT1_EES3_PKS3_PKT2_SC_S9_PKT4_PKT5_S7_PT6_21rocsparse_index_base_b.kd
    .uniform_work_group_size: 1
    .uses_dynamic_stack: false
    .vgpr_count:     67
    .vgpr_spill_count: 0
    .wavefront_size: 32
    .workgroup_processor_mode: 1
  - .args:
      - .offset:         0
        .size:           8
        .value_kind:     by_value
      - .offset:         8
        .size:           4
        .value_kind:     by_value
      - .offset:         16
        .size:           16
        .value_kind:     by_value
      - .offset:         32
        .size:           8
        .value_kind:     by_value
      - .actual_access:  read_only
        .address_space:  global
        .offset:         40
        .size:           8
        .value_kind:     global_buffer
      - .actual_access:  read_only
        .address_space:  global
        .offset:         48
        .size:           8
        .value_kind:     global_buffer
      - .actual_access:  read_only
        .address_space:  global
        .offset:         56
        .size:           8
        .value_kind:     global_buffer
      - .actual_access:  read_only
        .address_space:  global
        .offset:         64
        .size:           8
        .value_kind:     global_buffer
      - .actual_access:  read_only
        .address_space:  global
        .offset:         72
        .size:           8
        .value_kind:     global_buffer
      - .actual_access:  read_only
        .address_space:  global
        .offset:         80
        .size:           8
        .value_kind:     global_buffer
      - .offset:         88
        .size:           16
        .value_kind:     by_value
      - .address_space:  global
        .offset:         104
        .size:           8
        .value_kind:     global_buffer
      - .offset:         112
        .size:           4
        .value_kind:     by_value
      - .offset:         116
        .size:           1
        .value_kind:     by_value
    .group_segment_fixed_size: 0
    .kernarg_segment_align: 8
    .kernarg_segment_size: 120
    .language:       OpenCL C
    .language_version:
      - 2
      - 0
    .max_flat_workgroup_size: 256
    .name:           _ZN9rocsparseL18bsrxmvn_3x3_kernelILj256ELj16E21rocsparse_complex_numIdElldS2_S2_EEvT3_20rocsparse_direction_NS_24const_host_device_scalarIT1_EES3_PKS3_PKT2_SC_S9_PKT4_PKT5_S7_PT6_21rocsparse_index_base_b
    .private_segment_fixed_size: 0
    .sgpr_count:     14
    .sgpr_spill_count: 0
    .symbol:         _ZN9rocsparseL18bsrxmvn_3x3_kernelILj256ELj16E21rocsparse_complex_numIdElldS2_S2_EEvT3_20rocsparse_direction_NS_24const_host_device_scalarIT1_EES3_PKS3_PKT2_SC_S9_PKT4_PKT5_S7_PT6_21rocsparse_index_base_b.kd
    .uniform_work_group_size: 1
    .uses_dynamic_stack: false
    .vgpr_count:     67
    .vgpr_spill_count: 0
    .wavefront_size: 32
    .workgroup_processor_mode: 1
  - .args:
      - .offset:         0
        .size:           8
        .value_kind:     by_value
      - .offset:         8
        .size:           4
        .value_kind:     by_value
      - .offset:         16
        .size:           16
        .value_kind:     by_value
      - .offset:         32
        .size:           8
        .value_kind:     by_value
      - .actual_access:  read_only
        .address_space:  global
        .offset:         40
        .size:           8
        .value_kind:     global_buffer
      - .actual_access:  read_only
        .address_space:  global
        .offset:         48
        .size:           8
        .value_kind:     global_buffer
      - .actual_access:  read_only
        .address_space:  global
        .offset:         56
        .size:           8
        .value_kind:     global_buffer
      - .actual_access:  read_only
        .address_space:  global
        .offset:         64
        .size:           8
        .value_kind:     global_buffer
      - .actual_access:  read_only
        .address_space:  global
        .offset:         72
        .size:           8
        .value_kind:     global_buffer
      - .actual_access:  read_only
        .address_space:  global
        .offset:         80
        .size:           8
        .value_kind:     global_buffer
      - .offset:         88
        .size:           16
        .value_kind:     by_value
      - .address_space:  global
        .offset:         104
        .size:           8
        .value_kind:     global_buffer
      - .offset:         112
        .size:           4
        .value_kind:     by_value
      - .offset:         116
        .size:           1
        .value_kind:     by_value
    .group_segment_fixed_size: 0
    .kernarg_segment_align: 8
    .kernarg_segment_size: 120
    .language:       OpenCL C
    .language_version:
      - 2
      - 0
    .max_flat_workgroup_size: 256
    .name:           _ZN9rocsparseL18bsrxmvn_3x3_kernelILj256ELj32E21rocsparse_complex_numIdElldS2_S2_EEvT3_20rocsparse_direction_NS_24const_host_device_scalarIT1_EES3_PKS3_PKT2_SC_S9_PKT4_PKT5_S7_PT6_21rocsparse_index_base_b
    .private_segment_fixed_size: 0
    .sgpr_count:     14
    .sgpr_spill_count: 0
    .symbol:         _ZN9rocsparseL18bsrxmvn_3x3_kernelILj256ELj32E21rocsparse_complex_numIdElldS2_S2_EEvT3_20rocsparse_direction_NS_24const_host_device_scalarIT1_EES3_PKS3_PKT2_SC_S9_PKT4_PKT5_S7_PT6_21rocsparse_index_base_b.kd
    .uniform_work_group_size: 1
    .uses_dynamic_stack: false
    .vgpr_count:     67
    .vgpr_spill_count: 0
    .wavefront_size: 32
    .workgroup_processor_mode: 1
  - .args:
      - .offset:         0
        .size:           8
        .value_kind:     by_value
      - .offset:         8
        .size:           4
        .value_kind:     by_value
      - .offset:         16
        .size:           16
        .value_kind:     by_value
      - .offset:         32
        .size:           8
        .value_kind:     by_value
      - .actual_access:  read_only
        .address_space:  global
        .offset:         40
        .size:           8
        .value_kind:     global_buffer
      - .actual_access:  read_only
        .address_space:  global
        .offset:         48
        .size:           8
        .value_kind:     global_buffer
      - .actual_access:  read_only
        .address_space:  global
        .offset:         56
        .size:           8
        .value_kind:     global_buffer
      - .actual_access:  read_only
        .address_space:  global
        .offset:         64
        .size:           8
        .value_kind:     global_buffer
      - .actual_access:  read_only
        .address_space:  global
        .offset:         72
        .size:           8
        .value_kind:     global_buffer
      - .actual_access:  read_only
        .address_space:  global
        .offset:         80
        .size:           8
        .value_kind:     global_buffer
      - .offset:         88
        .size:           16
        .value_kind:     by_value
      - .address_space:  global
        .offset:         104
        .size:           8
        .value_kind:     global_buffer
      - .offset:         112
        .size:           4
        .value_kind:     by_value
      - .offset:         116
        .size:           1
        .value_kind:     by_value
    .group_segment_fixed_size: 0
    .kernarg_segment_align: 8
    .kernarg_segment_size: 120
    .language:       OpenCL C
    .language_version:
      - 2
      - 0
    .max_flat_workgroup_size: 256
    .name:           _ZN9rocsparseL18bsrxmvn_3x3_kernelILj256ELj64E21rocsparse_complex_numIdElldS2_S2_EEvT3_20rocsparse_direction_NS_24const_host_device_scalarIT1_EES3_PKS3_PKT2_SC_S9_PKT4_PKT5_S7_PT6_21rocsparse_index_base_b
    .private_segment_fixed_size: 0
    .sgpr_count:     14
    .sgpr_spill_count: 0
    .symbol:         _ZN9rocsparseL18bsrxmvn_3x3_kernelILj256ELj64E21rocsparse_complex_numIdElldS2_S2_EEvT3_20rocsparse_direction_NS_24const_host_device_scalarIT1_EES3_PKS3_PKT2_SC_S9_PKT4_PKT5_S7_PT6_21rocsparse_index_base_b.kd
    .uniform_work_group_size: 1
    .uses_dynamic_stack: false
    .vgpr_count:     67
    .vgpr_spill_count: 0
    .wavefront_size: 32
    .workgroup_processor_mode: 1
  - .args:
      - .offset:         0
        .size:           4
        .value_kind:     by_value
      - .offset:         4
        .size:           4
        .value_kind:     by_value
      - .offset:         8
        .size:           8
        .value_kind:     by_value
      - .offset:         16
        .size:           4
        .value_kind:     by_value
      - .actual_access:  read_only
        .address_space:  global
        .offset:         24
        .size:           8
        .value_kind:     global_buffer
      - .actual_access:  read_only
        .address_space:  global
        .offset:         32
        .size:           8
        .value_kind:     global_buffer
      - .actual_access:  read_only
        .address_space:  global
        .offset:         40
        .size:           8
        .value_kind:     global_buffer
      - .actual_access:  read_only
        .address_space:  global
        .offset:         48
        .size:           8
        .value_kind:     global_buffer
      - .actual_access:  read_only
        .address_space:  global
        .offset:         56
        .size:           8
        .value_kind:     global_buffer
      - .actual_access:  read_only
        .address_space:  global
        .offset:         64
        .size:           8
        .value_kind:     global_buffer
      - .offset:         72
        .size:           8
        .value_kind:     by_value
      - .address_space:  global
        .offset:         80
        .size:           8
        .value_kind:     global_buffer
      - .offset:         88
        .size:           4
        .value_kind:     by_value
      - .offset:         92
        .size:           1
        .value_kind:     by_value
    .group_segment_fixed_size: 0
    .kernarg_segment_align: 8
    .kernarg_segment_size: 96
    .language:       OpenCL C
    .language_version:
      - 2
      - 0
    .max_flat_workgroup_size: 256
    .name:           _ZN9rocsparseL18bsrxmvn_3x3_kernelILj256ELj4EdiifddEEvT3_20rocsparse_direction_NS_24const_host_device_scalarIT1_EES1_PKS1_PKT2_SA_S7_PKT4_PKT5_S5_PT6_21rocsparse_index_base_b
    .private_segment_fixed_size: 0
    .sgpr_count:     16
    .sgpr_spill_count: 0
    .symbol:         _ZN9rocsparseL18bsrxmvn_3x3_kernelILj256ELj4EdiifddEEvT3_20rocsparse_direction_NS_24const_host_device_scalarIT1_EES1_PKS1_PKT2_SA_S7_PKT4_PKT5_S5_PT6_21rocsparse_index_base_b.kd
    .uniform_work_group_size: 1
    .uses_dynamic_stack: false
    .vgpr_count:     41
    .vgpr_spill_count: 0
    .wavefront_size: 32
    .workgroup_processor_mode: 1
  - .args:
      - .offset:         0
        .size:           4
        .value_kind:     by_value
      - .offset:         4
        .size:           4
        .value_kind:     by_value
      - .offset:         8
        .size:           8
        .value_kind:     by_value
      - .offset:         16
        .size:           4
        .value_kind:     by_value
      - .actual_access:  read_only
        .address_space:  global
        .offset:         24
        .size:           8
        .value_kind:     global_buffer
      - .actual_access:  read_only
        .address_space:  global
        .offset:         32
        .size:           8
        .value_kind:     global_buffer
      - .actual_access:  read_only
        .address_space:  global
        .offset:         40
        .size:           8
        .value_kind:     global_buffer
      - .actual_access:  read_only
        .address_space:  global
        .offset:         48
        .size:           8
        .value_kind:     global_buffer
      - .actual_access:  read_only
        .address_space:  global
        .offset:         56
        .size:           8
        .value_kind:     global_buffer
      - .actual_access:  read_only
        .address_space:  global
        .offset:         64
        .size:           8
        .value_kind:     global_buffer
      - .offset:         72
        .size:           8
        .value_kind:     by_value
      - .address_space:  global
        .offset:         80
        .size:           8
        .value_kind:     global_buffer
      - .offset:         88
        .size:           4
        .value_kind:     by_value
      - .offset:         92
        .size:           1
        .value_kind:     by_value
    .group_segment_fixed_size: 0
    .kernarg_segment_align: 8
    .kernarg_segment_size: 96
    .language:       OpenCL C
    .language_version:
      - 2
      - 0
    .max_flat_workgroup_size: 256
    .name:           _ZN9rocsparseL18bsrxmvn_3x3_kernelILj256ELj8EdiifddEEvT3_20rocsparse_direction_NS_24const_host_device_scalarIT1_EES1_PKS1_PKT2_SA_S7_PKT4_PKT5_S5_PT6_21rocsparse_index_base_b
    .private_segment_fixed_size: 0
    .sgpr_count:     16
    .sgpr_spill_count: 0
    .symbol:         _ZN9rocsparseL18bsrxmvn_3x3_kernelILj256ELj8EdiifddEEvT3_20rocsparse_direction_NS_24const_host_device_scalarIT1_EES1_PKS1_PKT2_SA_S7_PKT4_PKT5_S5_PT6_21rocsparse_index_base_b.kd
    .uniform_work_group_size: 1
    .uses_dynamic_stack: false
    .vgpr_count:     41
    .vgpr_spill_count: 0
    .wavefront_size: 32
    .workgroup_processor_mode: 1
  - .args:
      - .offset:         0
        .size:           4
        .value_kind:     by_value
      - .offset:         4
        .size:           4
        .value_kind:     by_value
      - .offset:         8
        .size:           8
        .value_kind:     by_value
      - .offset:         16
        .size:           4
        .value_kind:     by_value
      - .actual_access:  read_only
        .address_space:  global
        .offset:         24
        .size:           8
        .value_kind:     global_buffer
      - .actual_access:  read_only
        .address_space:  global
        .offset:         32
        .size:           8
        .value_kind:     global_buffer
      - .actual_access:  read_only
        .address_space:  global
        .offset:         40
        .size:           8
        .value_kind:     global_buffer
      - .actual_access:  read_only
        .address_space:  global
        .offset:         48
        .size:           8
        .value_kind:     global_buffer
      - .actual_access:  read_only
        .address_space:  global
        .offset:         56
        .size:           8
        .value_kind:     global_buffer
      - .actual_access:  read_only
        .address_space:  global
        .offset:         64
        .size:           8
        .value_kind:     global_buffer
      - .offset:         72
        .size:           8
        .value_kind:     by_value
      - .address_space:  global
        .offset:         80
        .size:           8
        .value_kind:     global_buffer
      - .offset:         88
        .size:           4
        .value_kind:     by_value
      - .offset:         92
        .size:           1
        .value_kind:     by_value
    .group_segment_fixed_size: 0
    .kernarg_segment_align: 8
    .kernarg_segment_size: 96
    .language:       OpenCL C
    .language_version:
      - 2
      - 0
    .max_flat_workgroup_size: 256
    .name:           _ZN9rocsparseL18bsrxmvn_3x3_kernelILj256ELj16EdiifddEEvT3_20rocsparse_direction_NS_24const_host_device_scalarIT1_EES1_PKS1_PKT2_SA_S7_PKT4_PKT5_S5_PT6_21rocsparse_index_base_b
    .private_segment_fixed_size: 0
    .sgpr_count:     16
    .sgpr_spill_count: 0
    .symbol:         _ZN9rocsparseL18bsrxmvn_3x3_kernelILj256ELj16EdiifddEEvT3_20rocsparse_direction_NS_24const_host_device_scalarIT1_EES1_PKS1_PKT2_SA_S7_PKT4_PKT5_S5_PT6_21rocsparse_index_base_b.kd
    .uniform_work_group_size: 1
    .uses_dynamic_stack: false
    .vgpr_count:     41
    .vgpr_spill_count: 0
    .wavefront_size: 32
    .workgroup_processor_mode: 1
  - .args:
      - .offset:         0
        .size:           4
        .value_kind:     by_value
      - .offset:         4
        .size:           4
        .value_kind:     by_value
      - .offset:         8
        .size:           8
        .value_kind:     by_value
      - .offset:         16
        .size:           4
        .value_kind:     by_value
      - .actual_access:  read_only
        .address_space:  global
        .offset:         24
        .size:           8
        .value_kind:     global_buffer
      - .actual_access:  read_only
        .address_space:  global
        .offset:         32
        .size:           8
        .value_kind:     global_buffer
      - .actual_access:  read_only
        .address_space:  global
        .offset:         40
        .size:           8
        .value_kind:     global_buffer
      - .actual_access:  read_only
        .address_space:  global
        .offset:         48
        .size:           8
        .value_kind:     global_buffer
      - .actual_access:  read_only
        .address_space:  global
        .offset:         56
        .size:           8
        .value_kind:     global_buffer
      - .actual_access:  read_only
        .address_space:  global
        .offset:         64
        .size:           8
        .value_kind:     global_buffer
      - .offset:         72
        .size:           8
        .value_kind:     by_value
      - .address_space:  global
        .offset:         80
        .size:           8
        .value_kind:     global_buffer
      - .offset:         88
        .size:           4
        .value_kind:     by_value
      - .offset:         92
        .size:           1
        .value_kind:     by_value
    .group_segment_fixed_size: 0
    .kernarg_segment_align: 8
    .kernarg_segment_size: 96
    .language:       OpenCL C
    .language_version:
      - 2
      - 0
    .max_flat_workgroup_size: 256
    .name:           _ZN9rocsparseL18bsrxmvn_3x3_kernelILj256ELj32EdiifddEEvT3_20rocsparse_direction_NS_24const_host_device_scalarIT1_EES1_PKS1_PKT2_SA_S7_PKT4_PKT5_S5_PT6_21rocsparse_index_base_b
    .private_segment_fixed_size: 0
    .sgpr_count:     16
    .sgpr_spill_count: 0
    .symbol:         _ZN9rocsparseL18bsrxmvn_3x3_kernelILj256ELj32EdiifddEEvT3_20rocsparse_direction_NS_24const_host_device_scalarIT1_EES1_PKS1_PKT2_SA_S7_PKT4_PKT5_S5_PT6_21rocsparse_index_base_b.kd
    .uniform_work_group_size: 1
    .uses_dynamic_stack: false
    .vgpr_count:     41
    .vgpr_spill_count: 0
    .wavefront_size: 32
    .workgroup_processor_mode: 1
  - .args:
      - .offset:         0
        .size:           4
        .value_kind:     by_value
      - .offset:         4
        .size:           4
        .value_kind:     by_value
      - .offset:         8
        .size:           8
        .value_kind:     by_value
      - .offset:         16
        .size:           4
        .value_kind:     by_value
      - .actual_access:  read_only
        .address_space:  global
        .offset:         24
        .size:           8
        .value_kind:     global_buffer
      - .actual_access:  read_only
        .address_space:  global
        .offset:         32
        .size:           8
        .value_kind:     global_buffer
      - .actual_access:  read_only
        .address_space:  global
        .offset:         40
        .size:           8
        .value_kind:     global_buffer
      - .actual_access:  read_only
        .address_space:  global
        .offset:         48
        .size:           8
        .value_kind:     global_buffer
      - .actual_access:  read_only
        .address_space:  global
        .offset:         56
        .size:           8
        .value_kind:     global_buffer
      - .actual_access:  read_only
        .address_space:  global
        .offset:         64
        .size:           8
        .value_kind:     global_buffer
      - .offset:         72
        .size:           8
        .value_kind:     by_value
      - .address_space:  global
        .offset:         80
        .size:           8
        .value_kind:     global_buffer
      - .offset:         88
        .size:           4
        .value_kind:     by_value
      - .offset:         92
        .size:           1
        .value_kind:     by_value
    .group_segment_fixed_size: 0
    .kernarg_segment_align: 8
    .kernarg_segment_size: 96
    .language:       OpenCL C
    .language_version:
      - 2
      - 0
    .max_flat_workgroup_size: 256
    .name:           _ZN9rocsparseL18bsrxmvn_3x3_kernelILj256ELj64EdiifddEEvT3_20rocsparse_direction_NS_24const_host_device_scalarIT1_EES1_PKS1_PKT2_SA_S7_PKT4_PKT5_S5_PT6_21rocsparse_index_base_b
    .private_segment_fixed_size: 0
    .sgpr_count:     16
    .sgpr_spill_count: 0
    .symbol:         _ZN9rocsparseL18bsrxmvn_3x3_kernelILj256ELj64EdiifddEEvT3_20rocsparse_direction_NS_24const_host_device_scalarIT1_EES1_PKS1_PKT2_SA_S7_PKT4_PKT5_S5_PT6_21rocsparse_index_base_b.kd
    .uniform_work_group_size: 1
    .uses_dynamic_stack: false
    .vgpr_count:     41
    .vgpr_spill_count: 0
    .wavefront_size: 32
    .workgroup_processor_mode: 1
  - .args:
      - .offset:         0
        .size:           4
        .value_kind:     by_value
      - .offset:         4
        .size:           4
        .value_kind:     by_value
      - .offset:         8
        .size:           8
        .value_kind:     by_value
      - .offset:         16
        .size:           4
        .value_kind:     by_value
      - .actual_access:  read_only
        .address_space:  global
        .offset:         24
        .size:           8
        .value_kind:     global_buffer
      - .actual_access:  read_only
        .address_space:  global
        .offset:         32
        .size:           8
        .value_kind:     global_buffer
      - .actual_access:  read_only
        .address_space:  global
        .offset:         40
        .size:           8
        .value_kind:     global_buffer
      - .actual_access:  read_only
        .address_space:  global
        .offset:         48
        .size:           8
        .value_kind:     global_buffer
      - .actual_access:  read_only
        .address_space:  global
        .offset:         56
        .size:           8
        .value_kind:     global_buffer
      - .actual_access:  read_only
        .address_space:  global
        .offset:         64
        .size:           8
        .value_kind:     global_buffer
      - .offset:         72
        .size:           8
        .value_kind:     by_value
      - .address_space:  global
        .offset:         80
        .size:           8
        .value_kind:     global_buffer
      - .offset:         88
        .size:           4
        .value_kind:     by_value
      - .offset:         92
        .size:           1
        .value_kind:     by_value
    .group_segment_fixed_size: 0
    .kernarg_segment_align: 8
    .kernarg_segment_size: 96
    .language:       OpenCL C
    .language_version:
      - 2
      - 0
    .max_flat_workgroup_size: 256
    .name:           _ZN9rocsparseL18bsrxmvn_3x3_kernelILj256ELj4EdlifddEEvT3_20rocsparse_direction_NS_24const_host_device_scalarIT1_EES1_PKS1_PKT2_SA_S7_PKT4_PKT5_S5_PT6_21rocsparse_index_base_b
    .private_segment_fixed_size: 0
    .sgpr_count:     16
    .sgpr_spill_count: 0
    .symbol:         _ZN9rocsparseL18bsrxmvn_3x3_kernelILj256ELj4EdlifddEEvT3_20rocsparse_direction_NS_24const_host_device_scalarIT1_EES1_PKS1_PKT2_SA_S7_PKT4_PKT5_S5_PT6_21rocsparse_index_base_b.kd
    .uniform_work_group_size: 1
    .uses_dynamic_stack: false
    .vgpr_count:     45
    .vgpr_spill_count: 0
    .wavefront_size: 32
    .workgroup_processor_mode: 1
  - .args:
      - .offset:         0
        .size:           4
        .value_kind:     by_value
      - .offset:         4
        .size:           4
        .value_kind:     by_value
      - .offset:         8
        .size:           8
        .value_kind:     by_value
      - .offset:         16
        .size:           4
        .value_kind:     by_value
      - .actual_access:  read_only
        .address_space:  global
        .offset:         24
        .size:           8
        .value_kind:     global_buffer
      - .actual_access:  read_only
        .address_space:  global
        .offset:         32
        .size:           8
        .value_kind:     global_buffer
      - .actual_access:  read_only
        .address_space:  global
        .offset:         40
        .size:           8
        .value_kind:     global_buffer
      - .actual_access:  read_only
        .address_space:  global
        .offset:         48
        .size:           8
        .value_kind:     global_buffer
      - .actual_access:  read_only
        .address_space:  global
        .offset:         56
        .size:           8
        .value_kind:     global_buffer
      - .actual_access:  read_only
        .address_space:  global
        .offset:         64
        .size:           8
        .value_kind:     global_buffer
      - .offset:         72
        .size:           8
        .value_kind:     by_value
      - .address_space:  global
        .offset:         80
        .size:           8
        .value_kind:     global_buffer
      - .offset:         88
        .size:           4
        .value_kind:     by_value
      - .offset:         92
        .size:           1
        .value_kind:     by_value
    .group_segment_fixed_size: 0
    .kernarg_segment_align: 8
    .kernarg_segment_size: 96
    .language:       OpenCL C
    .language_version:
      - 2
      - 0
    .max_flat_workgroup_size: 256
    .name:           _ZN9rocsparseL18bsrxmvn_3x3_kernelILj256ELj8EdlifddEEvT3_20rocsparse_direction_NS_24const_host_device_scalarIT1_EES1_PKS1_PKT2_SA_S7_PKT4_PKT5_S5_PT6_21rocsparse_index_base_b
    .private_segment_fixed_size: 0
    .sgpr_count:     16
    .sgpr_spill_count: 0
    .symbol:         _ZN9rocsparseL18bsrxmvn_3x3_kernelILj256ELj8EdlifddEEvT3_20rocsparse_direction_NS_24const_host_device_scalarIT1_EES1_PKS1_PKT2_SA_S7_PKT4_PKT5_S5_PT6_21rocsparse_index_base_b.kd
    .uniform_work_group_size: 1
    .uses_dynamic_stack: false
    .vgpr_count:     45
    .vgpr_spill_count: 0
    .wavefront_size: 32
    .workgroup_processor_mode: 1
  - .args:
      - .offset:         0
        .size:           4
        .value_kind:     by_value
      - .offset:         4
        .size:           4
        .value_kind:     by_value
      - .offset:         8
        .size:           8
        .value_kind:     by_value
      - .offset:         16
        .size:           4
        .value_kind:     by_value
      - .actual_access:  read_only
        .address_space:  global
        .offset:         24
        .size:           8
        .value_kind:     global_buffer
      - .actual_access:  read_only
        .address_space:  global
        .offset:         32
        .size:           8
        .value_kind:     global_buffer
      - .actual_access:  read_only
        .address_space:  global
        .offset:         40
        .size:           8
        .value_kind:     global_buffer
      - .actual_access:  read_only
        .address_space:  global
        .offset:         48
        .size:           8
        .value_kind:     global_buffer
      - .actual_access:  read_only
        .address_space:  global
        .offset:         56
        .size:           8
        .value_kind:     global_buffer
      - .actual_access:  read_only
        .address_space:  global
        .offset:         64
        .size:           8
        .value_kind:     global_buffer
      - .offset:         72
        .size:           8
        .value_kind:     by_value
      - .address_space:  global
        .offset:         80
        .size:           8
        .value_kind:     global_buffer
      - .offset:         88
        .size:           4
        .value_kind:     by_value
      - .offset:         92
        .size:           1
        .value_kind:     by_value
    .group_segment_fixed_size: 0
    .kernarg_segment_align: 8
    .kernarg_segment_size: 96
    .language:       OpenCL C
    .language_version:
      - 2
      - 0
    .max_flat_workgroup_size: 256
    .name:           _ZN9rocsparseL18bsrxmvn_3x3_kernelILj256ELj16EdlifddEEvT3_20rocsparse_direction_NS_24const_host_device_scalarIT1_EES1_PKS1_PKT2_SA_S7_PKT4_PKT5_S5_PT6_21rocsparse_index_base_b
    .private_segment_fixed_size: 0
    .sgpr_count:     16
    .sgpr_spill_count: 0
    .symbol:         _ZN9rocsparseL18bsrxmvn_3x3_kernelILj256ELj16EdlifddEEvT3_20rocsparse_direction_NS_24const_host_device_scalarIT1_EES1_PKS1_PKT2_SA_S7_PKT4_PKT5_S5_PT6_21rocsparse_index_base_b.kd
    .uniform_work_group_size: 1
    .uses_dynamic_stack: false
    .vgpr_count:     45
    .vgpr_spill_count: 0
    .wavefront_size: 32
    .workgroup_processor_mode: 1
  - .args:
      - .offset:         0
        .size:           4
        .value_kind:     by_value
      - .offset:         4
        .size:           4
        .value_kind:     by_value
      - .offset:         8
        .size:           8
        .value_kind:     by_value
      - .offset:         16
        .size:           4
        .value_kind:     by_value
      - .actual_access:  read_only
        .address_space:  global
        .offset:         24
        .size:           8
        .value_kind:     global_buffer
      - .actual_access:  read_only
        .address_space:  global
        .offset:         32
        .size:           8
        .value_kind:     global_buffer
      - .actual_access:  read_only
        .address_space:  global
        .offset:         40
        .size:           8
        .value_kind:     global_buffer
      - .actual_access:  read_only
        .address_space:  global
        .offset:         48
        .size:           8
        .value_kind:     global_buffer
      - .actual_access:  read_only
        .address_space:  global
        .offset:         56
        .size:           8
        .value_kind:     global_buffer
      - .actual_access:  read_only
        .address_space:  global
        .offset:         64
        .size:           8
        .value_kind:     global_buffer
      - .offset:         72
        .size:           8
        .value_kind:     by_value
      - .address_space:  global
        .offset:         80
        .size:           8
        .value_kind:     global_buffer
      - .offset:         88
        .size:           4
        .value_kind:     by_value
      - .offset:         92
        .size:           1
        .value_kind:     by_value
    .group_segment_fixed_size: 0
    .kernarg_segment_align: 8
    .kernarg_segment_size: 96
    .language:       OpenCL C
    .language_version:
      - 2
      - 0
    .max_flat_workgroup_size: 256
    .name:           _ZN9rocsparseL18bsrxmvn_3x3_kernelILj256ELj32EdlifddEEvT3_20rocsparse_direction_NS_24const_host_device_scalarIT1_EES1_PKS1_PKT2_SA_S7_PKT4_PKT5_S5_PT6_21rocsparse_index_base_b
    .private_segment_fixed_size: 0
    .sgpr_count:     16
    .sgpr_spill_count: 0
    .symbol:         _ZN9rocsparseL18bsrxmvn_3x3_kernelILj256ELj32EdlifddEEvT3_20rocsparse_direction_NS_24const_host_device_scalarIT1_EES1_PKS1_PKT2_SA_S7_PKT4_PKT5_S5_PT6_21rocsparse_index_base_b.kd
    .uniform_work_group_size: 1
    .uses_dynamic_stack: false
    .vgpr_count:     45
    .vgpr_spill_count: 0
    .wavefront_size: 32
    .workgroup_processor_mode: 1
  - .args:
      - .offset:         0
        .size:           4
        .value_kind:     by_value
      - .offset:         4
        .size:           4
        .value_kind:     by_value
      - .offset:         8
        .size:           8
        .value_kind:     by_value
      - .offset:         16
        .size:           4
        .value_kind:     by_value
      - .actual_access:  read_only
        .address_space:  global
        .offset:         24
        .size:           8
        .value_kind:     global_buffer
      - .actual_access:  read_only
        .address_space:  global
        .offset:         32
        .size:           8
        .value_kind:     global_buffer
      - .actual_access:  read_only
        .address_space:  global
        .offset:         40
        .size:           8
        .value_kind:     global_buffer
      - .actual_access:  read_only
        .address_space:  global
        .offset:         48
        .size:           8
        .value_kind:     global_buffer
      - .actual_access:  read_only
        .address_space:  global
        .offset:         56
        .size:           8
        .value_kind:     global_buffer
      - .actual_access:  read_only
        .address_space:  global
        .offset:         64
        .size:           8
        .value_kind:     global_buffer
      - .offset:         72
        .size:           8
        .value_kind:     by_value
      - .address_space:  global
        .offset:         80
        .size:           8
        .value_kind:     global_buffer
      - .offset:         88
        .size:           4
        .value_kind:     by_value
      - .offset:         92
        .size:           1
        .value_kind:     by_value
    .group_segment_fixed_size: 0
    .kernarg_segment_align: 8
    .kernarg_segment_size: 96
    .language:       OpenCL C
    .language_version:
      - 2
      - 0
    .max_flat_workgroup_size: 256
    .name:           _ZN9rocsparseL18bsrxmvn_3x3_kernelILj256ELj64EdlifddEEvT3_20rocsparse_direction_NS_24const_host_device_scalarIT1_EES1_PKS1_PKT2_SA_S7_PKT4_PKT5_S5_PT6_21rocsparse_index_base_b
    .private_segment_fixed_size: 0
    .sgpr_count:     16
    .sgpr_spill_count: 0
    .symbol:         _ZN9rocsparseL18bsrxmvn_3x3_kernelILj256ELj64EdlifddEEvT3_20rocsparse_direction_NS_24const_host_device_scalarIT1_EES1_PKS1_PKT2_SA_S7_PKT4_PKT5_S5_PT6_21rocsparse_index_base_b.kd
    .uniform_work_group_size: 1
    .uses_dynamic_stack: false
    .vgpr_count:     45
    .vgpr_spill_count: 0
    .wavefront_size: 32
    .workgroup_processor_mode: 1
  - .args:
      - .offset:         0
        .size:           8
        .value_kind:     by_value
      - .offset:         8
        .size:           4
        .value_kind:     by_value
      - .offset:         16
        .size:           8
        .value_kind:     by_value
      - .offset:         24
        .size:           8
        .value_kind:     by_value
      - .actual_access:  read_only
        .address_space:  global
        .offset:         32
        .size:           8
        .value_kind:     global_buffer
      - .actual_access:  read_only
        .address_space:  global
        .offset:         40
        .size:           8
        .value_kind:     global_buffer
      - .actual_access:  read_only
        .address_space:  global
        .offset:         48
        .size:           8
        .value_kind:     global_buffer
      - .actual_access:  read_only
        .address_space:  global
        .offset:         56
        .size:           8
        .value_kind:     global_buffer
      - .actual_access:  read_only
        .address_space:  global
        .offset:         64
        .size:           8
        .value_kind:     global_buffer
      - .actual_access:  read_only
        .address_space:  global
        .offset:         72
        .size:           8
        .value_kind:     global_buffer
      - .offset:         80
        .size:           8
        .value_kind:     by_value
      - .address_space:  global
        .offset:         88
        .size:           8
        .value_kind:     global_buffer
      - .offset:         96
        .size:           4
        .value_kind:     by_value
      - .offset:         100
        .size:           1
        .value_kind:     by_value
    .group_segment_fixed_size: 0
    .kernarg_segment_align: 8
    .kernarg_segment_size: 104
    .language:       OpenCL C
    .language_version:
      - 2
      - 0
    .max_flat_workgroup_size: 256
    .name:           _ZN9rocsparseL18bsrxmvn_3x3_kernelILj256ELj4EdllfddEEvT3_20rocsparse_direction_NS_24const_host_device_scalarIT1_EES1_PKS1_PKT2_SA_S7_PKT4_PKT5_S5_PT6_21rocsparse_index_base_b
    .private_segment_fixed_size: 0
    .sgpr_count:     14
    .sgpr_spill_count: 0
    .symbol:         _ZN9rocsparseL18bsrxmvn_3x3_kernelILj256ELj4EdllfddEEvT3_20rocsparse_direction_NS_24const_host_device_scalarIT1_EES1_PKS1_PKT2_SA_S7_PKT4_PKT5_S5_PT6_21rocsparse_index_base_b.kd
    .uniform_work_group_size: 1
    .uses_dynamic_stack: false
    .vgpr_count:     49
    .vgpr_spill_count: 0
    .wavefront_size: 32
    .workgroup_processor_mode: 1
  - .args:
      - .offset:         0
        .size:           8
        .value_kind:     by_value
      - .offset:         8
        .size:           4
        .value_kind:     by_value
      - .offset:         16
        .size:           8
        .value_kind:     by_value
      - .offset:         24
        .size:           8
        .value_kind:     by_value
      - .actual_access:  read_only
        .address_space:  global
        .offset:         32
        .size:           8
        .value_kind:     global_buffer
      - .actual_access:  read_only
        .address_space:  global
        .offset:         40
        .size:           8
        .value_kind:     global_buffer
      - .actual_access:  read_only
        .address_space:  global
        .offset:         48
        .size:           8
        .value_kind:     global_buffer
      - .actual_access:  read_only
        .address_space:  global
        .offset:         56
        .size:           8
        .value_kind:     global_buffer
      - .actual_access:  read_only
        .address_space:  global
        .offset:         64
        .size:           8
        .value_kind:     global_buffer
      - .actual_access:  read_only
        .address_space:  global
        .offset:         72
        .size:           8
        .value_kind:     global_buffer
      - .offset:         80
        .size:           8
        .value_kind:     by_value
      - .address_space:  global
        .offset:         88
        .size:           8
        .value_kind:     global_buffer
      - .offset:         96
        .size:           4
        .value_kind:     by_value
      - .offset:         100
        .size:           1
        .value_kind:     by_value
    .group_segment_fixed_size: 0
    .kernarg_segment_align: 8
    .kernarg_segment_size: 104
    .language:       OpenCL C
    .language_version:
      - 2
      - 0
    .max_flat_workgroup_size: 256
    .name:           _ZN9rocsparseL18bsrxmvn_3x3_kernelILj256ELj8EdllfddEEvT3_20rocsparse_direction_NS_24const_host_device_scalarIT1_EES1_PKS1_PKT2_SA_S7_PKT4_PKT5_S5_PT6_21rocsparse_index_base_b
    .private_segment_fixed_size: 0
    .sgpr_count:     14
    .sgpr_spill_count: 0
    .symbol:         _ZN9rocsparseL18bsrxmvn_3x3_kernelILj256ELj8EdllfddEEvT3_20rocsparse_direction_NS_24const_host_device_scalarIT1_EES1_PKS1_PKT2_SA_S7_PKT4_PKT5_S5_PT6_21rocsparse_index_base_b.kd
    .uniform_work_group_size: 1
    .uses_dynamic_stack: false
    .vgpr_count:     49
    .vgpr_spill_count: 0
    .wavefront_size: 32
    .workgroup_processor_mode: 1
  - .args:
      - .offset:         0
        .size:           8
        .value_kind:     by_value
      - .offset:         8
        .size:           4
        .value_kind:     by_value
      - .offset:         16
        .size:           8
        .value_kind:     by_value
      - .offset:         24
        .size:           8
        .value_kind:     by_value
      - .actual_access:  read_only
        .address_space:  global
        .offset:         32
        .size:           8
        .value_kind:     global_buffer
      - .actual_access:  read_only
        .address_space:  global
        .offset:         40
        .size:           8
        .value_kind:     global_buffer
      - .actual_access:  read_only
        .address_space:  global
        .offset:         48
        .size:           8
        .value_kind:     global_buffer
      - .actual_access:  read_only
        .address_space:  global
        .offset:         56
        .size:           8
        .value_kind:     global_buffer
      - .actual_access:  read_only
        .address_space:  global
        .offset:         64
        .size:           8
        .value_kind:     global_buffer
      - .actual_access:  read_only
        .address_space:  global
        .offset:         72
        .size:           8
        .value_kind:     global_buffer
      - .offset:         80
        .size:           8
        .value_kind:     by_value
      - .address_space:  global
        .offset:         88
        .size:           8
        .value_kind:     global_buffer
      - .offset:         96
        .size:           4
        .value_kind:     by_value
      - .offset:         100
        .size:           1
        .value_kind:     by_value
    .group_segment_fixed_size: 0
    .kernarg_segment_align: 8
    .kernarg_segment_size: 104
    .language:       OpenCL C
    .language_version:
      - 2
      - 0
    .max_flat_workgroup_size: 256
    .name:           _ZN9rocsparseL18bsrxmvn_3x3_kernelILj256ELj16EdllfddEEvT3_20rocsparse_direction_NS_24const_host_device_scalarIT1_EES1_PKS1_PKT2_SA_S7_PKT4_PKT5_S5_PT6_21rocsparse_index_base_b
    .private_segment_fixed_size: 0
    .sgpr_count:     14
    .sgpr_spill_count: 0
    .symbol:         _ZN9rocsparseL18bsrxmvn_3x3_kernelILj256ELj16EdllfddEEvT3_20rocsparse_direction_NS_24const_host_device_scalarIT1_EES1_PKS1_PKT2_SA_S7_PKT4_PKT5_S5_PT6_21rocsparse_index_base_b.kd
    .uniform_work_group_size: 1
    .uses_dynamic_stack: false
    .vgpr_count:     49
    .vgpr_spill_count: 0
    .wavefront_size: 32
    .workgroup_processor_mode: 1
  - .args:
      - .offset:         0
        .size:           8
        .value_kind:     by_value
      - .offset:         8
        .size:           4
        .value_kind:     by_value
      - .offset:         16
        .size:           8
        .value_kind:     by_value
      - .offset:         24
        .size:           8
        .value_kind:     by_value
      - .actual_access:  read_only
        .address_space:  global
        .offset:         32
        .size:           8
        .value_kind:     global_buffer
      - .actual_access:  read_only
        .address_space:  global
        .offset:         40
        .size:           8
        .value_kind:     global_buffer
      - .actual_access:  read_only
        .address_space:  global
        .offset:         48
        .size:           8
        .value_kind:     global_buffer
      - .actual_access:  read_only
        .address_space:  global
        .offset:         56
        .size:           8
        .value_kind:     global_buffer
      - .actual_access:  read_only
        .address_space:  global
        .offset:         64
        .size:           8
        .value_kind:     global_buffer
      - .actual_access:  read_only
        .address_space:  global
        .offset:         72
        .size:           8
        .value_kind:     global_buffer
      - .offset:         80
        .size:           8
        .value_kind:     by_value
      - .address_space:  global
        .offset:         88
        .size:           8
        .value_kind:     global_buffer
      - .offset:         96
        .size:           4
        .value_kind:     by_value
      - .offset:         100
        .size:           1
        .value_kind:     by_value
    .group_segment_fixed_size: 0
    .kernarg_segment_align: 8
    .kernarg_segment_size: 104
    .language:       OpenCL C
    .language_version:
      - 2
      - 0
    .max_flat_workgroup_size: 256
    .name:           _ZN9rocsparseL18bsrxmvn_3x3_kernelILj256ELj32EdllfddEEvT3_20rocsparse_direction_NS_24const_host_device_scalarIT1_EES1_PKS1_PKT2_SA_S7_PKT4_PKT5_S5_PT6_21rocsparse_index_base_b
    .private_segment_fixed_size: 0
    .sgpr_count:     14
    .sgpr_spill_count: 0
    .symbol:         _ZN9rocsparseL18bsrxmvn_3x3_kernelILj256ELj32EdllfddEEvT3_20rocsparse_direction_NS_24const_host_device_scalarIT1_EES1_PKS1_PKT2_SA_S7_PKT4_PKT5_S5_PT6_21rocsparse_index_base_b.kd
    .uniform_work_group_size: 1
    .uses_dynamic_stack: false
    .vgpr_count:     49
    .vgpr_spill_count: 0
    .wavefront_size: 32
    .workgroup_processor_mode: 1
  - .args:
      - .offset:         0
        .size:           8
        .value_kind:     by_value
      - .offset:         8
        .size:           4
        .value_kind:     by_value
      - .offset:         16
        .size:           8
        .value_kind:     by_value
      - .offset:         24
        .size:           8
        .value_kind:     by_value
      - .actual_access:  read_only
        .address_space:  global
        .offset:         32
        .size:           8
        .value_kind:     global_buffer
      - .actual_access:  read_only
        .address_space:  global
        .offset:         40
        .size:           8
        .value_kind:     global_buffer
      - .actual_access:  read_only
        .address_space:  global
        .offset:         48
        .size:           8
        .value_kind:     global_buffer
      - .actual_access:  read_only
        .address_space:  global
        .offset:         56
        .size:           8
        .value_kind:     global_buffer
      - .actual_access:  read_only
        .address_space:  global
        .offset:         64
        .size:           8
        .value_kind:     global_buffer
      - .actual_access:  read_only
        .address_space:  global
        .offset:         72
        .size:           8
        .value_kind:     global_buffer
      - .offset:         80
        .size:           8
        .value_kind:     by_value
      - .address_space:  global
        .offset:         88
        .size:           8
        .value_kind:     global_buffer
      - .offset:         96
        .size:           4
        .value_kind:     by_value
      - .offset:         100
        .size:           1
        .value_kind:     by_value
    .group_segment_fixed_size: 0
    .kernarg_segment_align: 8
    .kernarg_segment_size: 104
    .language:       OpenCL C
    .language_version:
      - 2
      - 0
    .max_flat_workgroup_size: 256
    .name:           _ZN9rocsparseL18bsrxmvn_3x3_kernelILj256ELj64EdllfddEEvT3_20rocsparse_direction_NS_24const_host_device_scalarIT1_EES1_PKS1_PKT2_SA_S7_PKT4_PKT5_S5_PT6_21rocsparse_index_base_b
    .private_segment_fixed_size: 0
    .sgpr_count:     14
    .sgpr_spill_count: 0
    .symbol:         _ZN9rocsparseL18bsrxmvn_3x3_kernelILj256ELj64EdllfddEEvT3_20rocsparse_direction_NS_24const_host_device_scalarIT1_EES1_PKS1_PKT2_SA_S7_PKT4_PKT5_S5_PT6_21rocsparse_index_base_b.kd
    .uniform_work_group_size: 1
    .uses_dynamic_stack: false
    .vgpr_count:     49
    .vgpr_spill_count: 0
    .wavefront_size: 32
    .workgroup_processor_mode: 1
  - .args:
      - .offset:         0
        .size:           4
        .value_kind:     by_value
      - .offset:         4
        .size:           4
        .value_kind:     by_value
      - .offset:         8
        .size:           16
        .value_kind:     by_value
      - .offset:         24
        .size:           4
        .value_kind:     by_value
      - .actual_access:  read_only
        .address_space:  global
        .offset:         32
        .size:           8
        .value_kind:     global_buffer
      - .actual_access:  read_only
        .address_space:  global
        .offset:         40
        .size:           8
        .value_kind:     global_buffer
      - .actual_access:  read_only
        .address_space:  global
        .offset:         48
        .size:           8
        .value_kind:     global_buffer
      - .actual_access:  read_only
        .address_space:  global
        .offset:         56
        .size:           8
        .value_kind:     global_buffer
      - .actual_access:  read_only
        .address_space:  global
        .offset:         64
        .size:           8
        .value_kind:     global_buffer
      - .actual_access:  read_only
        .address_space:  global
        .offset:         72
        .size:           8
        .value_kind:     global_buffer
      - .offset:         80
        .size:           16
        .value_kind:     by_value
      - .address_space:  global
        .offset:         96
        .size:           8
        .value_kind:     global_buffer
      - .offset:         104
        .size:           4
        .value_kind:     by_value
      - .offset:         108
        .size:           1
        .value_kind:     by_value
    .group_segment_fixed_size: 0
    .kernarg_segment_align: 8
    .kernarg_segment_size: 112
    .language:       OpenCL C
    .language_version:
      - 2
      - 0
    .max_flat_workgroup_size: 256
    .name:           _ZN9rocsparseL18bsrxmvn_3x3_kernelILj256ELj4E21rocsparse_complex_numIdEiiS1_IfES2_S2_EEvT3_20rocsparse_direction_NS_24const_host_device_scalarIT1_EES4_PKS4_PKT2_SD_SA_PKT4_PKT5_S8_PT6_21rocsparse_index_base_b
    .private_segment_fixed_size: 0
    .sgpr_count:     16
    .sgpr_spill_count: 0
    .symbol:         _ZN9rocsparseL18bsrxmvn_3x3_kernelILj256ELj4E21rocsparse_complex_numIdEiiS1_IfES2_S2_EEvT3_20rocsparse_direction_NS_24const_host_device_scalarIT1_EES4_PKS4_PKT2_SD_SA_PKT4_PKT5_S8_PT6_21rocsparse_index_base_b.kd
    .uniform_work_group_size: 1
    .uses_dynamic_stack: false
    .vgpr_count:     71
    .vgpr_spill_count: 0
    .wavefront_size: 32
    .workgroup_processor_mode: 1
  - .args:
      - .offset:         0
        .size:           4
        .value_kind:     by_value
      - .offset:         4
        .size:           4
        .value_kind:     by_value
      - .offset:         8
        .size:           16
        .value_kind:     by_value
      - .offset:         24
        .size:           4
        .value_kind:     by_value
      - .actual_access:  read_only
        .address_space:  global
        .offset:         32
        .size:           8
        .value_kind:     global_buffer
      - .actual_access:  read_only
        .address_space:  global
        .offset:         40
        .size:           8
        .value_kind:     global_buffer
      - .actual_access:  read_only
        .address_space:  global
        .offset:         48
        .size:           8
        .value_kind:     global_buffer
      - .actual_access:  read_only
        .address_space:  global
        .offset:         56
        .size:           8
        .value_kind:     global_buffer
      - .actual_access:  read_only
        .address_space:  global
        .offset:         64
        .size:           8
        .value_kind:     global_buffer
      - .actual_access:  read_only
        .address_space:  global
        .offset:         72
        .size:           8
        .value_kind:     global_buffer
      - .offset:         80
        .size:           16
        .value_kind:     by_value
      - .address_space:  global
        .offset:         96
        .size:           8
        .value_kind:     global_buffer
      - .offset:         104
        .size:           4
        .value_kind:     by_value
      - .offset:         108
        .size:           1
        .value_kind:     by_value
    .group_segment_fixed_size: 0
    .kernarg_segment_align: 8
    .kernarg_segment_size: 112
    .language:       OpenCL C
    .language_version:
      - 2
      - 0
    .max_flat_workgroup_size: 256
    .name:           _ZN9rocsparseL18bsrxmvn_3x3_kernelILj256ELj8E21rocsparse_complex_numIdEiiS1_IfES2_S2_EEvT3_20rocsparse_direction_NS_24const_host_device_scalarIT1_EES4_PKS4_PKT2_SD_SA_PKT4_PKT5_S8_PT6_21rocsparse_index_base_b
    .private_segment_fixed_size: 0
    .sgpr_count:     16
    .sgpr_spill_count: 0
    .symbol:         _ZN9rocsparseL18bsrxmvn_3x3_kernelILj256ELj8E21rocsparse_complex_numIdEiiS1_IfES2_S2_EEvT3_20rocsparse_direction_NS_24const_host_device_scalarIT1_EES4_PKS4_PKT2_SD_SA_PKT4_PKT5_S8_PT6_21rocsparse_index_base_b.kd
    .uniform_work_group_size: 1
    .uses_dynamic_stack: false
    .vgpr_count:     71
    .vgpr_spill_count: 0
    .wavefront_size: 32
    .workgroup_processor_mode: 1
  - .args:
      - .offset:         0
        .size:           4
        .value_kind:     by_value
      - .offset:         4
        .size:           4
        .value_kind:     by_value
      - .offset:         8
        .size:           16
        .value_kind:     by_value
      - .offset:         24
        .size:           4
        .value_kind:     by_value
      - .actual_access:  read_only
        .address_space:  global
        .offset:         32
        .size:           8
        .value_kind:     global_buffer
      - .actual_access:  read_only
        .address_space:  global
        .offset:         40
        .size:           8
        .value_kind:     global_buffer
      - .actual_access:  read_only
        .address_space:  global
        .offset:         48
        .size:           8
        .value_kind:     global_buffer
      - .actual_access:  read_only
        .address_space:  global
        .offset:         56
        .size:           8
        .value_kind:     global_buffer
      - .actual_access:  read_only
        .address_space:  global
        .offset:         64
        .size:           8
        .value_kind:     global_buffer
      - .actual_access:  read_only
        .address_space:  global
        .offset:         72
        .size:           8
        .value_kind:     global_buffer
      - .offset:         80
        .size:           16
        .value_kind:     by_value
      - .address_space:  global
        .offset:         96
        .size:           8
        .value_kind:     global_buffer
      - .offset:         104
        .size:           4
        .value_kind:     by_value
      - .offset:         108
        .size:           1
        .value_kind:     by_value
    .group_segment_fixed_size: 0
    .kernarg_segment_align: 8
    .kernarg_segment_size: 112
    .language:       OpenCL C
    .language_version:
      - 2
      - 0
    .max_flat_workgroup_size: 256
    .name:           _ZN9rocsparseL18bsrxmvn_3x3_kernelILj256ELj16E21rocsparse_complex_numIdEiiS1_IfES2_S2_EEvT3_20rocsparse_direction_NS_24const_host_device_scalarIT1_EES4_PKS4_PKT2_SD_SA_PKT4_PKT5_S8_PT6_21rocsparse_index_base_b
    .private_segment_fixed_size: 0
    .sgpr_count:     16
    .sgpr_spill_count: 0
    .symbol:         _ZN9rocsparseL18bsrxmvn_3x3_kernelILj256ELj16E21rocsparse_complex_numIdEiiS1_IfES2_S2_EEvT3_20rocsparse_direction_NS_24const_host_device_scalarIT1_EES4_PKS4_PKT2_SD_SA_PKT4_PKT5_S8_PT6_21rocsparse_index_base_b.kd
    .uniform_work_group_size: 1
    .uses_dynamic_stack: false
    .vgpr_count:     71
    .vgpr_spill_count: 0
    .wavefront_size: 32
    .workgroup_processor_mode: 1
  - .args:
      - .offset:         0
        .size:           4
        .value_kind:     by_value
      - .offset:         4
        .size:           4
        .value_kind:     by_value
      - .offset:         8
        .size:           16
        .value_kind:     by_value
      - .offset:         24
        .size:           4
        .value_kind:     by_value
      - .actual_access:  read_only
        .address_space:  global
        .offset:         32
        .size:           8
        .value_kind:     global_buffer
      - .actual_access:  read_only
        .address_space:  global
        .offset:         40
        .size:           8
        .value_kind:     global_buffer
      - .actual_access:  read_only
        .address_space:  global
        .offset:         48
        .size:           8
        .value_kind:     global_buffer
      - .actual_access:  read_only
        .address_space:  global
        .offset:         56
        .size:           8
        .value_kind:     global_buffer
      - .actual_access:  read_only
        .address_space:  global
        .offset:         64
        .size:           8
        .value_kind:     global_buffer
      - .actual_access:  read_only
        .address_space:  global
        .offset:         72
        .size:           8
        .value_kind:     global_buffer
      - .offset:         80
        .size:           16
        .value_kind:     by_value
      - .address_space:  global
        .offset:         96
        .size:           8
        .value_kind:     global_buffer
      - .offset:         104
        .size:           4
        .value_kind:     by_value
      - .offset:         108
        .size:           1
        .value_kind:     by_value
    .group_segment_fixed_size: 0
    .kernarg_segment_align: 8
    .kernarg_segment_size: 112
    .language:       OpenCL C
    .language_version:
      - 2
      - 0
    .max_flat_workgroup_size: 256
    .name:           _ZN9rocsparseL18bsrxmvn_3x3_kernelILj256ELj32E21rocsparse_complex_numIdEiiS1_IfES2_S2_EEvT3_20rocsparse_direction_NS_24const_host_device_scalarIT1_EES4_PKS4_PKT2_SD_SA_PKT4_PKT5_S8_PT6_21rocsparse_index_base_b
    .private_segment_fixed_size: 0
    .sgpr_count:     16
    .sgpr_spill_count: 0
    .symbol:         _ZN9rocsparseL18bsrxmvn_3x3_kernelILj256ELj32E21rocsparse_complex_numIdEiiS1_IfES2_S2_EEvT3_20rocsparse_direction_NS_24const_host_device_scalarIT1_EES4_PKS4_PKT2_SD_SA_PKT4_PKT5_S8_PT6_21rocsparse_index_base_b.kd
    .uniform_work_group_size: 1
    .uses_dynamic_stack: false
    .vgpr_count:     71
    .vgpr_spill_count: 0
    .wavefront_size: 32
    .workgroup_processor_mode: 1
  - .args:
      - .offset:         0
        .size:           4
        .value_kind:     by_value
      - .offset:         4
        .size:           4
        .value_kind:     by_value
      - .offset:         8
        .size:           16
        .value_kind:     by_value
      - .offset:         24
        .size:           4
        .value_kind:     by_value
      - .actual_access:  read_only
        .address_space:  global
        .offset:         32
        .size:           8
        .value_kind:     global_buffer
      - .actual_access:  read_only
        .address_space:  global
        .offset:         40
        .size:           8
        .value_kind:     global_buffer
      - .actual_access:  read_only
        .address_space:  global
        .offset:         48
        .size:           8
        .value_kind:     global_buffer
      - .actual_access:  read_only
        .address_space:  global
        .offset:         56
        .size:           8
        .value_kind:     global_buffer
      - .actual_access:  read_only
        .address_space:  global
        .offset:         64
        .size:           8
        .value_kind:     global_buffer
      - .actual_access:  read_only
        .address_space:  global
        .offset:         72
        .size:           8
        .value_kind:     global_buffer
      - .offset:         80
        .size:           16
        .value_kind:     by_value
      - .address_space:  global
        .offset:         96
        .size:           8
        .value_kind:     global_buffer
      - .offset:         104
        .size:           4
        .value_kind:     by_value
      - .offset:         108
        .size:           1
        .value_kind:     by_value
    .group_segment_fixed_size: 0
    .kernarg_segment_align: 8
    .kernarg_segment_size: 112
    .language:       OpenCL C
    .language_version:
      - 2
      - 0
    .max_flat_workgroup_size: 256
    .name:           _ZN9rocsparseL18bsrxmvn_3x3_kernelILj256ELj64E21rocsparse_complex_numIdEiiS1_IfES2_S2_EEvT3_20rocsparse_direction_NS_24const_host_device_scalarIT1_EES4_PKS4_PKT2_SD_SA_PKT4_PKT5_S8_PT6_21rocsparse_index_base_b
    .private_segment_fixed_size: 0
    .sgpr_count:     16
    .sgpr_spill_count: 0
    .symbol:         _ZN9rocsparseL18bsrxmvn_3x3_kernelILj256ELj64E21rocsparse_complex_numIdEiiS1_IfES2_S2_EEvT3_20rocsparse_direction_NS_24const_host_device_scalarIT1_EES4_PKS4_PKT2_SD_SA_PKT4_PKT5_S8_PT6_21rocsparse_index_base_b.kd
    .uniform_work_group_size: 1
    .uses_dynamic_stack: false
    .vgpr_count:     71
    .vgpr_spill_count: 0
    .wavefront_size: 32
    .workgroup_processor_mode: 1
  - .args:
      - .offset:         0
        .size:           4
        .value_kind:     by_value
      - .offset:         4
        .size:           4
        .value_kind:     by_value
      - .offset:         8
        .size:           16
        .value_kind:     by_value
      - .offset:         24
        .size:           4
        .value_kind:     by_value
      - .actual_access:  read_only
        .address_space:  global
        .offset:         32
        .size:           8
        .value_kind:     global_buffer
      - .actual_access:  read_only
        .address_space:  global
        .offset:         40
        .size:           8
        .value_kind:     global_buffer
      - .actual_access:  read_only
        .address_space:  global
        .offset:         48
        .size:           8
        .value_kind:     global_buffer
      - .actual_access:  read_only
        .address_space:  global
        .offset:         56
        .size:           8
        .value_kind:     global_buffer
      - .actual_access:  read_only
        .address_space:  global
        .offset:         64
        .size:           8
        .value_kind:     global_buffer
      - .actual_access:  read_only
        .address_space:  global
        .offset:         72
        .size:           8
        .value_kind:     global_buffer
      - .offset:         80
        .size:           16
        .value_kind:     by_value
      - .address_space:  global
        .offset:         96
        .size:           8
        .value_kind:     global_buffer
      - .offset:         104
        .size:           4
        .value_kind:     by_value
      - .offset:         108
        .size:           1
        .value_kind:     by_value
    .group_segment_fixed_size: 0
    .kernarg_segment_align: 8
    .kernarg_segment_size: 112
    .language:       OpenCL C
    .language_version:
      - 2
      - 0
    .max_flat_workgroup_size: 256
    .name:           _ZN9rocsparseL18bsrxmvn_3x3_kernelILj256ELj4E21rocsparse_complex_numIdEliS1_IfES2_S2_EEvT3_20rocsparse_direction_NS_24const_host_device_scalarIT1_EES4_PKS4_PKT2_SD_SA_PKT4_PKT5_S8_PT6_21rocsparse_index_base_b
    .private_segment_fixed_size: 0
    .sgpr_count:     16
    .sgpr_spill_count: 0
    .symbol:         _ZN9rocsparseL18bsrxmvn_3x3_kernelILj256ELj4E21rocsparse_complex_numIdEliS1_IfES2_S2_EEvT3_20rocsparse_direction_NS_24const_host_device_scalarIT1_EES4_PKS4_PKT2_SD_SA_PKT4_PKT5_S8_PT6_21rocsparse_index_base_b.kd
    .uniform_work_group_size: 1
    .uses_dynamic_stack: false
    .vgpr_count:     74
    .vgpr_spill_count: 0
    .wavefront_size: 32
    .workgroup_processor_mode: 1
  - .args:
      - .offset:         0
        .size:           4
        .value_kind:     by_value
      - .offset:         4
        .size:           4
        .value_kind:     by_value
      - .offset:         8
        .size:           16
        .value_kind:     by_value
      - .offset:         24
        .size:           4
        .value_kind:     by_value
      - .actual_access:  read_only
        .address_space:  global
        .offset:         32
        .size:           8
        .value_kind:     global_buffer
      - .actual_access:  read_only
        .address_space:  global
        .offset:         40
        .size:           8
        .value_kind:     global_buffer
      - .actual_access:  read_only
        .address_space:  global
        .offset:         48
        .size:           8
        .value_kind:     global_buffer
      - .actual_access:  read_only
        .address_space:  global
        .offset:         56
        .size:           8
        .value_kind:     global_buffer
      - .actual_access:  read_only
        .address_space:  global
        .offset:         64
        .size:           8
        .value_kind:     global_buffer
      - .actual_access:  read_only
        .address_space:  global
        .offset:         72
        .size:           8
        .value_kind:     global_buffer
      - .offset:         80
        .size:           16
        .value_kind:     by_value
      - .address_space:  global
        .offset:         96
        .size:           8
        .value_kind:     global_buffer
      - .offset:         104
        .size:           4
        .value_kind:     by_value
      - .offset:         108
        .size:           1
        .value_kind:     by_value
    .group_segment_fixed_size: 0
    .kernarg_segment_align: 8
    .kernarg_segment_size: 112
    .language:       OpenCL C
    .language_version:
      - 2
      - 0
    .max_flat_workgroup_size: 256
    .name:           _ZN9rocsparseL18bsrxmvn_3x3_kernelILj256ELj8E21rocsparse_complex_numIdEliS1_IfES2_S2_EEvT3_20rocsparse_direction_NS_24const_host_device_scalarIT1_EES4_PKS4_PKT2_SD_SA_PKT4_PKT5_S8_PT6_21rocsparse_index_base_b
    .private_segment_fixed_size: 0
    .sgpr_count:     16
    .sgpr_spill_count: 0
    .symbol:         _ZN9rocsparseL18bsrxmvn_3x3_kernelILj256ELj8E21rocsparse_complex_numIdEliS1_IfES2_S2_EEvT3_20rocsparse_direction_NS_24const_host_device_scalarIT1_EES4_PKS4_PKT2_SD_SA_PKT4_PKT5_S8_PT6_21rocsparse_index_base_b.kd
    .uniform_work_group_size: 1
    .uses_dynamic_stack: false
    .vgpr_count:     74
    .vgpr_spill_count: 0
    .wavefront_size: 32
    .workgroup_processor_mode: 1
  - .args:
      - .offset:         0
        .size:           4
        .value_kind:     by_value
      - .offset:         4
        .size:           4
        .value_kind:     by_value
      - .offset:         8
        .size:           16
        .value_kind:     by_value
      - .offset:         24
        .size:           4
        .value_kind:     by_value
      - .actual_access:  read_only
        .address_space:  global
        .offset:         32
        .size:           8
        .value_kind:     global_buffer
      - .actual_access:  read_only
        .address_space:  global
        .offset:         40
        .size:           8
        .value_kind:     global_buffer
      - .actual_access:  read_only
        .address_space:  global
        .offset:         48
        .size:           8
        .value_kind:     global_buffer
      - .actual_access:  read_only
        .address_space:  global
        .offset:         56
        .size:           8
        .value_kind:     global_buffer
      - .actual_access:  read_only
        .address_space:  global
        .offset:         64
        .size:           8
        .value_kind:     global_buffer
      - .actual_access:  read_only
        .address_space:  global
        .offset:         72
        .size:           8
        .value_kind:     global_buffer
      - .offset:         80
        .size:           16
        .value_kind:     by_value
      - .address_space:  global
        .offset:         96
        .size:           8
        .value_kind:     global_buffer
      - .offset:         104
        .size:           4
        .value_kind:     by_value
      - .offset:         108
        .size:           1
        .value_kind:     by_value
    .group_segment_fixed_size: 0
    .kernarg_segment_align: 8
    .kernarg_segment_size: 112
    .language:       OpenCL C
    .language_version:
      - 2
      - 0
    .max_flat_workgroup_size: 256
    .name:           _ZN9rocsparseL18bsrxmvn_3x3_kernelILj256ELj16E21rocsparse_complex_numIdEliS1_IfES2_S2_EEvT3_20rocsparse_direction_NS_24const_host_device_scalarIT1_EES4_PKS4_PKT2_SD_SA_PKT4_PKT5_S8_PT6_21rocsparse_index_base_b
    .private_segment_fixed_size: 0
    .sgpr_count:     16
    .sgpr_spill_count: 0
    .symbol:         _ZN9rocsparseL18bsrxmvn_3x3_kernelILj256ELj16E21rocsparse_complex_numIdEliS1_IfES2_S2_EEvT3_20rocsparse_direction_NS_24const_host_device_scalarIT1_EES4_PKS4_PKT2_SD_SA_PKT4_PKT5_S8_PT6_21rocsparse_index_base_b.kd
    .uniform_work_group_size: 1
    .uses_dynamic_stack: false
    .vgpr_count:     74
    .vgpr_spill_count: 0
    .wavefront_size: 32
    .workgroup_processor_mode: 1
  - .args:
      - .offset:         0
        .size:           4
        .value_kind:     by_value
      - .offset:         4
        .size:           4
        .value_kind:     by_value
      - .offset:         8
        .size:           16
        .value_kind:     by_value
      - .offset:         24
        .size:           4
        .value_kind:     by_value
      - .actual_access:  read_only
        .address_space:  global
        .offset:         32
        .size:           8
        .value_kind:     global_buffer
      - .actual_access:  read_only
        .address_space:  global
        .offset:         40
        .size:           8
        .value_kind:     global_buffer
      - .actual_access:  read_only
        .address_space:  global
        .offset:         48
        .size:           8
        .value_kind:     global_buffer
      - .actual_access:  read_only
        .address_space:  global
        .offset:         56
        .size:           8
        .value_kind:     global_buffer
      - .actual_access:  read_only
        .address_space:  global
        .offset:         64
        .size:           8
        .value_kind:     global_buffer
      - .actual_access:  read_only
        .address_space:  global
        .offset:         72
        .size:           8
        .value_kind:     global_buffer
      - .offset:         80
        .size:           16
        .value_kind:     by_value
      - .address_space:  global
        .offset:         96
        .size:           8
        .value_kind:     global_buffer
      - .offset:         104
        .size:           4
        .value_kind:     by_value
      - .offset:         108
        .size:           1
        .value_kind:     by_value
    .group_segment_fixed_size: 0
    .kernarg_segment_align: 8
    .kernarg_segment_size: 112
    .language:       OpenCL C
    .language_version:
      - 2
      - 0
    .max_flat_workgroup_size: 256
    .name:           _ZN9rocsparseL18bsrxmvn_3x3_kernelILj256ELj32E21rocsparse_complex_numIdEliS1_IfES2_S2_EEvT3_20rocsparse_direction_NS_24const_host_device_scalarIT1_EES4_PKS4_PKT2_SD_SA_PKT4_PKT5_S8_PT6_21rocsparse_index_base_b
    .private_segment_fixed_size: 0
    .sgpr_count:     16
    .sgpr_spill_count: 0
    .symbol:         _ZN9rocsparseL18bsrxmvn_3x3_kernelILj256ELj32E21rocsparse_complex_numIdEliS1_IfES2_S2_EEvT3_20rocsparse_direction_NS_24const_host_device_scalarIT1_EES4_PKS4_PKT2_SD_SA_PKT4_PKT5_S8_PT6_21rocsparse_index_base_b.kd
    .uniform_work_group_size: 1
    .uses_dynamic_stack: false
    .vgpr_count:     74
    .vgpr_spill_count: 0
    .wavefront_size: 32
    .workgroup_processor_mode: 1
  - .args:
      - .offset:         0
        .size:           4
        .value_kind:     by_value
      - .offset:         4
        .size:           4
        .value_kind:     by_value
      - .offset:         8
        .size:           16
        .value_kind:     by_value
      - .offset:         24
        .size:           4
        .value_kind:     by_value
      - .actual_access:  read_only
        .address_space:  global
        .offset:         32
        .size:           8
        .value_kind:     global_buffer
      - .actual_access:  read_only
        .address_space:  global
        .offset:         40
        .size:           8
        .value_kind:     global_buffer
      - .actual_access:  read_only
        .address_space:  global
        .offset:         48
        .size:           8
        .value_kind:     global_buffer
      - .actual_access:  read_only
        .address_space:  global
        .offset:         56
        .size:           8
        .value_kind:     global_buffer
      - .actual_access:  read_only
        .address_space:  global
        .offset:         64
        .size:           8
        .value_kind:     global_buffer
      - .actual_access:  read_only
        .address_space:  global
        .offset:         72
        .size:           8
        .value_kind:     global_buffer
      - .offset:         80
        .size:           16
        .value_kind:     by_value
      - .address_space:  global
        .offset:         96
        .size:           8
        .value_kind:     global_buffer
      - .offset:         104
        .size:           4
        .value_kind:     by_value
      - .offset:         108
        .size:           1
        .value_kind:     by_value
    .group_segment_fixed_size: 0
    .kernarg_segment_align: 8
    .kernarg_segment_size: 112
    .language:       OpenCL C
    .language_version:
      - 2
      - 0
    .max_flat_workgroup_size: 256
    .name:           _ZN9rocsparseL18bsrxmvn_3x3_kernelILj256ELj64E21rocsparse_complex_numIdEliS1_IfES2_S2_EEvT3_20rocsparse_direction_NS_24const_host_device_scalarIT1_EES4_PKS4_PKT2_SD_SA_PKT4_PKT5_S8_PT6_21rocsparse_index_base_b
    .private_segment_fixed_size: 0
    .sgpr_count:     16
    .sgpr_spill_count: 0
    .symbol:         _ZN9rocsparseL18bsrxmvn_3x3_kernelILj256ELj64E21rocsparse_complex_numIdEliS1_IfES2_S2_EEvT3_20rocsparse_direction_NS_24const_host_device_scalarIT1_EES4_PKS4_PKT2_SD_SA_PKT4_PKT5_S8_PT6_21rocsparse_index_base_b.kd
    .uniform_work_group_size: 1
    .uses_dynamic_stack: false
    .vgpr_count:     74
    .vgpr_spill_count: 0
    .wavefront_size: 32
    .workgroup_processor_mode: 1
  - .args:
      - .offset:         0
        .size:           8
        .value_kind:     by_value
      - .offset:         8
        .size:           4
        .value_kind:     by_value
      - .offset:         16
        .size:           16
        .value_kind:     by_value
      - .offset:         32
        .size:           8
        .value_kind:     by_value
      - .actual_access:  read_only
        .address_space:  global
        .offset:         40
        .size:           8
        .value_kind:     global_buffer
      - .actual_access:  read_only
        .address_space:  global
        .offset:         48
        .size:           8
        .value_kind:     global_buffer
      - .actual_access:  read_only
        .address_space:  global
        .offset:         56
        .size:           8
        .value_kind:     global_buffer
      - .actual_access:  read_only
        .address_space:  global
        .offset:         64
        .size:           8
        .value_kind:     global_buffer
      - .actual_access:  read_only
        .address_space:  global
        .offset:         72
        .size:           8
        .value_kind:     global_buffer
      - .actual_access:  read_only
        .address_space:  global
        .offset:         80
        .size:           8
        .value_kind:     global_buffer
      - .offset:         88
        .size:           16
        .value_kind:     by_value
      - .address_space:  global
        .offset:         104
        .size:           8
        .value_kind:     global_buffer
      - .offset:         112
        .size:           4
        .value_kind:     by_value
      - .offset:         116
        .size:           1
        .value_kind:     by_value
    .group_segment_fixed_size: 0
    .kernarg_segment_align: 8
    .kernarg_segment_size: 120
    .language:       OpenCL C
    .language_version:
      - 2
      - 0
    .max_flat_workgroup_size: 256
    .name:           _ZN9rocsparseL18bsrxmvn_3x3_kernelILj256ELj4E21rocsparse_complex_numIdEllS1_IfES2_S2_EEvT3_20rocsparse_direction_NS_24const_host_device_scalarIT1_EES4_PKS4_PKT2_SD_SA_PKT4_PKT5_S8_PT6_21rocsparse_index_base_b
    .private_segment_fixed_size: 0
    .sgpr_count:     14
    .sgpr_spill_count: 0
    .symbol:         _ZN9rocsparseL18bsrxmvn_3x3_kernelILj256ELj4E21rocsparse_complex_numIdEllS1_IfES2_S2_EEvT3_20rocsparse_direction_NS_24const_host_device_scalarIT1_EES4_PKS4_PKT2_SD_SA_PKT4_PKT5_S8_PT6_21rocsparse_index_base_b.kd
    .uniform_work_group_size: 1
    .uses_dynamic_stack: false
    .vgpr_count:     77
    .vgpr_spill_count: 0
    .wavefront_size: 32
    .workgroup_processor_mode: 1
  - .args:
      - .offset:         0
        .size:           8
        .value_kind:     by_value
      - .offset:         8
        .size:           4
        .value_kind:     by_value
      - .offset:         16
        .size:           16
        .value_kind:     by_value
      - .offset:         32
        .size:           8
        .value_kind:     by_value
      - .actual_access:  read_only
        .address_space:  global
        .offset:         40
        .size:           8
        .value_kind:     global_buffer
      - .actual_access:  read_only
        .address_space:  global
        .offset:         48
        .size:           8
        .value_kind:     global_buffer
      - .actual_access:  read_only
        .address_space:  global
        .offset:         56
        .size:           8
        .value_kind:     global_buffer
      - .actual_access:  read_only
        .address_space:  global
        .offset:         64
        .size:           8
        .value_kind:     global_buffer
      - .actual_access:  read_only
        .address_space:  global
        .offset:         72
        .size:           8
        .value_kind:     global_buffer
      - .actual_access:  read_only
        .address_space:  global
        .offset:         80
        .size:           8
        .value_kind:     global_buffer
      - .offset:         88
        .size:           16
        .value_kind:     by_value
      - .address_space:  global
        .offset:         104
        .size:           8
        .value_kind:     global_buffer
      - .offset:         112
        .size:           4
        .value_kind:     by_value
      - .offset:         116
        .size:           1
        .value_kind:     by_value
    .group_segment_fixed_size: 0
    .kernarg_segment_align: 8
    .kernarg_segment_size: 120
    .language:       OpenCL C
    .language_version:
      - 2
      - 0
    .max_flat_workgroup_size: 256
    .name:           _ZN9rocsparseL18bsrxmvn_3x3_kernelILj256ELj8E21rocsparse_complex_numIdEllS1_IfES2_S2_EEvT3_20rocsparse_direction_NS_24const_host_device_scalarIT1_EES4_PKS4_PKT2_SD_SA_PKT4_PKT5_S8_PT6_21rocsparse_index_base_b
    .private_segment_fixed_size: 0
    .sgpr_count:     14
    .sgpr_spill_count: 0
    .symbol:         _ZN9rocsparseL18bsrxmvn_3x3_kernelILj256ELj8E21rocsparse_complex_numIdEllS1_IfES2_S2_EEvT3_20rocsparse_direction_NS_24const_host_device_scalarIT1_EES4_PKS4_PKT2_SD_SA_PKT4_PKT5_S8_PT6_21rocsparse_index_base_b.kd
    .uniform_work_group_size: 1
    .uses_dynamic_stack: false
    .vgpr_count:     77
    .vgpr_spill_count: 0
    .wavefront_size: 32
    .workgroup_processor_mode: 1
  - .args:
      - .offset:         0
        .size:           8
        .value_kind:     by_value
      - .offset:         8
        .size:           4
        .value_kind:     by_value
      - .offset:         16
        .size:           16
        .value_kind:     by_value
      - .offset:         32
        .size:           8
        .value_kind:     by_value
      - .actual_access:  read_only
        .address_space:  global
        .offset:         40
        .size:           8
        .value_kind:     global_buffer
      - .actual_access:  read_only
        .address_space:  global
        .offset:         48
        .size:           8
        .value_kind:     global_buffer
      - .actual_access:  read_only
        .address_space:  global
        .offset:         56
        .size:           8
        .value_kind:     global_buffer
      - .actual_access:  read_only
        .address_space:  global
        .offset:         64
        .size:           8
        .value_kind:     global_buffer
      - .actual_access:  read_only
        .address_space:  global
        .offset:         72
        .size:           8
        .value_kind:     global_buffer
      - .actual_access:  read_only
        .address_space:  global
        .offset:         80
        .size:           8
        .value_kind:     global_buffer
      - .offset:         88
        .size:           16
        .value_kind:     by_value
      - .address_space:  global
        .offset:         104
        .size:           8
        .value_kind:     global_buffer
      - .offset:         112
        .size:           4
        .value_kind:     by_value
      - .offset:         116
        .size:           1
        .value_kind:     by_value
    .group_segment_fixed_size: 0
    .kernarg_segment_align: 8
    .kernarg_segment_size: 120
    .language:       OpenCL C
    .language_version:
      - 2
      - 0
    .max_flat_workgroup_size: 256
    .name:           _ZN9rocsparseL18bsrxmvn_3x3_kernelILj256ELj16E21rocsparse_complex_numIdEllS1_IfES2_S2_EEvT3_20rocsparse_direction_NS_24const_host_device_scalarIT1_EES4_PKS4_PKT2_SD_SA_PKT4_PKT5_S8_PT6_21rocsparse_index_base_b
    .private_segment_fixed_size: 0
    .sgpr_count:     14
    .sgpr_spill_count: 0
    .symbol:         _ZN9rocsparseL18bsrxmvn_3x3_kernelILj256ELj16E21rocsparse_complex_numIdEllS1_IfES2_S2_EEvT3_20rocsparse_direction_NS_24const_host_device_scalarIT1_EES4_PKS4_PKT2_SD_SA_PKT4_PKT5_S8_PT6_21rocsparse_index_base_b.kd
    .uniform_work_group_size: 1
    .uses_dynamic_stack: false
    .vgpr_count:     77
    .vgpr_spill_count: 0
    .wavefront_size: 32
    .workgroup_processor_mode: 1
  - .args:
      - .offset:         0
        .size:           8
        .value_kind:     by_value
      - .offset:         8
        .size:           4
        .value_kind:     by_value
      - .offset:         16
        .size:           16
        .value_kind:     by_value
      - .offset:         32
        .size:           8
        .value_kind:     by_value
      - .actual_access:  read_only
        .address_space:  global
        .offset:         40
        .size:           8
        .value_kind:     global_buffer
      - .actual_access:  read_only
        .address_space:  global
        .offset:         48
        .size:           8
        .value_kind:     global_buffer
      - .actual_access:  read_only
        .address_space:  global
        .offset:         56
        .size:           8
        .value_kind:     global_buffer
      - .actual_access:  read_only
        .address_space:  global
        .offset:         64
        .size:           8
        .value_kind:     global_buffer
      - .actual_access:  read_only
        .address_space:  global
        .offset:         72
        .size:           8
        .value_kind:     global_buffer
      - .actual_access:  read_only
        .address_space:  global
        .offset:         80
        .size:           8
        .value_kind:     global_buffer
      - .offset:         88
        .size:           16
        .value_kind:     by_value
      - .address_space:  global
        .offset:         104
        .size:           8
        .value_kind:     global_buffer
      - .offset:         112
        .size:           4
        .value_kind:     by_value
      - .offset:         116
        .size:           1
        .value_kind:     by_value
    .group_segment_fixed_size: 0
    .kernarg_segment_align: 8
    .kernarg_segment_size: 120
    .language:       OpenCL C
    .language_version:
      - 2
      - 0
    .max_flat_workgroup_size: 256
    .name:           _ZN9rocsparseL18bsrxmvn_3x3_kernelILj256ELj32E21rocsparse_complex_numIdEllS1_IfES2_S2_EEvT3_20rocsparse_direction_NS_24const_host_device_scalarIT1_EES4_PKS4_PKT2_SD_SA_PKT4_PKT5_S8_PT6_21rocsparse_index_base_b
    .private_segment_fixed_size: 0
    .sgpr_count:     14
    .sgpr_spill_count: 0
    .symbol:         _ZN9rocsparseL18bsrxmvn_3x3_kernelILj256ELj32E21rocsparse_complex_numIdEllS1_IfES2_S2_EEvT3_20rocsparse_direction_NS_24const_host_device_scalarIT1_EES4_PKS4_PKT2_SD_SA_PKT4_PKT5_S8_PT6_21rocsparse_index_base_b.kd
    .uniform_work_group_size: 1
    .uses_dynamic_stack: false
    .vgpr_count:     77
    .vgpr_spill_count: 0
    .wavefront_size: 32
    .workgroup_processor_mode: 1
  - .args:
      - .offset:         0
        .size:           8
        .value_kind:     by_value
      - .offset:         8
        .size:           4
        .value_kind:     by_value
      - .offset:         16
        .size:           16
        .value_kind:     by_value
      - .offset:         32
        .size:           8
        .value_kind:     by_value
      - .actual_access:  read_only
        .address_space:  global
        .offset:         40
        .size:           8
        .value_kind:     global_buffer
      - .actual_access:  read_only
        .address_space:  global
        .offset:         48
        .size:           8
        .value_kind:     global_buffer
      - .actual_access:  read_only
        .address_space:  global
        .offset:         56
        .size:           8
        .value_kind:     global_buffer
      - .actual_access:  read_only
        .address_space:  global
        .offset:         64
        .size:           8
        .value_kind:     global_buffer
      - .actual_access:  read_only
        .address_space:  global
        .offset:         72
        .size:           8
        .value_kind:     global_buffer
      - .actual_access:  read_only
        .address_space:  global
        .offset:         80
        .size:           8
        .value_kind:     global_buffer
      - .offset:         88
        .size:           16
        .value_kind:     by_value
      - .address_space:  global
        .offset:         104
        .size:           8
        .value_kind:     global_buffer
      - .offset:         112
        .size:           4
        .value_kind:     by_value
      - .offset:         116
        .size:           1
        .value_kind:     by_value
    .group_segment_fixed_size: 0
    .kernarg_segment_align: 8
    .kernarg_segment_size: 120
    .language:       OpenCL C
    .language_version:
      - 2
      - 0
    .max_flat_workgroup_size: 256
    .name:           _ZN9rocsparseL18bsrxmvn_3x3_kernelILj256ELj64E21rocsparse_complex_numIdEllS1_IfES2_S2_EEvT3_20rocsparse_direction_NS_24const_host_device_scalarIT1_EES4_PKS4_PKT2_SD_SA_PKT4_PKT5_S8_PT6_21rocsparse_index_base_b
    .private_segment_fixed_size: 0
    .sgpr_count:     14
    .sgpr_spill_count: 0
    .symbol:         _ZN9rocsparseL18bsrxmvn_3x3_kernelILj256ELj64E21rocsparse_complex_numIdEllS1_IfES2_S2_EEvT3_20rocsparse_direction_NS_24const_host_device_scalarIT1_EES4_PKS4_PKT2_SD_SA_PKT4_PKT5_S8_PT6_21rocsparse_index_base_b.kd
    .uniform_work_group_size: 1
    .uses_dynamic_stack: false
    .vgpr_count:     77
    .vgpr_spill_count: 0
    .wavefront_size: 32
    .workgroup_processor_mode: 1
amdhsa.target:   amdgcn-amd-amdhsa--gfx1201
amdhsa.version:
  - 1
  - 2
...

	.end_amdgpu_metadata
